;; amdgpu-corpus repo=ROCm/rccl kind=compiled arch=gfx1250 opt=O3
	.amdgcn_target "amdgcn-amd-amdhsa--gfx1250"
	.amdhsa_code_object_version 6
	.text
	.p2align	2                               ; -- Begin function __ockl_fprintf_append_string_n
	.type	__ockl_fprintf_append_string_n,@function
__ockl_fprintf_append_string_n:         ; @__ockl_fprintf_append_string_n
; %bb.0:
	s_wait_loadcnt_dscnt 0x0
	s_wait_kmcnt 0x0
	v_or_b32_e32 v2, 2, v0
	v_cmp_eq_u32_e32 vcc_lo, 0, v6
	v_mbcnt_lo_u32_b32 v30, -1, 0
	s_get_pc_i64 s[0:1]
	s_add_nc_u64 s[0:1], s[0:1], .str.3@rel64+4
	s_mov_b32 s6, 0
	s_cmp_lg_u64 s[0:1], 0
	v_cndmask_b32_e32 v3, v2, v0, vcc_lo
	s_cbranch_scc0 .LBB0_113
; %bb.1:
	s_load_b64 s[2:3], s[8:9], 0x50
	s_delay_alu instid0(VALU_DEP_1) | instskip(SKIP_3) | instid1(VALU_DEP_4)
	v_dual_mov_b32 v7, 0 :: v_dual_bitop2_b32 v0, -3, v3 bitop3:0x40
	v_mov_b64_e32 v[8:9], 0x100000002
	v_mov_b64_e32 v[32:33], s[0:1]
	v_and_b32_e32 v2, 2, v3
	v_mov_b64_e32 v[10:11], v[0:1]
	s_mov_b32 s7, 0
	s_branch .LBB0_3
.LBB0_2:                                ;   in Loop: Header=BB0_3 Depth=1
	s_or_b32 exec_lo, exec_lo, s10
	v_sub_nc_u64_e32 v[4:5], v[4:5], v[34:35]
	v_add_nc_u64_e32 v[32:33], v[32:33], v[34:35]
	s_delay_alu instid0(VALU_DEP_2) | instskip(SKIP_1) | instid1(SALU_CYCLE_1)
	v_cmp_eq_u64_e32 vcc_lo, 0, v[4:5]
	s_or_b32 s7, vcc_lo, s7
	s_and_not1_b32 exec_lo, exec_lo, s7
	s_cbranch_execz .LBB0_85
.LBB0_3:                                ; =>This Loop Header: Depth=1
                                        ;     Child Loop BB0_6 Depth 2
                                        ;     Child Loop BB0_14 Depth 2
	;; [unrolled: 1-line block ×11, first 2 shown]
	v_min_u64 v[34:35], v[4:5], 56
	s_delay_alu instid0(VALU_DEP_3)
	v_add_nc_u64_e32 v[16:17], 8, v[32:33]
	s_mov_b32 s0, exec_lo
	v_cmpx_gt_u64_e32 8, v[4:5]
	s_xor_b32 s4, exec_lo, s0
	s_cbranch_execz .LBB0_9
; %bb.4:                                ;   in Loop: Header=BB0_3 Depth=1
	s_wait_loadcnt 0x0
	v_mov_b64_e32 v[12:13], 0
	s_mov_b32 s5, exec_lo
	v_cmpx_ne_u64_e32 0, v[4:5]
	s_cbranch_execz .LBB0_8
; %bb.5:                                ;   in Loop: Header=BB0_3 Depth=1
	v_mov_b64_e32 v[12:13], 0
	v_mov_b64_e32 v[14:15], v[32:33]
	v_lshlrev_b32_e32 v0, 3, v34
	s_mov_b64 s[0:1], 0
	s_mov_b32 s10, 0
.LBB0_6:                                ;   Parent Loop BB0_3 Depth=1
                                        ; =>  This Inner Loop Header: Depth=2
	global_load_u8 v6, v[14:15], off
	v_mov_b32_e32 v17, s6
	s_wait_xcnt 0x0
	v_add_nc_u64_e32 v[14:15], 1, v[14:15]
	s_wait_loadcnt 0x0
	v_and_b32_e32 v16, 0xffff, v6
	s_delay_alu instid0(VALU_DEP_1) | instskip(SKIP_1) | instid1(SALU_CYCLE_1)
	v_lshlrev_b64_e32 v[16:17], s0, v[16:17]
	s_add_nc_u64 s[0:1], s[0:1], 8
	v_cmp_eq_u32_e32 vcc_lo, s0, v0
	s_delay_alu instid0(VALU_DEP_2) | instskip(NEXT) | instid1(VALU_DEP_3)
	v_or_b32_e32 v13, v17, v13
	v_or_b32_e32 v12, v16, v12
	s_or_b32 s10, vcc_lo, s10
	s_delay_alu instid0(SALU_CYCLE_1)
	s_and_not1_b32 exec_lo, exec_lo, s10
	s_cbranch_execnz .LBB0_6
; %bb.7:                                ;   in Loop: Header=BB0_3 Depth=1
	s_or_b32 exec_lo, exec_lo, s10
.LBB0_8:                                ;   in Loop: Header=BB0_3 Depth=1
	s_delay_alu instid0(SALU_CYCLE_1)
	s_or_b32 exec_lo, exec_lo, s5
	v_mov_b64_e32 v[16:17], v[32:33]
.LBB0_9:                                ;   in Loop: Header=BB0_3 Depth=1
	s_or_saveexec_b32 s0, s4
	v_mov_b32_e32 v0, 0
	s_xor_b32 exec_lo, exec_lo, s0
	s_cbranch_execz .LBB0_11
; %bb.10:                               ;   in Loop: Header=BB0_3 Depth=1
	s_wait_loadcnt 0x0
	global_load_b64 v[12:13], v[32:33], off
	v_add_nc_u32_e32 v0, -8, v34
.LBB0_11:                               ;   in Loop: Header=BB0_3 Depth=1
	s_wait_xcnt 0x0
	s_or_b32 exec_lo, exec_lo, s0
	v_add_nc_u64_e32 v[18:19], 8, v[16:17]
                                        ; implicit-def: $vgpr14_vgpr15
	s_mov_b32 s0, exec_lo
	v_cmpx_gt_u32_e32 8, v0
	s_xor_b32 s10, exec_lo, s0
	s_cbranch_execz .LBB0_17
; %bb.12:                               ;   in Loop: Header=BB0_3 Depth=1
	v_mov_b64_e32 v[14:15], 0
	s_mov_b32 s11, exec_lo
	v_cmpx_ne_u32_e32 0, v0
	s_cbranch_execz .LBB0_16
; %bb.13:                               ;   in Loop: Header=BB0_3 Depth=1
	v_mov_b64_e32 v[14:15], 0
	s_mov_b64 s[0:1], 0
	s_mov_b32 s12, 0
	s_mov_b64 s[4:5], 0
.LBB0_14:                               ;   Parent Loop BB0_3 Depth=1
                                        ; =>  This Inner Loop Header: Depth=2
	s_delay_alu instid0(SALU_CYCLE_1) | instskip(SKIP_1) | instid1(SALU_CYCLE_1)
	v_add_nc_u64_e32 v[18:19], s[4:5], v[16:17]
	s_add_nc_u64 s[4:5], s[4:5], 1
	v_cmp_eq_u32_e32 vcc_lo, s4, v0
	global_load_u8 v6, v[18:19], off
	s_wait_xcnt 0x0
	v_mov_b32_e32 v19, s6
	s_or_b32 s12, vcc_lo, s12
	s_wait_loadcnt 0x0
	v_and_b32_e32 v18, 0xffff, v6
	s_delay_alu instid0(VALU_DEP_1) | instskip(SKIP_1) | instid1(VALU_DEP_1)
	v_lshlrev_b64_e32 v[18:19], s0, v[18:19]
	s_add_nc_u64 s[0:1], s[0:1], 8
	v_or_b32_e32 v15, v19, v15
	s_delay_alu instid0(VALU_DEP_2)
	v_or_b32_e32 v14, v18, v14
	s_and_not1_b32 exec_lo, exec_lo, s12
	s_cbranch_execnz .LBB0_14
; %bb.15:                               ;   in Loop: Header=BB0_3 Depth=1
	s_or_b32 exec_lo, exec_lo, s12
.LBB0_16:                               ;   in Loop: Header=BB0_3 Depth=1
	s_delay_alu instid0(SALU_CYCLE_1)
	s_or_b32 exec_lo, exec_lo, s11
	v_mov_b64_e32 v[18:19], v[16:17]
                                        ; implicit-def: $vgpr0
.LBB0_17:                               ;   in Loop: Header=BB0_3 Depth=1
	s_or_saveexec_b32 s0, s10
	v_mov_b32_e32 v6, 0
	s_xor_b32 exec_lo, exec_lo, s0
	s_cbranch_execz .LBB0_19
; %bb.18:                               ;   in Loop: Header=BB0_3 Depth=1
	global_load_b64 v[14:15], v[16:17], off
	v_add_nc_u32_e32 v6, -8, v0
.LBB0_19:                               ;   in Loop: Header=BB0_3 Depth=1
	s_wait_xcnt 0x0
	s_or_b32 exec_lo, exec_lo, s0
	v_add_nc_u64_e32 v[20:21], 8, v[18:19]
	s_mov_b32 s0, exec_lo
	v_cmpx_gt_u32_e32 8, v6
	s_xor_b32 s10, exec_lo, s0
	s_cbranch_execz .LBB0_25
; %bb.20:                               ;   in Loop: Header=BB0_3 Depth=1
	v_mov_b64_e32 v[16:17], 0
	s_mov_b32 s11, exec_lo
	v_cmpx_ne_u32_e32 0, v6
	s_cbranch_execz .LBB0_24
; %bb.21:                               ;   in Loop: Header=BB0_3 Depth=1
	v_mov_b64_e32 v[16:17], 0
	s_mov_b64 s[0:1], 0
	s_mov_b32 s12, 0
	s_mov_b64 s[4:5], 0
.LBB0_22:                               ;   Parent Loop BB0_3 Depth=1
                                        ; =>  This Inner Loop Header: Depth=2
	s_delay_alu instid0(SALU_CYCLE_1) | instskip(SKIP_1) | instid1(SALU_CYCLE_1)
	v_add_nc_u64_e32 v[20:21], s[4:5], v[18:19]
	s_add_nc_u64 s[4:5], s[4:5], 1
	v_cmp_eq_u32_e32 vcc_lo, s4, v6
	global_load_u8 v0, v[20:21], off
	s_wait_xcnt 0x0
	v_mov_b32_e32 v21, s6
	s_or_b32 s12, vcc_lo, s12
	s_wait_loadcnt 0x0
	v_and_b32_e32 v20, 0xffff, v0
	s_delay_alu instid0(VALU_DEP_1) | instskip(SKIP_1) | instid1(VALU_DEP_1)
	v_lshlrev_b64_e32 v[20:21], s0, v[20:21]
	s_add_nc_u64 s[0:1], s[0:1], 8
	v_or_b32_e32 v17, v21, v17
	s_delay_alu instid0(VALU_DEP_2)
	v_or_b32_e32 v16, v20, v16
	s_and_not1_b32 exec_lo, exec_lo, s12
	s_cbranch_execnz .LBB0_22
; %bb.23:                               ;   in Loop: Header=BB0_3 Depth=1
	s_or_b32 exec_lo, exec_lo, s12
.LBB0_24:                               ;   in Loop: Header=BB0_3 Depth=1
	s_delay_alu instid0(SALU_CYCLE_1)
	s_or_b32 exec_lo, exec_lo, s11
	v_mov_b64_e32 v[20:21], v[18:19]
                                        ; implicit-def: $vgpr6
.LBB0_25:                               ;   in Loop: Header=BB0_3 Depth=1
	s_or_saveexec_b32 s0, s10
	v_mov_b32_e32 v0, 0
	s_xor_b32 exec_lo, exec_lo, s0
	s_cbranch_execz .LBB0_27
; %bb.26:                               ;   in Loop: Header=BB0_3 Depth=1
	global_load_b64 v[16:17], v[18:19], off
	v_add_nc_u32_e32 v0, -8, v6
.LBB0_27:                               ;   in Loop: Header=BB0_3 Depth=1
	s_wait_xcnt 0x0
	s_or_b32 exec_lo, exec_lo, s0
	v_add_nc_u64_e32 v[22:23], 8, v[20:21]
                                        ; implicit-def: $vgpr18_vgpr19
	s_mov_b32 s0, exec_lo
	v_cmpx_gt_u32_e32 8, v0
	s_xor_b32 s10, exec_lo, s0
	s_cbranch_execz .LBB0_33
; %bb.28:                               ;   in Loop: Header=BB0_3 Depth=1
	v_mov_b64_e32 v[18:19], 0
	s_mov_b32 s11, exec_lo
	v_cmpx_ne_u32_e32 0, v0
	s_cbranch_execz .LBB0_32
; %bb.29:                               ;   in Loop: Header=BB0_3 Depth=1
	v_mov_b64_e32 v[18:19], 0
	s_mov_b64 s[0:1], 0
	s_mov_b32 s12, 0
	s_mov_b64 s[4:5], 0
.LBB0_30:                               ;   Parent Loop BB0_3 Depth=1
                                        ; =>  This Inner Loop Header: Depth=2
	s_delay_alu instid0(SALU_CYCLE_1) | instskip(SKIP_1) | instid1(SALU_CYCLE_1)
	v_add_nc_u64_e32 v[22:23], s[4:5], v[20:21]
	s_add_nc_u64 s[4:5], s[4:5], 1
	v_cmp_eq_u32_e32 vcc_lo, s4, v0
	global_load_u8 v6, v[22:23], off
	s_wait_xcnt 0x0
	v_mov_b32_e32 v23, s6
	s_or_b32 s12, vcc_lo, s12
	s_wait_loadcnt 0x0
	v_and_b32_e32 v22, 0xffff, v6
	s_delay_alu instid0(VALU_DEP_1) | instskip(SKIP_1) | instid1(VALU_DEP_1)
	v_lshlrev_b64_e32 v[22:23], s0, v[22:23]
	s_add_nc_u64 s[0:1], s[0:1], 8
	v_or_b32_e32 v19, v23, v19
	s_delay_alu instid0(VALU_DEP_2)
	v_or_b32_e32 v18, v22, v18
	s_and_not1_b32 exec_lo, exec_lo, s12
	s_cbranch_execnz .LBB0_30
; %bb.31:                               ;   in Loop: Header=BB0_3 Depth=1
	s_or_b32 exec_lo, exec_lo, s12
.LBB0_32:                               ;   in Loop: Header=BB0_3 Depth=1
	s_delay_alu instid0(SALU_CYCLE_1)
	s_or_b32 exec_lo, exec_lo, s11
	v_mov_b64_e32 v[22:23], v[20:21]
                                        ; implicit-def: $vgpr0
.LBB0_33:                               ;   in Loop: Header=BB0_3 Depth=1
	s_or_saveexec_b32 s0, s10
	v_mov_b32_e32 v6, 0
	s_xor_b32 exec_lo, exec_lo, s0
	s_cbranch_execz .LBB0_35
; %bb.34:                               ;   in Loop: Header=BB0_3 Depth=1
	global_load_b64 v[18:19], v[20:21], off
	v_add_nc_u32_e32 v6, -8, v0
.LBB0_35:                               ;   in Loop: Header=BB0_3 Depth=1
	s_wait_xcnt 0x0
	s_or_b32 exec_lo, exec_lo, s0
	v_add_nc_u64_e32 v[24:25], 8, v[22:23]
	s_mov_b32 s0, exec_lo
	v_cmpx_gt_u32_e32 8, v6
	s_xor_b32 s10, exec_lo, s0
	s_cbranch_execz .LBB0_41
; %bb.36:                               ;   in Loop: Header=BB0_3 Depth=1
	v_mov_b64_e32 v[20:21], 0
	s_mov_b32 s11, exec_lo
	v_cmpx_ne_u32_e32 0, v6
	s_cbranch_execz .LBB0_40
; %bb.37:                               ;   in Loop: Header=BB0_3 Depth=1
	v_mov_b64_e32 v[20:21], 0
	s_mov_b64 s[0:1], 0
	s_mov_b32 s12, 0
	s_mov_b64 s[4:5], 0
.LBB0_38:                               ;   Parent Loop BB0_3 Depth=1
                                        ; =>  This Inner Loop Header: Depth=2
	s_delay_alu instid0(SALU_CYCLE_1) | instskip(SKIP_1) | instid1(SALU_CYCLE_1)
	v_add_nc_u64_e32 v[24:25], s[4:5], v[22:23]
	s_add_nc_u64 s[4:5], s[4:5], 1
	v_cmp_eq_u32_e32 vcc_lo, s4, v6
	global_load_u8 v0, v[24:25], off
	s_wait_xcnt 0x0
	v_mov_b32_e32 v25, s6
	s_or_b32 s12, vcc_lo, s12
	s_wait_loadcnt 0x0
	v_and_b32_e32 v24, 0xffff, v0
	s_delay_alu instid0(VALU_DEP_1) | instskip(SKIP_1) | instid1(VALU_DEP_1)
	v_lshlrev_b64_e32 v[24:25], s0, v[24:25]
	s_add_nc_u64 s[0:1], s[0:1], 8
	v_or_b32_e32 v21, v25, v21
	s_delay_alu instid0(VALU_DEP_2)
	v_or_b32_e32 v20, v24, v20
	s_and_not1_b32 exec_lo, exec_lo, s12
	s_cbranch_execnz .LBB0_38
; %bb.39:                               ;   in Loop: Header=BB0_3 Depth=1
	s_or_b32 exec_lo, exec_lo, s12
.LBB0_40:                               ;   in Loop: Header=BB0_3 Depth=1
	s_delay_alu instid0(SALU_CYCLE_1)
	s_or_b32 exec_lo, exec_lo, s11
	v_mov_b64_e32 v[24:25], v[22:23]
                                        ; implicit-def: $vgpr6
.LBB0_41:                               ;   in Loop: Header=BB0_3 Depth=1
	s_or_saveexec_b32 s0, s10
	v_mov_b32_e32 v0, 0
	s_xor_b32 exec_lo, exec_lo, s0
	s_cbranch_execz .LBB0_43
; %bb.42:                               ;   in Loop: Header=BB0_3 Depth=1
	global_load_b64 v[20:21], v[22:23], off
	v_add_nc_u32_e32 v0, -8, v6
.LBB0_43:                               ;   in Loop: Header=BB0_3 Depth=1
	s_wait_xcnt 0x0
	s_or_b32 exec_lo, exec_lo, s0
	v_add_nc_u64_e32 v[26:27], 8, v[24:25]
                                        ; implicit-def: $vgpr22_vgpr23
	s_mov_b32 s0, exec_lo
	v_cmpx_gt_u32_e32 8, v0
	s_xor_b32 s10, exec_lo, s0
	s_cbranch_execz .LBB0_49
; %bb.44:                               ;   in Loop: Header=BB0_3 Depth=1
	v_mov_b64_e32 v[22:23], 0
	s_mov_b32 s11, exec_lo
	v_cmpx_ne_u32_e32 0, v0
	s_cbranch_execz .LBB0_48
; %bb.45:                               ;   in Loop: Header=BB0_3 Depth=1
	v_mov_b64_e32 v[22:23], 0
	s_mov_b64 s[0:1], 0
	s_mov_b32 s12, 0
	s_mov_b64 s[4:5], 0
.LBB0_46:                               ;   Parent Loop BB0_3 Depth=1
                                        ; =>  This Inner Loop Header: Depth=2
	s_delay_alu instid0(SALU_CYCLE_1) | instskip(SKIP_1) | instid1(SALU_CYCLE_1)
	v_add_nc_u64_e32 v[26:27], s[4:5], v[24:25]
	s_add_nc_u64 s[4:5], s[4:5], 1
	v_cmp_eq_u32_e32 vcc_lo, s4, v0
	global_load_u8 v6, v[26:27], off
	s_wait_xcnt 0x0
	v_mov_b32_e32 v27, s6
	s_or_b32 s12, vcc_lo, s12
	s_wait_loadcnt 0x0
	v_and_b32_e32 v26, 0xffff, v6
	s_delay_alu instid0(VALU_DEP_1) | instskip(SKIP_1) | instid1(VALU_DEP_1)
	v_lshlrev_b64_e32 v[26:27], s0, v[26:27]
	s_add_nc_u64 s[0:1], s[0:1], 8
	v_or_b32_e32 v23, v27, v23
	s_delay_alu instid0(VALU_DEP_2)
	v_or_b32_e32 v22, v26, v22
	s_and_not1_b32 exec_lo, exec_lo, s12
	s_cbranch_execnz .LBB0_46
; %bb.47:                               ;   in Loop: Header=BB0_3 Depth=1
	s_or_b32 exec_lo, exec_lo, s12
.LBB0_48:                               ;   in Loop: Header=BB0_3 Depth=1
	s_delay_alu instid0(SALU_CYCLE_1)
	s_or_b32 exec_lo, exec_lo, s11
	v_mov_b64_e32 v[26:27], v[24:25]
                                        ; implicit-def: $vgpr0
.LBB0_49:                               ;   in Loop: Header=BB0_3 Depth=1
	s_or_saveexec_b32 s0, s10
	v_mov_b32_e32 v6, 0
	s_xor_b32 exec_lo, exec_lo, s0
	s_cbranch_execz .LBB0_51
; %bb.50:                               ;   in Loop: Header=BB0_3 Depth=1
	global_load_b64 v[22:23], v[24:25], off
	v_add_nc_u32_e32 v6, -8, v0
.LBB0_51:                               ;   in Loop: Header=BB0_3 Depth=1
	s_wait_xcnt 0x0
	s_or_b32 exec_lo, exec_lo, s0
	s_delay_alu instid0(SALU_CYCLE_1) | instskip(NEXT) | instid1(VALU_DEP_1)
	s_mov_b32 s0, exec_lo
	v_cmpx_gt_u32_e32 8, v6
	s_xor_b32 s4, exec_lo, s0
	s_cbranch_execz .LBB0_57
; %bb.52:                               ;   in Loop: Header=BB0_3 Depth=1
	v_mov_b64_e32 v[24:25], 0
	s_mov_b32 s5, exec_lo
	v_cmpx_ne_u32_e32 0, v6
	s_cbranch_execz .LBB0_56
; %bb.53:                               ;   in Loop: Header=BB0_3 Depth=1
	v_mov_b64_e32 v[24:25], 0
	s_mov_b64 s[0:1], 0
	s_mov_b32 s10, 0
.LBB0_54:                               ;   Parent Loop BB0_3 Depth=1
                                        ; =>  This Inner Loop Header: Depth=2
	global_load_u8 v0, v[26:27], off
	v_dual_mov_b32 v29, s6 :: v_dual_add_nc_u32 v6, -1, v6
	s_wait_xcnt 0x0
	v_add_nc_u64_e32 v[26:27], 1, v[26:27]
	s_delay_alu instid0(VALU_DEP_2) | instskip(SKIP_3) | instid1(VALU_DEP_1)
	v_cmp_eq_u32_e32 vcc_lo, 0, v6
	s_or_b32 s10, vcc_lo, s10
	s_wait_loadcnt 0x0
	v_and_b32_e32 v28, 0xffff, v0
	v_lshlrev_b64_e32 v[28:29], s0, v[28:29]
	s_add_nc_u64 s[0:1], s[0:1], 8
	s_delay_alu instid0(VALU_DEP_1) | instskip(NEXT) | instid1(VALU_DEP_2)
	v_or_b32_e32 v25, v29, v25
	v_or_b32_e32 v24, v28, v24
	s_and_not1_b32 exec_lo, exec_lo, s10
	s_cbranch_execnz .LBB0_54
; %bb.55:                               ;   in Loop: Header=BB0_3 Depth=1
	s_or_b32 exec_lo, exec_lo, s10
.LBB0_56:                               ;   in Loop: Header=BB0_3 Depth=1
	s_delay_alu instid0(SALU_CYCLE_1)
	s_or_b32 exec_lo, exec_lo, s5
                                        ; implicit-def: $vgpr26_vgpr27
.LBB0_57:                               ;   in Loop: Header=BB0_3 Depth=1
	s_and_not1_saveexec_b32 s0, s4
	s_cbranch_execz .LBB0_59
; %bb.58:                               ;   in Loop: Header=BB0_3 Depth=1
	global_load_b64 v[24:25], v[26:27], off
.LBB0_59:                               ;   in Loop: Header=BB0_3 Depth=1
	s_wait_xcnt 0x0
	s_or_b32 exec_lo, exec_lo, s0
	v_readfirstlane_b32 s0, v30
	v_mov_b64_e32 v[36:37], 0
	s_delay_alu instid0(VALU_DEP_2)
	v_cmp_eq_u32_e64 s0, s0, v30
	s_and_saveexec_b32 s1, s0
	s_cbranch_execz .LBB0_65
; %bb.60:                               ;   in Loop: Header=BB0_3 Depth=1
	s_wait_kmcnt 0x0
	global_load_b64 v[28:29], v7, s[2:3] offset:24 scope:SCOPE_SYS
	s_wait_loadcnt 0x0
	global_inv scope:SCOPE_SYS
	s_clause 0x1
	global_load_b64 v[26:27], v7, s[2:3] offset:40
	global_load_b64 v[36:37], v7, s[2:3]
	s_mov_b32 s4, exec_lo
	s_wait_loadcnt 0x1
	v_and_b32_e32 v26, v26, v28
	v_and_b32_e32 v27, v27, v29
	s_delay_alu instid0(VALU_DEP_1) | instskip(SKIP_1) | instid1(VALU_DEP_1)
	v_mul_u64_e32 v[26:27], 24, v[26:27]
	s_wait_loadcnt 0x0
	v_add_nc_u64_e32 v[26:27], v[36:37], v[26:27]
	global_load_b64 v[26:27], v[26:27], off scope:SCOPE_SYS
	s_wait_xcnt 0x0
	s_wait_loadcnt 0x0
	global_atomic_cmpswap_b64 v[36:37], v7, v[26:29], s[2:3] offset:24 th:TH_ATOMIC_RETURN scope:SCOPE_SYS
	s_wait_loadcnt 0x0
	global_inv scope:SCOPE_SYS
	s_wait_xcnt 0x0
	v_cmpx_ne_u64_e64 v[36:37], v[28:29]
	s_cbranch_execz .LBB0_64
; %bb.61:                               ;   in Loop: Header=BB0_3 Depth=1
	s_mov_b32 s5, 0
.LBB0_62:                               ;   Parent Loop BB0_3 Depth=1
                                        ; =>  This Inner Loop Header: Depth=2
	s_sleep 1
	s_clause 0x1
	global_load_b64 v[26:27], v7, s[2:3] offset:40
	global_load_b64 v[38:39], v7, s[2:3]
	v_mov_b64_e32 v[28:29], v[36:37]
	s_wait_loadcnt 0x1
	s_delay_alu instid0(VALU_DEP_1) | instskip(SKIP_1) | instid1(VALU_DEP_1)
	v_and_b32_e32 v0, v26, v28
	s_wait_loadcnt 0x0
	v_mad_nc_u64_u32 v[36:37], v0, 24, v[38:39]
	s_delay_alu instid0(VALU_DEP_3) | instskip(NEXT) | instid1(VALU_DEP_1)
	v_and_b32_e32 v0, v27, v29
	v_mad_u32 v37, v0, 24, v37
	global_load_b64 v[26:27], v[36:37], off scope:SCOPE_SYS
	s_wait_xcnt 0x0
	s_wait_loadcnt 0x0
	global_atomic_cmpswap_b64 v[36:37], v7, v[26:29], s[2:3] offset:24 th:TH_ATOMIC_RETURN scope:SCOPE_SYS
	s_wait_loadcnt 0x0
	global_inv scope:SCOPE_SYS
	v_cmp_eq_u64_e32 vcc_lo, v[36:37], v[28:29]
	s_or_b32 s5, vcc_lo, s5
	s_wait_xcnt 0x0
	s_and_not1_b32 exec_lo, exec_lo, s5
	s_cbranch_execnz .LBB0_62
; %bb.63:                               ;   in Loop: Header=BB0_3 Depth=1
	s_or_b32 exec_lo, exec_lo, s5
.LBB0_64:                               ;   in Loop: Header=BB0_3 Depth=1
	s_delay_alu instid0(SALU_CYCLE_1)
	s_or_b32 exec_lo, exec_lo, s4
.LBB0_65:                               ;   in Loop: Header=BB0_3 Depth=1
	s_delay_alu instid0(SALU_CYCLE_1)
	s_or_b32 exec_lo, exec_lo, s1
	s_wait_kmcnt 0x0
	s_clause 0x1
	global_load_b64 v[38:39], v7, s[2:3] offset:40
	global_load_b128 v[26:29], v7, s[2:3]
	v_readfirstlane_b32 s4, v36
	v_readfirstlane_b32 s5, v37
	s_mov_b32 s1, exec_lo
	s_wait_loadcnt 0x1
	v_and_b32_e32 v38, s4, v38
	v_and_b32_e32 v39, s5, v39
	s_delay_alu instid0(VALU_DEP_1) | instskip(SKIP_1) | instid1(VALU_DEP_1)
	v_mul_u64_e32 v[36:37], 24, v[38:39]
	s_wait_loadcnt 0x0
	v_add_nc_u64_e32 v[36:37], v[26:27], v[36:37]
	s_wait_xcnt 0x0
	s_and_saveexec_b32 s10, s0
	s_cbranch_execz .LBB0_67
; %bb.66:                               ;   in Loop: Header=BB0_3 Depth=1
	v_mov_b32_e32 v6, s1
	global_store_b128 v[36:37], v[6:9], off offset:8
.LBB0_67:                               ;   in Loop: Header=BB0_3 Depth=1
	s_wait_xcnt 0x0
	s_or_b32 exec_lo, exec_lo, s10
	v_cmp_gt_u64_e32 vcc_lo, 57, v[4:5]
	v_lshlrev_b64_e32 v[38:39], 12, v[38:39]
	v_and_b32_e32 v6, 0xffffff1f, v10
	v_lshl_add_u32 v10, v34, 2, 28
	v_cndmask_b32_e32 v0, 0, v2, vcc_lo
	s_delay_alu instid0(VALU_DEP_4) | instskip(NEXT) | instid1(VALU_DEP_2)
	v_add_nc_u64_e32 v[28:29], v[28:29], v[38:39]
	v_dual_lshlrev_b32 v6, 6, v30 :: v_dual_bitop2_b32 v0, v6, v0 bitop3:0x54
	s_delay_alu instid0(VALU_DEP_2) | instskip(NEXT) | instid1(VALU_DEP_3)
	v_readfirstlane_b32 s10, v28
	v_readfirstlane_b32 s11, v29
	s_delay_alu instid0(VALU_DEP_3)
	v_and_or_b32 v10, 0x1e0, v10, v0
	s_clause 0x3
	global_store_b128 v6, v[10:13], s[10:11]
	global_store_b128 v6, v[14:17], s[10:11] offset:16
	global_store_b128 v6, v[18:21], s[10:11] offset:32
	;; [unrolled: 1-line block ×3, first 2 shown]
	s_wait_xcnt 0x0
	s_and_saveexec_b32 s1, s0
	s_cbranch_execz .LBB0_75
; %bb.68:                               ;   in Loop: Header=BB0_3 Depth=1
	s_clause 0x1
	global_load_b64 v[18:19], v7, s[2:3] offset:32 scope:SCOPE_SYS
	global_load_b64 v[10:11], v7, s[2:3] offset:40
	s_mov_b32 s10, exec_lo
	v_dual_mov_b32 v16, s4 :: v_dual_mov_b32 v17, s5
	s_wait_loadcnt 0x0
	v_and_b32_e32 v11, s5, v11
	v_and_b32_e32 v10, s4, v10
	s_delay_alu instid0(VALU_DEP_1) | instskip(NEXT) | instid1(VALU_DEP_1)
	v_mul_u64_e32 v[10:11], 24, v[10:11]
	v_add_nc_u64_e32 v[14:15], v[26:27], v[10:11]
	global_store_b64 v[14:15], v[18:19], off
	global_wb scope:SCOPE_SYS
	s_wait_storecnt 0x0
	s_wait_xcnt 0x0
	global_atomic_cmpswap_b64 v[12:13], v7, v[16:19], s[2:3] offset:32 th:TH_ATOMIC_RETURN scope:SCOPE_SYS
	s_wait_loadcnt 0x0
	v_cmpx_ne_u64_e64 v[12:13], v[18:19]
	s_cbranch_execz .LBB0_71
; %bb.69:                               ;   in Loop: Header=BB0_3 Depth=1
	s_mov_b32 s11, 0
.LBB0_70:                               ;   Parent Loop BB0_3 Depth=1
                                        ; =>  This Inner Loop Header: Depth=2
	v_dual_mov_b32 v10, s4 :: v_dual_mov_b32 v11, s5
	s_sleep 1
	global_store_b64 v[14:15], v[12:13], off
	global_wb scope:SCOPE_SYS
	s_wait_storecnt 0x0
	s_wait_xcnt 0x0
	global_atomic_cmpswap_b64 v[10:11], v7, v[10:13], s[2:3] offset:32 th:TH_ATOMIC_RETURN scope:SCOPE_SYS
	s_wait_loadcnt 0x0
	v_cmp_eq_u64_e32 vcc_lo, v[10:11], v[12:13]
	v_mov_b64_e32 v[12:13], v[10:11]
	s_or_b32 s11, vcc_lo, s11
	s_delay_alu instid0(SALU_CYCLE_1)
	s_and_not1_b32 exec_lo, exec_lo, s11
	s_cbranch_execnz .LBB0_70
.LBB0_71:                               ;   in Loop: Header=BB0_3 Depth=1
	s_or_b32 exec_lo, exec_lo, s10
	global_load_b64 v[10:11], v7, s[2:3] offset:16
	s_mov_b32 s11, exec_lo
	s_mov_b32 s10, exec_lo
	v_mbcnt_lo_u32_b32 v0, s11, 0
	s_wait_xcnt 0x0
	s_delay_alu instid0(VALU_DEP_1)
	v_cmpx_eq_u32_e32 0, v0
	s_cbranch_execz .LBB0_73
; %bb.72:                               ;   in Loop: Header=BB0_3 Depth=1
	s_bcnt1_i32_b32 s11, s11
	s_delay_alu instid0(SALU_CYCLE_1)
	v_dual_mov_b32 v13, v7 :: v_dual_mov_b32 v12, s11
	global_wb scope:SCOPE_SYS
	s_wait_loadcnt 0x0
	s_wait_storecnt 0x0
	global_atomic_add_u64 v[10:11], v[12:13], off offset:8 scope:SCOPE_SYS
.LBB0_73:                               ;   in Loop: Header=BB0_3 Depth=1
	s_wait_xcnt 0x0
	s_or_b32 exec_lo, exec_lo, s10
	s_wait_loadcnt 0x0
	global_load_b64 v[12:13], v[10:11], off offset:16
	s_wait_loadcnt 0x0
	v_cmp_eq_u64_e32 vcc_lo, 0, v[12:13]
	s_cbranch_vccnz .LBB0_75
; %bb.74:                               ;   in Loop: Header=BB0_3 Depth=1
	global_load_b32 v10, v[10:11], off offset:24
	s_wait_xcnt 0x0
	v_mov_b32_e32 v11, v7
	s_wait_loadcnt 0x0
	v_readfirstlane_b32 s10, v10
	global_wb scope:SCOPE_SYS
	s_wait_storecnt 0x0
	global_store_b64 v[12:13], v[10:11], off scope:SCOPE_SYS
	s_and_b32 m0, s10, 0xffffff
	s_sendmsg sendmsg(MSG_INTERRUPT)
.LBB0_75:                               ;   in Loop: Header=BB0_3 Depth=1
	s_wait_xcnt 0x0
	s_or_b32 exec_lo, exec_lo, s1
	v_add_nc_u64_e32 v[10:11], v[28:29], v[6:7]
	s_branch .LBB0_79
.LBB0_76:                               ;   in Loop: Header=BB0_79 Depth=2
	s_wait_xcnt 0x0
	s_or_b32 exec_lo, exec_lo, s1
	s_delay_alu instid0(VALU_DEP_1)
	v_readfirstlane_b32 s1, v0
	s_cmp_eq_u32 s1, 0
	s_cbranch_scc1 .LBB0_78
; %bb.77:                               ;   in Loop: Header=BB0_79 Depth=2
	s_sleep 1
	s_cbranch_execnz .LBB0_79
	s_branch .LBB0_81
.LBB0_78:                               ;   in Loop: Header=BB0_3 Depth=1
	s_branch .LBB0_81
.LBB0_79:                               ;   Parent Loop BB0_3 Depth=1
                                        ; =>  This Inner Loop Header: Depth=2
	v_mov_b32_e32 v0, 1
	s_and_saveexec_b32 s1, s0
	s_cbranch_execz .LBB0_76
; %bb.80:                               ;   in Loop: Header=BB0_79 Depth=2
	global_load_b32 v0, v[36:37], off offset:20 scope:SCOPE_SYS
	s_wait_loadcnt 0x0
	global_inv scope:SCOPE_SYS
	v_and_b32_e32 v0, 1, v0
	s_branch .LBB0_76
.LBB0_81:                               ;   in Loop: Header=BB0_3 Depth=1
	global_load_b128 v[10:13], v[10:11], off
	s_wait_xcnt 0x0
	s_and_saveexec_b32 s10, s0
	s_cbranch_execz .LBB0_2
; %bb.82:                               ;   in Loop: Header=BB0_3 Depth=1
	s_wait_loadcnt 0x0
	s_clause 0x2
	global_load_b64 v[12:13], v7, s[2:3] offset:40
	global_load_b64 v[20:21], v7, s[2:3] offset:24 scope:SCOPE_SYS
	global_load_b64 v[14:15], v7, s[2:3]
	s_wait_loadcnt 0x2
	v_readfirstlane_b32 s12, v12
	v_readfirstlane_b32 s13, v13
	s_add_nc_u64 s[0:1], s[12:13], 1
	s_delay_alu instid0(SALU_CYCLE_1) | instskip(NEXT) | instid1(SALU_CYCLE_1)
	s_add_nc_u64 s[4:5], s[0:1], s[4:5]
	s_cmp_eq_u64 s[4:5], 0
	s_cselect_b32 s1, s1, s5
	s_cselect_b32 s0, s0, s4
	s_delay_alu instid0(SALU_CYCLE_1) | instskip(SKIP_1) | instid1(SALU_CYCLE_1)
	v_dual_mov_b32 v19, s1 :: v_dual_mov_b32 v18, s0
	s_and_b64 s[4:5], s[0:1], s[12:13]
	s_mul_u64 s[4:5], s[4:5], 24
	s_wait_loadcnt 0x0
	v_add_nc_u64_e32 v[16:17], s[4:5], v[14:15]
	global_store_b64 v[16:17], v[20:21], off
	global_wb scope:SCOPE_SYS
	s_wait_storecnt 0x0
	s_wait_xcnt 0x0
	global_atomic_cmpswap_b64 v[14:15], v7, v[18:21], s[2:3] offset:24 th:TH_ATOMIC_RETURN scope:SCOPE_SYS
	s_wait_loadcnt 0x0
	v_cmp_ne_u64_e32 vcc_lo, v[14:15], v[20:21]
	s_and_b32 exec_lo, exec_lo, vcc_lo
	s_cbranch_execz .LBB0_2
; %bb.83:                               ;   in Loop: Header=BB0_3 Depth=1
	s_mov_b32 s4, 0
.LBB0_84:                               ;   Parent Loop BB0_3 Depth=1
                                        ; =>  This Inner Loop Header: Depth=2
	v_dual_mov_b32 v12, s0 :: v_dual_mov_b32 v13, s1
	s_sleep 1
	global_store_b64 v[16:17], v[14:15], off
	global_wb scope:SCOPE_SYS
	s_wait_storecnt 0x0
	s_wait_xcnt 0x0
	global_atomic_cmpswap_b64 v[12:13], v7, v[12:15], s[2:3] offset:24 th:TH_ATOMIC_RETURN scope:SCOPE_SYS
	s_wait_loadcnt 0x0
	v_cmp_eq_u64_e32 vcc_lo, v[12:13], v[14:15]
	v_mov_b64_e32 v[14:15], v[12:13]
	s_or_b32 s4, vcc_lo, s4
	s_delay_alu instid0(SALU_CYCLE_1)
	s_and_not1_b32 exec_lo, exec_lo, s4
	s_cbranch_execnz .LBB0_84
	s_branch .LBB0_2
.LBB0_85:
	s_or_b32 exec_lo, exec_lo, s7
	s_branch .LBB0_114
.LBB0_86:
	s_load_b64 s[2:3], s[8:9], 0x50
	v_readfirstlane_b32 s0, v30
	v_mov_b64_e32 v[8:9], 0
	s_delay_alu instid0(VALU_DEP_2)
	v_cmp_eq_u32_e64 s0, s0, v30
	s_and_saveexec_b32 s1, s0
	s_cbranch_execz .LBB0_92
; %bb.87:
	v_mov_b32_e32 v0, 0
	s_mov_b32 s4, exec_lo
	s_wait_kmcnt 0x0
	global_load_b64 v[6:7], v0, s[2:3] offset:24 scope:SCOPE_SYS
	s_wait_loadcnt 0x0
	global_inv scope:SCOPE_SYS
	s_clause 0x1
	global_load_b64 v[4:5], v0, s[2:3] offset:40
	global_load_b64 v[8:9], v0, s[2:3]
	s_wait_loadcnt 0x1
	v_and_b32_e32 v4, v4, v6
	v_and_b32_e32 v5, v5, v7
	s_delay_alu instid0(VALU_DEP_1) | instskip(SKIP_1) | instid1(VALU_DEP_1)
	v_mul_u64_e32 v[4:5], 24, v[4:5]
	s_wait_loadcnt 0x0
	v_add_nc_u64_e32 v[4:5], v[8:9], v[4:5]
	global_load_b64 v[4:5], v[4:5], off scope:SCOPE_SYS
	s_wait_xcnt 0x0
	s_wait_loadcnt 0x0
	global_atomic_cmpswap_b64 v[8:9], v0, v[4:7], s[2:3] offset:24 th:TH_ATOMIC_RETURN scope:SCOPE_SYS
	s_wait_loadcnt 0x0
	global_inv scope:SCOPE_SYS
	s_wait_xcnt 0x0
	v_cmpx_ne_u64_e64 v[8:9], v[6:7]
	s_cbranch_execz .LBB0_91
; %bb.88:
	s_mov_b32 s5, 0
.LBB0_89:                               ; =>This Inner Loop Header: Depth=1
	s_sleep 1
	s_clause 0x1
	global_load_b64 v[4:5], v0, s[2:3] offset:40
	global_load_b64 v[10:11], v0, s[2:3]
	v_mov_b64_e32 v[6:7], v[8:9]
	s_wait_loadcnt 0x1
	s_delay_alu instid0(VALU_DEP_1) | instskip(SKIP_1) | instid1(VALU_DEP_1)
	v_and_b32_e32 v2, v4, v6
	s_wait_loadcnt 0x0
	v_mad_nc_u64_u32 v[8:9], v2, 24, v[10:11]
	s_delay_alu instid0(VALU_DEP_3) | instskip(NEXT) | instid1(VALU_DEP_1)
	v_and_b32_e32 v2, v5, v7
	v_mad_u32 v9, v2, 24, v9
	global_load_b64 v[4:5], v[8:9], off scope:SCOPE_SYS
	s_wait_xcnt 0x0
	s_wait_loadcnt 0x0
	global_atomic_cmpswap_b64 v[8:9], v0, v[4:7], s[2:3] offset:24 th:TH_ATOMIC_RETURN scope:SCOPE_SYS
	s_wait_loadcnt 0x0
	global_inv scope:SCOPE_SYS
	v_cmp_eq_u64_e32 vcc_lo, v[8:9], v[6:7]
	s_or_b32 s5, vcc_lo, s5
	s_wait_xcnt 0x0
	s_and_not1_b32 exec_lo, exec_lo, s5
	s_cbranch_execnz .LBB0_89
; %bb.90:
	s_or_b32 exec_lo, exec_lo, s5
.LBB0_91:
	s_delay_alu instid0(SALU_CYCLE_1)
	s_or_b32 exec_lo, exec_lo, s4
.LBB0_92:
	s_delay_alu instid0(SALU_CYCLE_1)
	s_or_b32 exec_lo, exec_lo, s1
	v_readfirstlane_b32 s4, v8
	v_mov_b32_e32 v2, 0
	v_readfirstlane_b32 s5, v9
	s_mov_b32 s1, exec_lo
	s_wait_loadcnt 0x0
	s_wait_kmcnt 0x0
	s_clause 0x1
	global_load_b64 v[10:11], v2, s[2:3] offset:40
	global_load_b128 v[4:7], v2, s[2:3]
	s_wait_loadcnt 0x1
	v_and_b32_e32 v10, s4, v10
	v_and_b32_e32 v11, s5, v11
	s_delay_alu instid0(VALU_DEP_1) | instskip(SKIP_1) | instid1(VALU_DEP_1)
	v_mul_u64_e32 v[8:9], 24, v[10:11]
	s_wait_loadcnt 0x0
	v_add_nc_u64_e32 v[8:9], v[4:5], v[8:9]
	s_wait_xcnt 0x0
	s_and_saveexec_b32 s6, s0
	s_cbranch_execz .LBB0_94
; %bb.93:
	v_mov_b64_e32 v[14:15], 0x100000002
	v_dual_mov_b32 v12, s1 :: v_dual_mov_b32 v13, v2
	global_store_b128 v[8:9], v[12:15], off offset:8
.LBB0_94:
	s_wait_xcnt 0x0
	s_or_b32 exec_lo, exec_lo, s6
	v_lshlrev_b64_e32 v[10:11], 12, v[10:11]
	s_mov_b32 s8, 0
	v_and_or_b32 v0, 0xffffff1f, v3, 32
	s_mov_b32 s10, s8
	s_mov_b32 s11, s8
	;; [unrolled: 1-line block ×3, first 2 shown]
	v_dual_mov_b32 v3, v2 :: v_dual_lshlrev_b32 v14, 6, v30
	v_add_nc_u64_e32 v[6:7], v[6:7], v[10:11]
	v_mov_b64_e32 v[12:13], s[10:11]
	v_mov_b64_e32 v[10:11], s[8:9]
	s_delay_alu instid0(VALU_DEP_3) | instskip(NEXT) | instid1(VALU_DEP_4)
	v_readfirstlane_b32 s6, v6
	v_readfirstlane_b32 s7, v7
	s_clause 0x3
	global_store_b128 v14, v[0:3], s[6:7]
	global_store_b128 v14, v[10:13], s[6:7] offset:16
	global_store_b128 v14, v[10:13], s[6:7] offset:32
	;; [unrolled: 1-line block ×3, first 2 shown]
	s_wait_xcnt 0x0
	s_and_saveexec_b32 s1, s0
	s_cbranch_execz .LBB0_102
; %bb.95:
	v_dual_mov_b32 v6, 0 :: v_dual_mov_b32 v11, s5
	s_mov_b32 s6, exec_lo
	s_clause 0x1
	global_load_b64 v[12:13], v6, s[2:3] offset:32 scope:SCOPE_SYS
	global_load_b64 v[0:1], v6, s[2:3] offset:40
	s_wait_loadcnt 0x0
	v_dual_mov_b32 v10, s4 :: v_dual_bitop2_b32 v1, s5, v1 bitop3:0x40
	v_and_b32_e32 v0, s4, v0
	s_delay_alu instid0(VALU_DEP_1) | instskip(NEXT) | instid1(VALU_DEP_1)
	v_mul_u64_e32 v[0:1], 24, v[0:1]
	v_add_nc_u64_e32 v[4:5], v[4:5], v[0:1]
	global_store_b64 v[4:5], v[12:13], off
	global_wb scope:SCOPE_SYS
	s_wait_storecnt 0x0
	s_wait_xcnt 0x0
	global_atomic_cmpswap_b64 v[2:3], v6, v[10:13], s[2:3] offset:32 th:TH_ATOMIC_RETURN scope:SCOPE_SYS
	s_wait_loadcnt 0x0
	v_cmpx_ne_u64_e64 v[2:3], v[12:13]
	s_cbranch_execz .LBB0_98
; %bb.96:
	s_mov_b32 s7, 0
.LBB0_97:                               ; =>This Inner Loop Header: Depth=1
	v_dual_mov_b32 v0, s4 :: v_dual_mov_b32 v1, s5
	s_sleep 1
	global_store_b64 v[4:5], v[2:3], off
	global_wb scope:SCOPE_SYS
	s_wait_storecnt 0x0
	s_wait_xcnt 0x0
	global_atomic_cmpswap_b64 v[0:1], v6, v[0:3], s[2:3] offset:32 th:TH_ATOMIC_RETURN scope:SCOPE_SYS
	s_wait_loadcnt 0x0
	v_cmp_eq_u64_e32 vcc_lo, v[0:1], v[2:3]
	v_mov_b64_e32 v[2:3], v[0:1]
	s_or_b32 s7, vcc_lo, s7
	s_delay_alu instid0(SALU_CYCLE_1)
	s_and_not1_b32 exec_lo, exec_lo, s7
	s_cbranch_execnz .LBB0_97
.LBB0_98:
	s_or_b32 exec_lo, exec_lo, s6
	v_mov_b32_e32 v3, 0
	s_mov_b32 s7, exec_lo
	s_mov_b32 s6, exec_lo
	v_mbcnt_lo_u32_b32 v2, s7, 0
	global_load_b64 v[0:1], v3, s[2:3] offset:16
	s_wait_xcnt 0x0
	v_cmpx_eq_u32_e32 0, v2
	s_cbranch_execz .LBB0_100
; %bb.99:
	s_bcnt1_i32_b32 s7, s7
	s_delay_alu instid0(SALU_CYCLE_1)
	v_mov_b32_e32 v2, s7
	global_wb scope:SCOPE_SYS
	s_wait_loadcnt 0x0
	s_wait_storecnt 0x0
	global_atomic_add_u64 v[0:1], v[2:3], off offset:8 scope:SCOPE_SYS
.LBB0_100:
	s_wait_xcnt 0x0
	s_or_b32 exec_lo, exec_lo, s6
	s_wait_loadcnt 0x0
	global_load_b64 v[2:3], v[0:1], off offset:16
	s_wait_loadcnt 0x0
	v_cmp_eq_u64_e32 vcc_lo, 0, v[2:3]
	s_cbranch_vccnz .LBB0_102
; %bb.101:
	global_load_b32 v0, v[0:1], off offset:24
	s_wait_xcnt 0x0
	v_mov_b32_e32 v1, 0
	s_wait_loadcnt 0x0
	v_readfirstlane_b32 s6, v0
	global_wb scope:SCOPE_SYS
	s_wait_storecnt 0x0
	global_store_b64 v[2:3], v[0:1], off scope:SCOPE_SYS
	s_and_b32 m0, s6, 0xffffff
	s_sendmsg sendmsg(MSG_INTERRUPT)
.LBB0_102:
	s_wait_xcnt 0x0
	s_or_b32 exec_lo, exec_lo, s1
	s_branch .LBB0_106
.LBB0_103:                              ;   in Loop: Header=BB0_106 Depth=1
	s_wait_xcnt 0x0
	s_or_b32 exec_lo, exec_lo, s1
	s_delay_alu instid0(VALU_DEP_1)
	v_readfirstlane_b32 s1, v0
	s_cmp_eq_u32 s1, 0
	s_cbranch_scc1 .LBB0_105
; %bb.104:                              ;   in Loop: Header=BB0_106 Depth=1
	s_sleep 1
	s_cbranch_execnz .LBB0_106
	s_branch .LBB0_108
.LBB0_105:
	s_branch .LBB0_108
.LBB0_106:                              ; =>This Inner Loop Header: Depth=1
	v_mov_b32_e32 v0, 1
	s_and_saveexec_b32 s1, s0
	s_cbranch_execz .LBB0_103
; %bb.107:                              ;   in Loop: Header=BB0_106 Depth=1
	global_load_b32 v0, v[8:9], off offset:20 scope:SCOPE_SYS
	s_wait_loadcnt 0x0
	global_inv scope:SCOPE_SYS
	v_and_b32_e32 v0, 1, v0
	s_branch .LBB0_103
.LBB0_108:
	s_and_saveexec_b32 s6, s0
	s_cbranch_execz .LBB0_112
; %bb.109:
	v_mov_b32_e32 v6, 0
	s_clause 0x2
	global_load_b64 v[0:1], v6, s[2:3] offset:40
	global_load_b64 v[10:11], v6, s[2:3] offset:24 scope:SCOPE_SYS
	global_load_b64 v[2:3], v6, s[2:3]
	s_wait_loadcnt 0x2
	v_readfirstlane_b32 s8, v0
	v_readfirstlane_b32 s9, v1
	s_add_nc_u64 s[0:1], s[8:9], 1
	s_delay_alu instid0(SALU_CYCLE_1) | instskip(NEXT) | instid1(SALU_CYCLE_1)
	s_add_nc_u64 s[4:5], s[0:1], s[4:5]
	s_cmp_eq_u64 s[4:5], 0
	s_cselect_b32 s1, s1, s5
	s_cselect_b32 s0, s0, s4
	v_mov_b32_e32 v9, s1
	s_and_b64 s[4:5], s[0:1], s[8:9]
	v_mov_b32_e32 v8, s0
	s_mul_u64 s[4:5], s[4:5], 24
	s_wait_loadcnt 0x0
	v_add_nc_u64_e32 v[4:5], s[4:5], v[2:3]
	global_store_b64 v[4:5], v[10:11], off
	global_wb scope:SCOPE_SYS
	s_wait_storecnt 0x0
	s_wait_xcnt 0x0
	global_atomic_cmpswap_b64 v[2:3], v6, v[8:11], s[2:3] offset:24 th:TH_ATOMIC_RETURN scope:SCOPE_SYS
	s_wait_loadcnt 0x0
	v_cmp_ne_u64_e32 vcc_lo, v[2:3], v[10:11]
	s_and_b32 exec_lo, exec_lo, vcc_lo
	s_cbranch_execz .LBB0_112
; %bb.110:
	s_mov_b32 s4, 0
.LBB0_111:                              ; =>This Inner Loop Header: Depth=1
	v_dual_mov_b32 v0, s0 :: v_dual_mov_b32 v1, s1
	s_sleep 1
	global_store_b64 v[4:5], v[2:3], off
	global_wb scope:SCOPE_SYS
	s_wait_storecnt 0x0
	s_wait_xcnt 0x0
	global_atomic_cmpswap_b64 v[0:1], v6, v[0:3], s[2:3] offset:24 th:TH_ATOMIC_RETURN scope:SCOPE_SYS
	s_wait_loadcnt 0x0
	v_cmp_eq_u64_e32 vcc_lo, v[0:1], v[2:3]
	v_mov_b64_e32 v[2:3], v[0:1]
	s_or_b32 s4, vcc_lo, s4
	s_delay_alu instid0(SALU_CYCLE_1)
	s_and_not1_b32 exec_lo, exec_lo, s4
	s_cbranch_execnz .LBB0_111
.LBB0_112:
	s_or_b32 exec_lo, exec_lo, s6
	s_wait_loadcnt 0x0
	s_wait_kmcnt 0x0
	s_set_pc_i64 s[30:31]
.LBB0_113:
	s_cbranch_execnz .LBB0_86
.LBB0_114:
	s_wait_loadcnt 0x0
	s_wait_kmcnt 0x0
	s_set_pc_i64 s[30:31]
.Lfunc_end0:
	.size	__ockl_fprintf_append_string_n, .Lfunc_end0-__ockl_fprintf_append_string_n
                                        ; -- End function
	.set .L__ockl_fprintf_append_string_n.num_vgpr, 40
	.set .L__ockl_fprintf_append_string_n.num_agpr, 0
	.set .L__ockl_fprintf_append_string_n.numbered_sgpr, 32
	.set .L__ockl_fprintf_append_string_n.num_named_barrier, 0
	.set .L__ockl_fprintf_append_string_n.private_seg_size, 0
	.set .L__ockl_fprintf_append_string_n.uses_vcc, 1
	.set .L__ockl_fprintf_append_string_n.uses_flat_scratch, 0
	.set .L__ockl_fprintf_append_string_n.has_dyn_sized_stack, 0
	.set .L__ockl_fprintf_append_string_n.has_recursion, 0
	.set .L__ockl_fprintf_append_string_n.has_indirect_call, 0
	.section	.AMDGPU.csdata,"",@progbits
; Function info:
; codeLenInByte = 4324
; TotalNumSgprs: 34
; NumVgprs: 40
; ScratchSize: 0
; MemoryBound: 0
	.text
	.p2align	2                               ; -- Begin function __assert_fail
	.type	__assert_fail,@function
__assert_fail:                          ; @__assert_fail
; %bb.0:
	s_wait_loadcnt_dscnt 0x0
	s_wait_kmcnt 0x0
	s_mov_b32 s20, s33
	s_mov_b32 s33, s32
	s_or_saveexec_b32 s0, -1
	scratch_store_b32 off, v40, s33 offset:48 ; 4-byte Folded Spill
	s_wait_xcnt 0x0
	s_mov_b32 exec_lo, s0
	v_writelane_b32 v40, s30, 0
	s_add_co_i32 s32, s32, 64
	v_writelane_b32 v40, s31, 1
	v_mov_b32_e32 v8, 0
	s_get_pc_i64 s[0:1]
	s_add_nc_u64 s[0:1], s[0:1], __const.__assert_fail.fmt@rel64+35
	v_dual_mov_b32 v5, v1 :: v_dual_mov_b32 v4, v0
	s_get_pc_i64 s[10:11]
	s_add_nc_u64 s[10:11], s[10:11], __const.__assert_fail.fmt@rel64+20
	global_load_b128 v[0:3], v8, s[0:1]
	s_wait_xcnt 0x0
	s_get_pc_i64 s[0:1]
	s_add_nc_u64 s[0:1], s[0:1], __const.__assert_fail.fmt@rel64+4
	s_clause 0x1
	s_load_b128 s[4:7], s[0:1], 0x0
	s_load_b128 s[12:15], s[10:11], 0x0
	s_load_b64 s[2:3], s[8:9], 0x50
	v_mbcnt_lo_u32_b32 v48, -1, 0
	v_mov_b64_e32 v[6:7], 0
	s_wait_xcnt 0x0
	s_delay_alu instid0(VALU_DEP_2) | instskip(NEXT) | instid1(VALU_DEP_1)
	v_readfirstlane_b32 s0, v48
	v_cmp_eq_u32_e64 s0, s0, v48
	s_wait_kmcnt 0x0
	v_mov_b64_e32 v[12:13], s[6:7]
	v_mov_b64_e32 v[10:11], s[4:5]
	;; [unrolled: 1-line block ×4, first 2 shown]
	s_clause 0x1
	scratch_store_b128 off, v[10:13], s33
	scratch_store_b128 off, v[14:17], s33 offset:16
	s_wait_loadcnt 0x0
	scratch_store_b128 off, v[0:3], s33 offset:31
	s_wait_xcnt 0x0
	s_and_saveexec_b32 s1, s0
	s_cbranch_execz .LBB1_6
; %bb.1:
	global_load_b64 v[2:3], v8, s[2:3] offset:24 scope:SCOPE_SYS
	s_wait_loadcnt 0x0
	global_inv scope:SCOPE_SYS
	s_clause 0x1
	global_load_b64 v[0:1], v8, s[2:3] offset:40
	global_load_b64 v[6:7], v8, s[2:3]
	s_mov_b32 s4, exec_lo
	s_wait_loadcnt 0x1
	v_and_b32_e32 v0, v0, v2
	v_and_b32_e32 v1, v1, v3
	s_delay_alu instid0(VALU_DEP_1) | instskip(SKIP_1) | instid1(VALU_DEP_1)
	v_mul_u64_e32 v[0:1], 24, v[0:1]
	s_wait_loadcnt 0x0
	v_add_nc_u64_e32 v[0:1], v[6:7], v[0:1]
	global_load_b64 v[0:1], v[0:1], off scope:SCOPE_SYS
	s_wait_xcnt 0x0
	s_wait_loadcnt 0x0
	global_atomic_cmpswap_b64 v[6:7], v8, v[0:3], s[2:3] offset:24 th:TH_ATOMIC_RETURN scope:SCOPE_SYS
	s_wait_loadcnt 0x0
	global_inv scope:SCOPE_SYS
	s_wait_xcnt 0x0
	v_cmpx_ne_u64_e64 v[6:7], v[2:3]
	s_cbranch_execz .LBB1_5
; %bb.2:
	v_mov_b32_e32 v0, 0
	s_mov_b32 s5, 0
.LBB1_3:                                ; =>This Inner Loop Header: Depth=1
	s_sleep 1
	s_clause 0x1
	global_load_b64 v[2:3], v0, s[2:3] offset:40
	global_load_b64 v[10:11], v0, s[2:3]
	v_mov_b64_e32 v[12:13], v[6:7]
	s_wait_loadcnt 0x1
	s_delay_alu instid0(VALU_DEP_1) | instskip(SKIP_1) | instid1(VALU_DEP_1)
	v_and_b32_e32 v1, v2, v12
	s_wait_loadcnt 0x0
	v_mad_nc_u64_u32 v[6:7], v1, 24, v[10:11]
	s_delay_alu instid0(VALU_DEP_3) | instskip(NEXT) | instid1(VALU_DEP_1)
	v_and_b32_e32 v1, v3, v13
	v_mad_u32 v7, v1, 24, v7
	global_load_b64 v[10:11], v[6:7], off scope:SCOPE_SYS
	s_wait_xcnt 0x0
	s_wait_loadcnt 0x0
	global_atomic_cmpswap_b64 v[6:7], v0, v[10:13], s[2:3] offset:24 th:TH_ATOMIC_RETURN scope:SCOPE_SYS
	s_wait_loadcnt 0x0
	global_inv scope:SCOPE_SYS
	v_cmp_eq_u64_e32 vcc_lo, v[6:7], v[12:13]
	s_or_b32 s5, vcc_lo, s5
	s_wait_xcnt 0x0
	s_and_not1_b32 exec_lo, exec_lo, s5
	s_cbranch_execnz .LBB1_3
; %bb.4:
	s_or_b32 exec_lo, exec_lo, s5
.LBB1_5:
	s_delay_alu instid0(SALU_CYCLE_1)
	s_or_b32 exec_lo, exec_lo, s4
.LBB1_6:
	s_delay_alu instid0(SALU_CYCLE_1)
	s_or_b32 exec_lo, exec_lo, s1
	s_clause 0x1
	global_load_b64 v[10:11], v8, s[2:3] offset:40
	global_load_b128 v[0:3], v8, s[2:3]
	v_readfirstlane_b32 s4, v6
	v_readfirstlane_b32 s5, v7
	s_mov_b32 s1, exec_lo
	s_wait_loadcnt 0x1
	s_wait_xcnt 0x0
	v_and_b32_e32 v8, s4, v10
	v_and_b32_e32 v9, s5, v11
	s_delay_alu instid0(VALU_DEP_1) | instskip(SKIP_1) | instid1(VALU_DEP_1)
	v_mul_u64_e32 v[6:7], 24, v[8:9]
	s_wait_loadcnt 0x0
	v_add_nc_u64_e32 v[6:7], v[0:1], v[6:7]
	s_and_saveexec_b32 s6, s0
	s_cbranch_execz .LBB1_8
; %bb.7:
	v_mov_b64_e32 v[12:13], 0x100000002
	v_dual_mov_b32 v10, s1 :: v_dual_mov_b32 v11, 0
	global_store_b128 v[6:7], v[10:13], off offset:8
.LBB1_8:
	s_wait_xcnt 0x0
	s_or_b32 exec_lo, exec_lo, s6
	v_lshlrev_b64_e32 v[8:9], 12, v[8:9]
	s_mov_b32 s12, 0
	v_dual_mov_b32 v31, 0 :: v_dual_lshlrev_b32 v30, 6, v48
	s_mov_b32 s14, s12
	s_mov_b32 s15, s12
	;; [unrolled: 1-line block ×3, first 2 shown]
	s_delay_alu instid0(VALU_DEP_2)
	v_add_nc_u64_e32 v[8:9], v[2:3], v[8:9]
	v_mov_b64_e32 v[16:17], s[14:15]
	v_mov_b64_e32 v[14:15], s[12:13]
	v_dual_mov_b32 v10, 33 :: v_dual_mov_b32 v12, 1
	v_dual_mov_b32 v11, v31 :: v_dual_mov_b32 v13, v31
	v_readfirstlane_b32 s6, v8
	v_readfirstlane_b32 s7, v9
	s_clause 0x3
	global_store_b128 v30, v[10:13], s[6:7]
	global_store_b128 v30, v[14:17], s[6:7] offset:16
	global_store_b128 v30, v[14:17], s[6:7] offset:32
	;; [unrolled: 1-line block ×3, first 2 shown]
	s_wait_xcnt 0x0
	s_and_saveexec_b32 s1, s0
	s_cbranch_execz .LBB1_16
; %bb.9:
	s_clause 0x1
	global_load_b64 v[14:15], v31, s[2:3] offset:32 scope:SCOPE_SYS
	global_load_b64 v[2:3], v31, s[2:3] offset:40
	s_mov_b32 s6, exec_lo
	v_dual_mov_b32 v12, s4 :: v_dual_mov_b32 v13, s5
	s_wait_loadcnt 0x0
	v_and_b32_e32 v3, s5, v3
	v_and_b32_e32 v2, s4, v2
	s_delay_alu instid0(VALU_DEP_1) | instskip(NEXT) | instid1(VALU_DEP_1)
	v_mul_u64_e32 v[2:3], 24, v[2:3]
	v_add_nc_u64_e32 v[10:11], v[0:1], v[2:3]
	global_store_b64 v[10:11], v[14:15], off
	global_wb scope:SCOPE_SYS
	s_wait_storecnt 0x0
	s_wait_xcnt 0x0
	global_atomic_cmpswap_b64 v[2:3], v31, v[12:15], s[2:3] offset:32 th:TH_ATOMIC_RETURN scope:SCOPE_SYS
	s_wait_loadcnt 0x0
	v_cmpx_ne_u64_e64 v[2:3], v[14:15]
	s_cbranch_execz .LBB1_12
; %bb.10:
	v_mov_b32_e32 v12, 0
	s_mov_b32 s7, 0
.LBB1_11:                               ; =>This Inner Loop Header: Depth=1
	v_dual_mov_b32 v0, s4 :: v_dual_mov_b32 v1, s5
	s_sleep 1
	global_store_b64 v[10:11], v[2:3], off
	global_wb scope:SCOPE_SYS
	s_wait_storecnt 0x0
	s_wait_xcnt 0x0
	global_atomic_cmpswap_b64 v[0:1], v12, v[0:3], s[2:3] offset:32 th:TH_ATOMIC_RETURN scope:SCOPE_SYS
	s_wait_loadcnt 0x0
	v_cmp_eq_u64_e32 vcc_lo, v[0:1], v[2:3]
	v_mov_b64_e32 v[2:3], v[0:1]
	s_or_b32 s7, vcc_lo, s7
	s_delay_alu instid0(SALU_CYCLE_1)
	s_and_not1_b32 exec_lo, exec_lo, s7
	s_cbranch_execnz .LBB1_11
.LBB1_12:
	s_or_b32 exec_lo, exec_lo, s6
	v_mov_b32_e32 v3, 0
	s_mov_b32 s7, exec_lo
	s_mov_b32 s6, exec_lo
	v_mbcnt_lo_u32_b32 v2, s7, 0
	global_load_b64 v[0:1], v3, s[2:3] offset:16
	s_wait_xcnt 0x0
	v_cmpx_eq_u32_e32 0, v2
	s_cbranch_execz .LBB1_14
; %bb.13:
	s_bcnt1_i32_b32 s7, s7
	s_delay_alu instid0(SALU_CYCLE_1)
	v_mov_b32_e32 v2, s7
	global_wb scope:SCOPE_SYS
	s_wait_loadcnt 0x0
	s_wait_storecnt 0x0
	global_atomic_add_u64 v[0:1], v[2:3], off offset:8 scope:SCOPE_SYS
.LBB1_14:
	s_wait_xcnt 0x0
	s_or_b32 exec_lo, exec_lo, s6
	s_wait_loadcnt 0x0
	global_load_b64 v[2:3], v[0:1], off offset:16
	s_wait_loadcnt 0x0
	v_cmp_eq_u64_e32 vcc_lo, 0, v[2:3]
	s_cbranch_vccnz .LBB1_16
; %bb.15:
	global_load_b32 v0, v[0:1], off offset:24
	s_wait_xcnt 0x0
	v_mov_b32_e32 v1, 0
	s_wait_loadcnt 0x0
	v_readfirstlane_b32 s6, v0
	global_wb scope:SCOPE_SYS
	s_wait_storecnt 0x0
	global_store_b64 v[2:3], v[0:1], off scope:SCOPE_SYS
	s_and_b32 m0, s6, 0xffffff
	s_sendmsg sendmsg(MSG_INTERRUPT)
.LBB1_16:
	s_wait_xcnt 0x0
	s_or_b32 exec_lo, exec_lo, s1
	v_add_nc_u64_e32 v[0:1], v[8:9], v[30:31]
	s_branch .LBB1_20
.LBB1_17:                               ;   in Loop: Header=BB1_20 Depth=1
	s_wait_xcnt 0x0
	s_or_b32 exec_lo, exec_lo, s1
	s_delay_alu instid0(VALU_DEP_1)
	v_readfirstlane_b32 s1, v2
	s_cmp_eq_u32 s1, 0
	s_cbranch_scc1 .LBB1_19
; %bb.18:                               ;   in Loop: Header=BB1_20 Depth=1
	s_sleep 1
	s_cbranch_execnz .LBB1_20
	s_branch .LBB1_22
.LBB1_19:
	s_branch .LBB1_22
.LBB1_20:                               ; =>This Inner Loop Header: Depth=1
	v_mov_b32_e32 v2, 1
	s_and_saveexec_b32 s1, s0
	s_cbranch_execz .LBB1_17
; %bb.21:                               ;   in Loop: Header=BB1_20 Depth=1
	global_load_b32 v2, v[6:7], off offset:20 scope:SCOPE_SYS
	s_wait_loadcnt 0x0
	global_inv scope:SCOPE_SYS
	v_and_b32_e32 v2, 1, v2
	s_branch .LBB1_17
.LBB1_22:
	global_load_b64 v[6:7], v[0:1], off
	s_wait_xcnt 0x0
	s_and_saveexec_b32 s6, s0
	s_cbranch_execz .LBB1_26
; %bb.23:
	v_mov_b32_e32 v10, 0
	s_clause 0x2
	global_load_b64 v[0:1], v10, s[2:3] offset:40
	global_load_b64 v[14:15], v10, s[2:3] offset:24 scope:SCOPE_SYS
	global_load_b64 v[2:3], v10, s[2:3]
	s_wait_loadcnt 0x2
	v_readfirstlane_b32 s10, v0
	v_readfirstlane_b32 s11, v1
	s_add_nc_u64 s[0:1], s[10:11], 1
	s_delay_alu instid0(SALU_CYCLE_1) | instskip(NEXT) | instid1(SALU_CYCLE_1)
	s_add_nc_u64 s[4:5], s[0:1], s[4:5]
	s_cmp_eq_u64 s[4:5], 0
	s_cselect_b32 s1, s1, s5
	s_cselect_b32 s0, s0, s4
	v_mov_b32_e32 v13, s1
	s_and_b64 s[4:5], s[0:1], s[10:11]
	v_mov_b32_e32 v12, s0
	s_mul_u64 s[4:5], s[4:5], 24
	s_wait_loadcnt 0x0
	v_add_nc_u64_e32 v[8:9], s[4:5], v[2:3]
	global_store_b64 v[8:9], v[14:15], off
	global_wb scope:SCOPE_SYS
	s_wait_storecnt 0x0
	s_wait_xcnt 0x0
	global_atomic_cmpswap_b64 v[2:3], v10, v[12:15], s[2:3] offset:24 th:TH_ATOMIC_RETURN scope:SCOPE_SYS
	s_wait_loadcnt 0x0
	v_cmp_ne_u64_e32 vcc_lo, v[2:3], v[14:15]
	s_and_b32 exec_lo, exec_lo, vcc_lo
	s_cbranch_execz .LBB1_26
; %bb.24:
	s_mov_b32 s4, 0
.LBB1_25:                               ; =>This Inner Loop Header: Depth=1
	v_dual_mov_b32 v0, s0 :: v_dual_mov_b32 v1, s1
	s_sleep 1
	global_store_b64 v[8:9], v[2:3], off
	global_wb scope:SCOPE_SYS
	s_wait_storecnt 0x0
	s_wait_xcnt 0x0
	global_atomic_cmpswap_b64 v[0:1], v10, v[0:3], s[2:3] offset:24 th:TH_ATOMIC_RETURN scope:SCOPE_SYS
	s_wait_loadcnt 0x0
	v_cmp_eq_u64_e32 vcc_lo, v[0:1], v[2:3]
	v_mov_b64_e32 v[2:3], v[0:1]
	s_or_b32 s4, vcc_lo, s4
	s_delay_alu instid0(SALU_CYCLE_1)
	s_and_not1_b32 exec_lo, exec_lo, s4
	s_cbranch_execnz .LBB1_25
.LBB1_26:
	s_or_b32 exec_lo, exec_lo, s6
	s_mov_b32 s1, s33
	s_mov_b32 s0, 0
.LBB1_27:                               ; =>This Inner Loop Header: Depth=1
	scratch_load_u8 v0, off, s1
	s_wait_xcnt 0x0
	s_add_co_i32 s1, s1, 1
	s_wait_loadcnt 0x0
	v_cmp_eq_u16_e32 vcc_lo, 0, v0
	v_mov_b32_e32 v0, s1
	s_or_b32 s0, vcc_lo, s0
	s_delay_alu instid0(SALU_CYCLE_1)
	s_and_not1_b32 exec_lo, exec_lo, s0
	s_cbranch_execnz .LBB1_27
; %bb.28:
	s_or_b32 exec_lo, exec_lo, s0
	s_cmp_lg_u32 s33, -1
	s_cbranch_scc0 .LBB1_113
; %bb.29:
	s_mov_b64 s[0:1], src_flat_scratch_base_lo
	v_mov_b64_e32 v[10:11], 0x100000002
	v_dual_add_nc_u32 v0, s0, v0 :: v_dual_bitop2_b32 v28, 2, v6 bitop3:0x40
	s_add_co_i32 s0, s33, s0
	v_dual_mov_b32 v31, 0 :: v_dual_mov_b32 v29, s33
	s_delay_alu instid0(VALU_DEP_2) | instskip(SKIP_3) | instid1(VALU_DEP_2)
	v_subrev_nc_u32_e32 v32, s0, v0
	v_dual_mov_b32 v1, v7 :: v_dual_bitop2_b32 v0, -3, v6 bitop3:0x40
	s_mov_b32 s7, 0
	s_mov_b32 s6, 0
	v_ashrrev_i32_e32 v33, 31, v32
	s_branch .LBB1_31
.LBB1_30:                               ;   in Loop: Header=BB1_31 Depth=1
	s_or_b32 exec_lo, exec_lo, s10
	v_sub_nc_u64_e32 v[32:33], v[32:33], v[34:35]
	v_add_nc_u32_e32 v29, v29, v34
	s_delay_alu instid0(VALU_DEP_2) | instskip(SKIP_1) | instid1(SALU_CYCLE_1)
	v_cmp_eq_u64_e32 vcc_lo, 0, v[32:33]
	s_or_b32 s6, vcc_lo, s6
	s_and_not1_b32 exec_lo, exec_lo, s6
	s_cbranch_execz .LBB1_192
.LBB1_31:                               ; =>This Loop Header: Depth=1
                                        ;     Child Loop BB1_34 Depth 2
                                        ;     Child Loop BB1_42 Depth 2
	;; [unrolled: 1-line block ×11, first 2 shown]
	s_delay_alu instid0(VALU_DEP_1)
	v_min_u64 v[34:35], v[32:33], 56
	v_add_nc_u32_e32 v9, 8, v29
	s_mov_b32 s0, exec_lo
	v_cmpx_gt_u64_e32 8, v[32:33]
	s_xor_b32 s4, exec_lo, s0
	s_cbranch_execz .LBB1_37
; %bb.32:                               ;   in Loop: Header=BB1_31 Depth=1
	v_mov_b64_e32 v[2:3], 0
	s_mov_b32 s5, exec_lo
	v_cmpx_ne_u64_e32 0, v[32:33]
	s_cbranch_execz .LBB1_36
; %bb.33:                               ;   in Loop: Header=BB1_31 Depth=1
	v_mov_b64_e32 v[2:3], 0
	v_dual_mov_b32 v9, v29 :: v_dual_lshlrev_b32 v8, 3, v34
	s_mov_b64 s[0:1], 0
	s_mov_b32 s10, 0
.LBB1_34:                               ;   Parent Loop BB1_31 Depth=1
                                        ; =>  This Inner Loop Header: Depth=2
	scratch_load_u8 v12, v9, off
	s_wait_xcnt 0x0
	v_dual_mov_b32 v13, s7 :: v_dual_add_nc_u32 v9, 1, v9
	s_wait_loadcnt 0x0
	v_and_b32_e32 v12, 0xffff, v12
	s_delay_alu instid0(VALU_DEP_1) | instskip(SKIP_1) | instid1(SALU_CYCLE_1)
	v_lshlrev_b64_e32 v[12:13], s0, v[12:13]
	s_add_nc_u64 s[0:1], s[0:1], 8
	v_cmp_eq_u32_e32 vcc_lo, s0, v8
	s_delay_alu instid0(VALU_DEP_2) | instskip(NEXT) | instid1(VALU_DEP_3)
	v_or_b32_e32 v3, v13, v3
	v_or_b32_e32 v2, v12, v2
	s_or_b32 s10, vcc_lo, s10
	s_delay_alu instid0(SALU_CYCLE_1)
	s_and_not1_b32 exec_lo, exec_lo, s10
	s_cbranch_execnz .LBB1_34
; %bb.35:                               ;   in Loop: Header=BB1_31 Depth=1
	s_or_b32 exec_lo, exec_lo, s10
.LBB1_36:                               ;   in Loop: Header=BB1_31 Depth=1
	s_delay_alu instid0(SALU_CYCLE_1)
	s_or_b32 exec_lo, exec_lo, s5
	v_mov_b32_e32 v9, v29
.LBB1_37:                               ;   in Loop: Header=BB1_31 Depth=1
	s_or_saveexec_b32 s0, s4
	v_mov_b32_e32 v14, 0
	s_xor_b32 exec_lo, exec_lo, s0
	s_cbranch_execz .LBB1_39
; %bb.38:                               ;   in Loop: Header=BB1_31 Depth=1
	scratch_load_b64 v[2:3], v29, off
	v_add_nc_u32_e32 v14, -8, v34
.LBB1_39:                               ;   in Loop: Header=BB1_31 Depth=1
	s_wait_xcnt 0x0
	s_or_b32 exec_lo, exec_lo, s0
	v_add_nc_u32_e32 v8, 8, v9
                                        ; implicit-def: $vgpr12_vgpr13
	s_mov_b32 s0, exec_lo
	v_cmpx_gt_u32_e32 8, v14
	s_xor_b32 s4, exec_lo, s0
	s_cbranch_execz .LBB1_45
; %bb.40:                               ;   in Loop: Header=BB1_31 Depth=1
	v_mov_b64_e32 v[12:13], 0
	s_mov_b32 s5, exec_lo
	v_cmpx_ne_u32_e32 0, v14
	s_cbranch_execz .LBB1_44
; %bb.41:                               ;   in Loop: Header=BB1_31 Depth=1
	v_mov_b64_e32 v[12:13], 0
	s_mov_b64 s[0:1], 0
	s_mov_b32 s10, 0
	s_mov_b32 s11, 0
.LBB1_42:                               ;   Parent Loop BB1_31 Depth=1
                                        ; =>  This Inner Loop Header: Depth=2
	scratch_load_u8 v8, v9, s11
	v_mov_b32_e32 v17, s7
	s_wait_xcnt 0x0
	s_add_co_i32 s11, s11, 1
	s_delay_alu instid0(SALU_CYCLE_1) | instskip(SKIP_3) | instid1(VALU_DEP_1)
	v_cmp_eq_u32_e32 vcc_lo, s11, v14
	s_or_b32 s10, vcc_lo, s10
	s_wait_loadcnt 0x0
	v_and_b32_e32 v16, 0xffff, v8
	v_lshlrev_b64_e32 v[16:17], s0, v[16:17]
	s_add_nc_u64 s[0:1], s[0:1], 8
	s_delay_alu instid0(VALU_DEP_1) | instskip(NEXT) | instid1(VALU_DEP_2)
	v_or_b32_e32 v13, v17, v13
	v_or_b32_e32 v12, v16, v12
	s_and_not1_b32 exec_lo, exec_lo, s10
	s_cbranch_execnz .LBB1_42
; %bb.43:                               ;   in Loop: Header=BB1_31 Depth=1
	s_or_b32 exec_lo, exec_lo, s10
.LBB1_44:                               ;   in Loop: Header=BB1_31 Depth=1
	s_delay_alu instid0(SALU_CYCLE_1)
	s_or_b32 exec_lo, exec_lo, s5
	v_mov_b32_e32 v8, v9
                                        ; implicit-def: $vgpr14
.LBB1_45:                               ;   in Loop: Header=BB1_31 Depth=1
	s_or_saveexec_b32 s0, s4
	v_mov_b32_e32 v16, 0
	s_xor_b32 exec_lo, exec_lo, s0
	s_cbranch_execz .LBB1_47
; %bb.46:                               ;   in Loop: Header=BB1_31 Depth=1
	scratch_load_b64 v[12:13], v9, off
	v_add_nc_u32_e32 v16, -8, v14
.LBB1_47:                               ;   in Loop: Header=BB1_31 Depth=1
	s_wait_xcnt 0x0
	s_or_b32 exec_lo, exec_lo, s0
	v_add_nc_u32_e32 v9, 8, v8
	s_mov_b32 s0, exec_lo
	v_cmpx_gt_u32_e32 8, v16
	s_xor_b32 s4, exec_lo, s0
	s_cbranch_execz .LBB1_53
; %bb.48:                               ;   in Loop: Header=BB1_31 Depth=1
	v_mov_b64_e32 v[14:15], 0
	s_mov_b32 s5, exec_lo
	v_cmpx_ne_u32_e32 0, v16
	s_cbranch_execz .LBB1_52
; %bb.49:                               ;   in Loop: Header=BB1_31 Depth=1
	v_mov_b64_e32 v[14:15], 0
	s_mov_b64 s[0:1], 0
	s_mov_b32 s10, 0
	s_mov_b32 s11, 0
.LBB1_50:                               ;   Parent Loop BB1_31 Depth=1
                                        ; =>  This Inner Loop Header: Depth=2
	scratch_load_u8 v9, v8, s11
	v_mov_b32_e32 v19, s7
	s_wait_xcnt 0x0
	s_add_co_i32 s11, s11, 1
	s_delay_alu instid0(SALU_CYCLE_1) | instskip(SKIP_3) | instid1(VALU_DEP_1)
	v_cmp_eq_u32_e32 vcc_lo, s11, v16
	s_or_b32 s10, vcc_lo, s10
	s_wait_loadcnt 0x0
	v_and_b32_e32 v18, 0xffff, v9
	v_lshlrev_b64_e32 v[18:19], s0, v[18:19]
	s_add_nc_u64 s[0:1], s[0:1], 8
	s_delay_alu instid0(VALU_DEP_1) | instskip(NEXT) | instid1(VALU_DEP_2)
	v_or_b32_e32 v15, v19, v15
	v_or_b32_e32 v14, v18, v14
	s_and_not1_b32 exec_lo, exec_lo, s10
	s_cbranch_execnz .LBB1_50
; %bb.51:                               ;   in Loop: Header=BB1_31 Depth=1
	s_or_b32 exec_lo, exec_lo, s10
.LBB1_52:                               ;   in Loop: Header=BB1_31 Depth=1
	s_delay_alu instid0(SALU_CYCLE_1)
	s_or_b32 exec_lo, exec_lo, s5
	v_mov_b32_e32 v9, v8
                                        ; implicit-def: $vgpr16
.LBB1_53:                               ;   in Loop: Header=BB1_31 Depth=1
	s_or_saveexec_b32 s0, s4
	v_mov_b32_e32 v18, 0
	s_xor_b32 exec_lo, exec_lo, s0
	s_cbranch_execz .LBB1_55
; %bb.54:                               ;   in Loop: Header=BB1_31 Depth=1
	scratch_load_b64 v[14:15], v8, off
	v_add_nc_u32_e32 v18, -8, v16
.LBB1_55:                               ;   in Loop: Header=BB1_31 Depth=1
	s_wait_xcnt 0x0
	s_or_b32 exec_lo, exec_lo, s0
	v_add_nc_u32_e32 v8, 8, v9
                                        ; implicit-def: $vgpr16_vgpr17
	s_mov_b32 s0, exec_lo
	v_cmpx_gt_u32_e32 8, v18
	s_xor_b32 s4, exec_lo, s0
	s_cbranch_execz .LBB1_61
; %bb.56:                               ;   in Loop: Header=BB1_31 Depth=1
	v_mov_b64_e32 v[16:17], 0
	s_mov_b32 s5, exec_lo
	v_cmpx_ne_u32_e32 0, v18
	s_cbranch_execz .LBB1_60
; %bb.57:                               ;   in Loop: Header=BB1_31 Depth=1
	v_mov_b64_e32 v[16:17], 0
	s_mov_b64 s[0:1], 0
	s_mov_b32 s10, 0
	s_mov_b32 s11, 0
.LBB1_58:                               ;   Parent Loop BB1_31 Depth=1
                                        ; =>  This Inner Loop Header: Depth=2
	scratch_load_u8 v8, v9, s11
	v_mov_b32_e32 v21, s7
	s_wait_xcnt 0x0
	s_add_co_i32 s11, s11, 1
	s_delay_alu instid0(SALU_CYCLE_1) | instskip(SKIP_3) | instid1(VALU_DEP_1)
	v_cmp_eq_u32_e32 vcc_lo, s11, v18
	s_or_b32 s10, vcc_lo, s10
	s_wait_loadcnt 0x0
	v_and_b32_e32 v20, 0xffff, v8
	v_lshlrev_b64_e32 v[20:21], s0, v[20:21]
	s_add_nc_u64 s[0:1], s[0:1], 8
	s_delay_alu instid0(VALU_DEP_1) | instskip(NEXT) | instid1(VALU_DEP_2)
	v_or_b32_e32 v17, v21, v17
	v_or_b32_e32 v16, v20, v16
	s_and_not1_b32 exec_lo, exec_lo, s10
	s_cbranch_execnz .LBB1_58
; %bb.59:                               ;   in Loop: Header=BB1_31 Depth=1
	s_or_b32 exec_lo, exec_lo, s10
.LBB1_60:                               ;   in Loop: Header=BB1_31 Depth=1
	s_delay_alu instid0(SALU_CYCLE_1)
	s_or_b32 exec_lo, exec_lo, s5
	v_mov_b32_e32 v8, v9
                                        ; implicit-def: $vgpr18
.LBB1_61:                               ;   in Loop: Header=BB1_31 Depth=1
	s_or_saveexec_b32 s0, s4
	v_mov_b32_e32 v20, 0
	s_xor_b32 exec_lo, exec_lo, s0
	s_cbranch_execz .LBB1_63
; %bb.62:                               ;   in Loop: Header=BB1_31 Depth=1
	scratch_load_b64 v[16:17], v9, off
	v_add_nc_u32_e32 v20, -8, v18
.LBB1_63:                               ;   in Loop: Header=BB1_31 Depth=1
	s_wait_xcnt 0x0
	s_or_b32 exec_lo, exec_lo, s0
	v_add_nc_u32_e32 v9, 8, v8
	s_mov_b32 s0, exec_lo
	v_cmpx_gt_u32_e32 8, v20
	s_xor_b32 s4, exec_lo, s0
	s_cbranch_execz .LBB1_69
; %bb.64:                               ;   in Loop: Header=BB1_31 Depth=1
	v_mov_b64_e32 v[18:19], 0
	s_mov_b32 s5, exec_lo
	v_cmpx_ne_u32_e32 0, v20
	s_cbranch_execz .LBB1_68
; %bb.65:                               ;   in Loop: Header=BB1_31 Depth=1
	v_mov_b64_e32 v[18:19], 0
	s_mov_b64 s[0:1], 0
	s_mov_b32 s10, 0
	s_mov_b32 s11, 0
.LBB1_66:                               ;   Parent Loop BB1_31 Depth=1
                                        ; =>  This Inner Loop Header: Depth=2
	scratch_load_u8 v9, v8, s11
	v_mov_b32_e32 v23, s7
	s_wait_xcnt 0x0
	s_add_co_i32 s11, s11, 1
	s_delay_alu instid0(SALU_CYCLE_1) | instskip(SKIP_3) | instid1(VALU_DEP_1)
	v_cmp_eq_u32_e32 vcc_lo, s11, v20
	s_or_b32 s10, vcc_lo, s10
	s_wait_loadcnt 0x0
	v_and_b32_e32 v22, 0xffff, v9
	v_lshlrev_b64_e32 v[22:23], s0, v[22:23]
	s_add_nc_u64 s[0:1], s[0:1], 8
	s_delay_alu instid0(VALU_DEP_1) | instskip(NEXT) | instid1(VALU_DEP_2)
	v_or_b32_e32 v19, v23, v19
	v_or_b32_e32 v18, v22, v18
	s_and_not1_b32 exec_lo, exec_lo, s10
	s_cbranch_execnz .LBB1_66
; %bb.67:                               ;   in Loop: Header=BB1_31 Depth=1
	s_or_b32 exec_lo, exec_lo, s10
.LBB1_68:                               ;   in Loop: Header=BB1_31 Depth=1
	s_delay_alu instid0(SALU_CYCLE_1)
	s_or_b32 exec_lo, exec_lo, s5
	v_mov_b32_e32 v9, v8
                                        ; implicit-def: $vgpr20
.LBB1_69:                               ;   in Loop: Header=BB1_31 Depth=1
	s_or_saveexec_b32 s0, s4
	v_mov_b32_e32 v22, 0
	s_xor_b32 exec_lo, exec_lo, s0
	s_cbranch_execz .LBB1_71
; %bb.70:                               ;   in Loop: Header=BB1_31 Depth=1
	scratch_load_b64 v[18:19], v8, off
	v_add_nc_u32_e32 v22, -8, v20
.LBB1_71:                               ;   in Loop: Header=BB1_31 Depth=1
	s_wait_xcnt 0x0
	s_or_b32 exec_lo, exec_lo, s0
	v_add_nc_u32_e32 v8, 8, v9
                                        ; implicit-def: $vgpr20_vgpr21
	s_mov_b32 s0, exec_lo
	v_cmpx_gt_u32_e32 8, v22
	s_xor_b32 s4, exec_lo, s0
	s_cbranch_execz .LBB1_77
; %bb.72:                               ;   in Loop: Header=BB1_31 Depth=1
	v_mov_b64_e32 v[20:21], 0
	s_mov_b32 s5, exec_lo
	v_cmpx_ne_u32_e32 0, v22
	s_cbranch_execz .LBB1_76
; %bb.73:                               ;   in Loop: Header=BB1_31 Depth=1
	v_mov_b64_e32 v[20:21], 0
	s_mov_b64 s[0:1], 0
	s_mov_b32 s10, 0
	s_mov_b32 s11, 0
.LBB1_74:                               ;   Parent Loop BB1_31 Depth=1
                                        ; =>  This Inner Loop Header: Depth=2
	scratch_load_u8 v8, v9, s11
	v_mov_b32_e32 v25, s7
	s_wait_xcnt 0x0
	s_add_co_i32 s11, s11, 1
	s_delay_alu instid0(SALU_CYCLE_1) | instskip(SKIP_3) | instid1(VALU_DEP_1)
	v_cmp_eq_u32_e32 vcc_lo, s11, v22
	s_or_b32 s10, vcc_lo, s10
	s_wait_loadcnt 0x0
	v_and_b32_e32 v24, 0xffff, v8
	v_lshlrev_b64_e32 v[24:25], s0, v[24:25]
	s_add_nc_u64 s[0:1], s[0:1], 8
	s_delay_alu instid0(VALU_DEP_1) | instskip(NEXT) | instid1(VALU_DEP_2)
	v_or_b32_e32 v21, v25, v21
	v_or_b32_e32 v20, v24, v20
	s_and_not1_b32 exec_lo, exec_lo, s10
	s_cbranch_execnz .LBB1_74
; %bb.75:                               ;   in Loop: Header=BB1_31 Depth=1
	s_or_b32 exec_lo, exec_lo, s10
.LBB1_76:                               ;   in Loop: Header=BB1_31 Depth=1
	s_delay_alu instid0(SALU_CYCLE_1)
	s_or_b32 exec_lo, exec_lo, s5
	v_mov_b32_e32 v8, v9
                                        ; implicit-def: $vgpr22
.LBB1_77:                               ;   in Loop: Header=BB1_31 Depth=1
	s_or_saveexec_b32 s0, s4
	v_mov_b32_e32 v24, 0
	s_xor_b32 exec_lo, exec_lo, s0
	s_cbranch_execz .LBB1_79
; %bb.78:                               ;   in Loop: Header=BB1_31 Depth=1
	scratch_load_b64 v[20:21], v9, off
	v_add_nc_u32_e32 v24, -8, v22
.LBB1_79:                               ;   in Loop: Header=BB1_31 Depth=1
	s_wait_xcnt 0x0
	s_or_b32 exec_lo, exec_lo, s0
	s_delay_alu instid0(SALU_CYCLE_1) | instskip(NEXT) | instid1(VALU_DEP_1)
	s_mov_b32 s0, exec_lo
	v_cmpx_gt_u32_e32 8, v24
	s_xor_b32 s4, exec_lo, s0
	s_cbranch_execz .LBB1_85
; %bb.80:                               ;   in Loop: Header=BB1_31 Depth=1
	v_mov_b64_e32 v[22:23], 0
	s_mov_b32 s5, exec_lo
	v_cmpx_ne_u32_e32 0, v24
	s_cbranch_execz .LBB1_84
; %bb.81:                               ;   in Loop: Header=BB1_31 Depth=1
	v_mov_b64_e32 v[22:23], 0
	s_mov_b64 s[0:1], 0
	s_mov_b32 s10, 0
.LBB1_82:                               ;   Parent Loop BB1_31 Depth=1
                                        ; =>  This Inner Loop Header: Depth=2
	scratch_load_u8 v9, v8, off
	v_dual_mov_b32 v27, s7 :: v_dual_add_nc_u32 v24, -1, v24
	s_delay_alu instid0(VALU_DEP_1) | instskip(SKIP_3) | instid1(VALU_DEP_1)
	v_cmp_eq_u32_e32 vcc_lo, 0, v24
	s_or_b32 s10, vcc_lo, s10
	s_wait_loadcnt 0x0
	v_and_b32_e32 v26, 0xffff, v9
	v_lshlrev_b64_e32 v[26:27], s0, v[26:27]
	s_wait_xcnt 0x0
	v_add_nc_u32_e32 v8, 1, v8
	s_add_nc_u64 s[0:1], s[0:1], 8
	s_delay_alu instid0(VALU_DEP_2) | instskip(NEXT) | instid1(VALU_DEP_3)
	v_or_b32_e32 v23, v27, v23
	v_or_b32_e32 v22, v26, v22
	s_and_not1_b32 exec_lo, exec_lo, s10
	s_cbranch_execnz .LBB1_82
; %bb.83:                               ;   in Loop: Header=BB1_31 Depth=1
	s_or_b32 exec_lo, exec_lo, s10
.LBB1_84:                               ;   in Loop: Header=BB1_31 Depth=1
	s_delay_alu instid0(SALU_CYCLE_1)
	s_or_b32 exec_lo, exec_lo, s5
                                        ; implicit-def: $vgpr8
.LBB1_85:                               ;   in Loop: Header=BB1_31 Depth=1
	s_and_not1_saveexec_b32 s0, s4
	s_cbranch_execz .LBB1_87
; %bb.86:                               ;   in Loop: Header=BB1_31 Depth=1
	scratch_load_b64 v[22:23], v8, off
.LBB1_87:                               ;   in Loop: Header=BB1_31 Depth=1
	s_wait_xcnt 0x0
	s_or_b32 exec_lo, exec_lo, s0
	v_readfirstlane_b32 s0, v48
	v_mov_b64_e32 v[8:9], 0
	s_delay_alu instid0(VALU_DEP_2)
	v_cmp_eq_u32_e64 s0, s0, v48
	s_and_saveexec_b32 s1, s0
	s_cbranch_execz .LBB1_93
; %bb.88:                               ;   in Loop: Header=BB1_31 Depth=1
	global_load_b64 v[26:27], v31, s[2:3] offset:24 scope:SCOPE_SYS
	s_wait_loadcnt 0x0
	global_inv scope:SCOPE_SYS
	s_clause 0x1
	global_load_b64 v[8:9], v31, s[2:3] offset:40
	global_load_b64 v[24:25], v31, s[2:3]
	s_mov_b32 s4, exec_lo
	s_wait_loadcnt 0x1
	v_and_b32_e32 v8, v8, v26
	v_and_b32_e32 v9, v9, v27
	s_delay_alu instid0(VALU_DEP_1) | instskip(SKIP_1) | instid1(VALU_DEP_1)
	v_mul_u64_e32 v[8:9], 24, v[8:9]
	s_wait_loadcnt 0x0
	v_add_nc_u64_e32 v[8:9], v[24:25], v[8:9]
	global_load_b64 v[24:25], v[8:9], off scope:SCOPE_SYS
	s_wait_xcnt 0x0
	s_wait_loadcnt 0x0
	global_atomic_cmpswap_b64 v[8:9], v31, v[24:27], s[2:3] offset:24 th:TH_ATOMIC_RETURN scope:SCOPE_SYS
	s_wait_loadcnt 0x0
	global_inv scope:SCOPE_SYS
	s_wait_xcnt 0x0
	v_cmpx_ne_u64_e64 v[8:9], v[26:27]
	s_cbranch_execz .LBB1_92
; %bb.89:                               ;   in Loop: Header=BB1_31 Depth=1
	s_mov_b32 s5, 0
.LBB1_90:                               ;   Parent Loop BB1_31 Depth=1
                                        ; =>  This Inner Loop Header: Depth=2
	s_sleep 1
	s_clause 0x1
	global_load_b64 v[24:25], v31, s[2:3] offset:40
	global_load_b64 v[36:37], v31, s[2:3]
	v_mov_b64_e32 v[26:27], v[8:9]
	s_wait_loadcnt 0x1
	s_delay_alu instid0(VALU_DEP_1) | instskip(NEXT) | instid1(VALU_DEP_2)
	v_and_b32_e32 v8, v24, v26
	v_and_b32_e32 v24, v25, v27
	s_wait_loadcnt 0x0
	s_delay_alu instid0(VALU_DEP_2) | instskip(NEXT) | instid1(VALU_DEP_1)
	v_mad_nc_u64_u32 v[8:9], v8, 24, v[36:37]
	v_mad_u32 v9, v24, 24, v9
	global_load_b64 v[24:25], v[8:9], off scope:SCOPE_SYS
	s_wait_xcnt 0x0
	s_wait_loadcnt 0x0
	global_atomic_cmpswap_b64 v[8:9], v31, v[24:27], s[2:3] offset:24 th:TH_ATOMIC_RETURN scope:SCOPE_SYS
	s_wait_loadcnt 0x0
	global_inv scope:SCOPE_SYS
	v_cmp_eq_u64_e32 vcc_lo, v[8:9], v[26:27]
	s_or_b32 s5, vcc_lo, s5
	s_wait_xcnt 0x0
	s_and_not1_b32 exec_lo, exec_lo, s5
	s_cbranch_execnz .LBB1_90
; %bb.91:                               ;   in Loop: Header=BB1_31 Depth=1
	s_or_b32 exec_lo, exec_lo, s5
.LBB1_92:                               ;   in Loop: Header=BB1_31 Depth=1
	s_delay_alu instid0(SALU_CYCLE_1)
	s_or_b32 exec_lo, exec_lo, s4
.LBB1_93:                               ;   in Loop: Header=BB1_31 Depth=1
	s_delay_alu instid0(SALU_CYCLE_1)
	s_or_b32 exec_lo, exec_lo, s1
	s_clause 0x1
	global_load_b64 v[36:37], v31, s[2:3] offset:40
	global_load_b128 v[24:27], v31, s[2:3]
	v_readfirstlane_b32 s4, v8
	v_readfirstlane_b32 s5, v9
	s_mov_b32 s1, exec_lo
	s_wait_loadcnt 0x1
	v_and_b32_e32 v38, s4, v36
	v_and_b32_e32 v39, s5, v37
	s_delay_alu instid0(VALU_DEP_1) | instskip(SKIP_1) | instid1(VALU_DEP_1)
	v_mul_u64_e32 v[8:9], 24, v[38:39]
	s_wait_loadcnt 0x0
	v_add_nc_u64_e32 v[36:37], v[24:25], v[8:9]
	s_wait_xcnt 0x0
	s_and_saveexec_b32 s10, s0
	s_cbranch_execz .LBB1_95
; %bb.94:                               ;   in Loop: Header=BB1_31 Depth=1
	v_dual_mov_b32 v8, s1 :: v_dual_mov_b32 v9, v31
	global_store_b128 v[36:37], v[8:11], off offset:8
.LBB1_95:                               ;   in Loop: Header=BB1_31 Depth=1
	s_wait_xcnt 0x0
	s_or_b32 exec_lo, exec_lo, s10
	v_cmp_gt_u64_e32 vcc_lo, 57, v[32:33]
	v_lshlrev_b64_e32 v[8:9], 12, v[38:39]
	v_and_b32_e32 v0, 0xffffff1f, v0
	v_lshl_add_u32 v39, v34, 2, 28
	v_cndmask_b32_e32 v38, 0, v28, vcc_lo
	s_delay_alu instid0(VALU_DEP_4) | instskip(NEXT) | instid1(VALU_DEP_2)
	v_add_nc_u64_e32 v[8:9], v[26:27], v[8:9]
	v_or_b32_e32 v0, v0, v38
	s_delay_alu instid0(VALU_DEP_2) | instskip(NEXT) | instid1(VALU_DEP_3)
	v_readfirstlane_b32 s10, v8
	v_readfirstlane_b32 s11, v9
	s_delay_alu instid0(VALU_DEP_3)
	v_and_or_b32 v0, 0x1e0, v39, v0
	s_clause 0x3
	global_store_b128 v30, v[0:3], s[10:11]
	global_store_b128 v30, v[12:15], s[10:11] offset:16
	global_store_b128 v30, v[16:19], s[10:11] offset:32
	;; [unrolled: 1-line block ×3, first 2 shown]
	s_wait_xcnt 0x0
	s_and_saveexec_b32 s1, s0
	s_cbranch_execz .LBB1_103
; %bb.96:                               ;   in Loop: Header=BB1_31 Depth=1
	s_clause 0x1
	global_load_b64 v[16:17], v31, s[2:3] offset:32 scope:SCOPE_SYS
	global_load_b64 v[0:1], v31, s[2:3] offset:40
	s_mov_b32 s10, exec_lo
	v_dual_mov_b32 v14, s4 :: v_dual_mov_b32 v15, s5
	s_wait_loadcnt 0x0
	v_and_b32_e32 v1, s5, v1
	v_and_b32_e32 v0, s4, v0
	s_delay_alu instid0(VALU_DEP_1) | instskip(NEXT) | instid1(VALU_DEP_1)
	v_mul_u64_e32 v[0:1], 24, v[0:1]
	v_add_nc_u64_e32 v[12:13], v[24:25], v[0:1]
	global_store_b64 v[12:13], v[16:17], off
	global_wb scope:SCOPE_SYS
	s_wait_storecnt 0x0
	s_wait_xcnt 0x0
	global_atomic_cmpswap_b64 v[2:3], v31, v[14:17], s[2:3] offset:32 th:TH_ATOMIC_RETURN scope:SCOPE_SYS
	s_wait_loadcnt 0x0
	v_cmpx_ne_u64_e64 v[2:3], v[16:17]
	s_cbranch_execz .LBB1_99
; %bb.97:                               ;   in Loop: Header=BB1_31 Depth=1
	s_mov_b32 s11, 0
.LBB1_98:                               ;   Parent Loop BB1_31 Depth=1
                                        ; =>  This Inner Loop Header: Depth=2
	v_dual_mov_b32 v0, s4 :: v_dual_mov_b32 v1, s5
	s_sleep 1
	global_store_b64 v[12:13], v[2:3], off
	global_wb scope:SCOPE_SYS
	s_wait_storecnt 0x0
	s_wait_xcnt 0x0
	global_atomic_cmpswap_b64 v[0:1], v31, v[0:3], s[2:3] offset:32 th:TH_ATOMIC_RETURN scope:SCOPE_SYS
	s_wait_loadcnt 0x0
	v_cmp_eq_u64_e32 vcc_lo, v[0:1], v[2:3]
	v_mov_b64_e32 v[2:3], v[0:1]
	s_or_b32 s11, vcc_lo, s11
	s_delay_alu instid0(SALU_CYCLE_1)
	s_and_not1_b32 exec_lo, exec_lo, s11
	s_cbranch_execnz .LBB1_98
.LBB1_99:                               ;   in Loop: Header=BB1_31 Depth=1
	s_or_b32 exec_lo, exec_lo, s10
	global_load_b64 v[0:1], v31, s[2:3] offset:16
	s_mov_b32 s11, exec_lo
	s_mov_b32 s10, exec_lo
	v_mbcnt_lo_u32_b32 v2, s11, 0
	s_wait_xcnt 0x0
	s_delay_alu instid0(VALU_DEP_1)
	v_cmpx_eq_u32_e32 0, v2
	s_cbranch_execz .LBB1_101
; %bb.100:                              ;   in Loop: Header=BB1_31 Depth=1
	s_bcnt1_i32_b32 s11, s11
	s_delay_alu instid0(SALU_CYCLE_1)
	v_dual_mov_b32 v3, v31 :: v_dual_mov_b32 v2, s11
	global_wb scope:SCOPE_SYS
	s_wait_loadcnt 0x0
	s_wait_storecnt 0x0
	global_atomic_add_u64 v[0:1], v[2:3], off offset:8 scope:SCOPE_SYS
.LBB1_101:                              ;   in Loop: Header=BB1_31 Depth=1
	s_wait_xcnt 0x0
	s_or_b32 exec_lo, exec_lo, s10
	s_wait_loadcnt 0x0
	global_load_b64 v[2:3], v[0:1], off offset:16
	s_wait_loadcnt 0x0
	v_cmp_eq_u64_e32 vcc_lo, 0, v[2:3]
	s_cbranch_vccnz .LBB1_103
; %bb.102:                              ;   in Loop: Header=BB1_31 Depth=1
	global_load_b32 v0, v[0:1], off offset:24
	s_wait_xcnt 0x0
	v_mov_b32_e32 v1, v31
	s_wait_loadcnt 0x0
	v_readfirstlane_b32 s10, v0
	global_wb scope:SCOPE_SYS
	s_wait_storecnt 0x0
	global_store_b64 v[2:3], v[0:1], off scope:SCOPE_SYS
	s_and_b32 m0, s10, 0xffffff
	s_sendmsg sendmsg(MSG_INTERRUPT)
.LBB1_103:                              ;   in Loop: Header=BB1_31 Depth=1
	s_wait_xcnt 0x0
	s_or_b32 exec_lo, exec_lo, s1
	v_add_nc_u64_e32 v[0:1], v[8:9], v[30:31]
	s_branch .LBB1_107
.LBB1_104:                              ;   in Loop: Header=BB1_107 Depth=2
	s_wait_xcnt 0x0
	s_or_b32 exec_lo, exec_lo, s1
	s_delay_alu instid0(VALU_DEP_1)
	v_readfirstlane_b32 s1, v2
	s_cmp_eq_u32 s1, 0
	s_cbranch_scc1 .LBB1_106
; %bb.105:                              ;   in Loop: Header=BB1_107 Depth=2
	s_sleep 1
	s_cbranch_execnz .LBB1_107
	s_branch .LBB1_109
.LBB1_106:                              ;   in Loop: Header=BB1_31 Depth=1
	s_branch .LBB1_109
.LBB1_107:                              ;   Parent Loop BB1_31 Depth=1
                                        ; =>  This Inner Loop Header: Depth=2
	v_mov_b32_e32 v2, 1
	s_and_saveexec_b32 s1, s0
	s_cbranch_execz .LBB1_104
; %bb.108:                              ;   in Loop: Header=BB1_107 Depth=2
	global_load_b32 v2, v[36:37], off offset:20 scope:SCOPE_SYS
	s_wait_loadcnt 0x0
	global_inv scope:SCOPE_SYS
	v_and_b32_e32 v2, 1, v2
	s_branch .LBB1_104
.LBB1_109:                              ;   in Loop: Header=BB1_31 Depth=1
	global_load_b64 v[0:1], v[0:1], off
	s_wait_xcnt 0x0
	s_and_saveexec_b32 s10, s0
	s_cbranch_execz .LBB1_30
; %bb.110:                              ;   in Loop: Header=BB1_31 Depth=1
	s_clause 0x2
	global_load_b64 v[2:3], v31, s[2:3] offset:40
	global_load_b64 v[16:17], v31, s[2:3] offset:24 scope:SCOPE_SYS
	global_load_b64 v[8:9], v31, s[2:3]
	s_wait_loadcnt 0x2
	v_readfirstlane_b32 s12, v2
	v_readfirstlane_b32 s13, v3
	s_add_nc_u64 s[0:1], s[12:13], 1
	s_delay_alu instid0(SALU_CYCLE_1) | instskip(NEXT) | instid1(SALU_CYCLE_1)
	s_add_nc_u64 s[4:5], s[0:1], s[4:5]
	s_cmp_eq_u64 s[4:5], 0
	s_cselect_b32 s1, s1, s5
	s_cselect_b32 s0, s0, s4
	s_delay_alu instid0(SALU_CYCLE_1) | instskip(SKIP_1) | instid1(SALU_CYCLE_1)
	v_dual_mov_b32 v15, s1 :: v_dual_mov_b32 v14, s0
	s_and_b64 s[4:5], s[0:1], s[12:13]
	s_mul_u64 s[4:5], s[4:5], 24
	s_wait_loadcnt 0x0
	v_add_nc_u64_e32 v[2:3], s[4:5], v[8:9]
	global_store_b64 v[2:3], v[16:17], off
	global_wb scope:SCOPE_SYS
	s_wait_storecnt 0x0
	s_wait_xcnt 0x0
	global_atomic_cmpswap_b64 v[14:15], v31, v[14:17], s[2:3] offset:24 th:TH_ATOMIC_RETURN scope:SCOPE_SYS
	s_wait_loadcnt 0x0
	v_cmp_ne_u64_e32 vcc_lo, v[14:15], v[16:17]
	s_and_b32 exec_lo, exec_lo, vcc_lo
	s_cbranch_execz .LBB1_30
; %bb.111:                              ;   in Loop: Header=BB1_31 Depth=1
	s_mov_b32 s4, 0
.LBB1_112:                              ;   Parent Loop BB1_31 Depth=1
                                        ; =>  This Inner Loop Header: Depth=2
	v_dual_mov_b32 v12, s0 :: v_dual_mov_b32 v13, s1
	s_sleep 1
	global_store_b64 v[2:3], v[14:15], off
	global_wb scope:SCOPE_SYS
	s_wait_storecnt 0x0
	s_wait_xcnt 0x0
	global_atomic_cmpswap_b64 v[8:9], v31, v[12:15], s[2:3] offset:24 th:TH_ATOMIC_RETURN scope:SCOPE_SYS
	s_wait_loadcnt 0x0
	v_cmp_eq_u64_e32 vcc_lo, v[8:9], v[14:15]
	v_mov_b64_e32 v[14:15], v[8:9]
	s_or_b32 s4, vcc_lo, s4
	s_delay_alu instid0(SALU_CYCLE_1)
	s_and_not1_b32 exec_lo, exec_lo, s4
	s_cbranch_execnz .LBB1_112
	s_branch .LBB1_30
.LBB1_113:
                                        ; implicit-def: $vgpr0_vgpr1
	s_cbranch_execnz .LBB1_193
.LBB1_114:
	s_get_pc_i64 s[4:5]
	s_add_nc_u64 s[4:5], s[4:5], .str.4@rel64+4
	s_delay_alu instid0(SALU_CYCLE_1)
	s_cmp_lg_u64 s[4:5], 0
	s_cbranch_scc0 .LBB1_221
.LBB1_115:
	v_mov_b64_e32 v[12:13], 0x100000002
	s_get_pc_i64 s[0:1]
	s_add_nc_u64 s[0:1], s[0:1], .str.4@rel64+80
	s_wait_loadcnt 0x0
	v_dual_mov_b32 v11, 0 :: v_dual_bitop2_b32 v2, 2, v0 bitop3:0x40
	v_dual_mov_b32 v7, v1 :: v_dual_bitop2_b32 v6, -3, v0 bitop3:0x40
	s_sub_co_i32 s6, s0, s4
	s_delay_alu instid0(SALU_CYCLE_1)
	s_ashr_i32 s7, s6, 31
	s_branch .LBB1_117
.LBB1_116:                              ;   in Loop: Header=BB1_117 Depth=1
	s_or_b32 exec_lo, exec_lo, s14
	s_sub_nc_u64 s[6:7], s[6:7], s[10:11]
	s_add_nc_u64 s[4:5], s[4:5], s[10:11]
	s_cmp_lg_u64 s[6:7], 0
	s_cbranch_scc0 .LBB1_215
.LBB1_117:                              ; =>This Loop Header: Depth=1
                                        ;     Child Loop BB1_120 Depth 2
                                        ;     Child Loop BB1_127 Depth 2
	;; [unrolled: 1-line block ×11, first 2 shown]
	v_min_u64 v[8:9], s[6:7], 56
	v_cmp_gt_u64_e64 s0, s[6:7], 7
	s_and_b32 vcc_lo, exec_lo, s0
	v_readfirstlane_b32 s10, v8
	v_readfirstlane_b32 s11, v9
	s_cbranch_vccnz .LBB1_122
; %bb.118:                              ;   in Loop: Header=BB1_117 Depth=1
	v_mov_b64_e32 v[8:9], 0
	s_cmp_eq_u64 s[6:7], 0
	s_cbranch_scc1 .LBB1_121
; %bb.119:                              ;   in Loop: Header=BB1_117 Depth=1
	s_mov_b64 s[0:1], 0
	s_mov_b64 s[12:13], 0
.LBB1_120:                              ;   Parent Loop BB1_117 Depth=1
                                        ; =>  This Inner Loop Header: Depth=2
	s_wait_xcnt 0x0
	s_add_nc_u64 s[14:15], s[4:5], s[12:13]
	s_add_nc_u64 s[12:13], s[12:13], 1
	global_load_u8 v3, v11, s[14:15]
	s_cmp_lg_u32 s10, s12
	s_wait_loadcnt 0x0
	v_and_b32_e32 v10, 0xffff, v3
	s_delay_alu instid0(VALU_DEP_1) | instskip(SKIP_1) | instid1(VALU_DEP_1)
	v_lshlrev_b64_e32 v[14:15], s0, v[10:11]
	s_add_nc_u64 s[0:1], s[0:1], 8
	v_or_b32_e32 v8, v14, v8
	s_delay_alu instid0(VALU_DEP_2)
	v_or_b32_e32 v9, v15, v9
	s_cbranch_scc1 .LBB1_120
.LBB1_121:                              ;   in Loop: Header=BB1_117 Depth=1
	s_mov_b64 s[12:13], s[4:5]
	s_mov_b32 s16, 0
	s_cbranch_execz .LBB1_123
	s_branch .LBB1_124
.LBB1_122:                              ;   in Loop: Header=BB1_117 Depth=1
	s_add_nc_u64 s[12:13], s[4:5], 8
	s_mov_b32 s16, 0
.LBB1_123:                              ;   in Loop: Header=BB1_117 Depth=1
	global_load_b64 v[8:9], v11, s[4:5]
	s_add_co_i32 s16, s10, -8
.LBB1_124:                              ;   in Loop: Header=BB1_117 Depth=1
	s_delay_alu instid0(SALU_CYCLE_1)
	s_cmp_gt_u32 s16, 7
	s_cbranch_scc1 .LBB1_129
; %bb.125:                              ;   in Loop: Header=BB1_117 Depth=1
	v_mov_b64_e32 v[14:15], 0
	s_cmp_eq_u32 s16, 0
	s_cbranch_scc1 .LBB1_128
; %bb.126:                              ;   in Loop: Header=BB1_117 Depth=1
	s_mov_b64 s[0:1], 0
	s_wait_xcnt 0x0
	s_mov_b64 s[14:15], 0
.LBB1_127:                              ;   Parent Loop BB1_117 Depth=1
                                        ; =>  This Inner Loop Header: Depth=2
	s_wait_xcnt 0x0
	s_add_nc_u64 s[18:19], s[12:13], s[14:15]
	s_add_nc_u64 s[14:15], s[14:15], 1
	global_load_u8 v3, v11, s[18:19]
	s_cmp_lg_u32 s16, s14
	s_wait_loadcnt 0x0
	v_and_b32_e32 v10, 0xffff, v3
	s_delay_alu instid0(VALU_DEP_1) | instskip(SKIP_1) | instid1(VALU_DEP_1)
	v_lshlrev_b64_e32 v[16:17], s0, v[10:11]
	s_add_nc_u64 s[0:1], s[0:1], 8
	v_or_b32_e32 v14, v16, v14
	s_delay_alu instid0(VALU_DEP_2)
	v_or_b32_e32 v15, v17, v15
	s_cbranch_scc1 .LBB1_127
.LBB1_128:                              ;   in Loop: Header=BB1_117 Depth=1
	s_wait_xcnt 0x0
	s_mov_b64 s[0:1], s[12:13]
	s_mov_b32 s17, 0
	s_cbranch_execz .LBB1_130
	s_branch .LBB1_131
.LBB1_129:                              ;   in Loop: Header=BB1_117 Depth=1
	s_add_nc_u64 s[0:1], s[12:13], 8
	s_wait_xcnt 0x0
                                        ; implicit-def: $vgpr14_vgpr15
	s_mov_b32 s17, 0
.LBB1_130:                              ;   in Loop: Header=BB1_117 Depth=1
	global_load_b64 v[14:15], v11, s[12:13]
	s_add_co_i32 s17, s16, -8
.LBB1_131:                              ;   in Loop: Header=BB1_117 Depth=1
	s_delay_alu instid0(SALU_CYCLE_1)
	s_cmp_gt_u32 s17, 7
	s_cbranch_scc1 .LBB1_136
; %bb.132:                              ;   in Loop: Header=BB1_117 Depth=1
	v_mov_b64_e32 v[16:17], 0
	s_cmp_eq_u32 s17, 0
	s_cbranch_scc1 .LBB1_135
; %bb.133:                              ;   in Loop: Header=BB1_117 Depth=1
	s_wait_xcnt 0x0
	s_mov_b64 s[12:13], 0
	s_mov_b64 s[14:15], 0
.LBB1_134:                              ;   Parent Loop BB1_117 Depth=1
                                        ; =>  This Inner Loop Header: Depth=2
	s_wait_xcnt 0x0
	s_add_nc_u64 s[18:19], s[0:1], s[14:15]
	s_add_nc_u64 s[14:15], s[14:15], 1
	global_load_u8 v3, v11, s[18:19]
	s_cmp_lg_u32 s17, s14
	s_wait_loadcnt 0x0
	v_and_b32_e32 v10, 0xffff, v3
	s_delay_alu instid0(VALU_DEP_1) | instskip(SKIP_1) | instid1(VALU_DEP_1)
	v_lshlrev_b64_e32 v[18:19], s12, v[10:11]
	s_add_nc_u64 s[12:13], s[12:13], 8
	v_or_b32_e32 v16, v18, v16
	s_delay_alu instid0(VALU_DEP_2)
	v_or_b32_e32 v17, v19, v17
	s_cbranch_scc1 .LBB1_134
.LBB1_135:                              ;   in Loop: Header=BB1_117 Depth=1
	s_wait_xcnt 0x0
	s_mov_b64 s[12:13], s[0:1]
	s_mov_b32 s16, 0
	s_cbranch_execz .LBB1_137
	s_branch .LBB1_138
.LBB1_136:                              ;   in Loop: Header=BB1_117 Depth=1
	s_wait_xcnt 0x0
	s_add_nc_u64 s[12:13], s[0:1], 8
	s_mov_b32 s16, 0
.LBB1_137:                              ;   in Loop: Header=BB1_117 Depth=1
	global_load_b64 v[16:17], v11, s[0:1]
	s_add_co_i32 s16, s17, -8
.LBB1_138:                              ;   in Loop: Header=BB1_117 Depth=1
	s_delay_alu instid0(SALU_CYCLE_1)
	s_cmp_gt_u32 s16, 7
	s_cbranch_scc1 .LBB1_143
; %bb.139:                              ;   in Loop: Header=BB1_117 Depth=1
	v_mov_b64_e32 v[18:19], 0
	s_cmp_eq_u32 s16, 0
	s_cbranch_scc1 .LBB1_142
; %bb.140:                              ;   in Loop: Header=BB1_117 Depth=1
	s_wait_xcnt 0x0
	s_mov_b64 s[0:1], 0
	s_mov_b64 s[14:15], 0
.LBB1_141:                              ;   Parent Loop BB1_117 Depth=1
                                        ; =>  This Inner Loop Header: Depth=2
	s_wait_xcnt 0x0
	s_add_nc_u64 s[18:19], s[12:13], s[14:15]
	s_add_nc_u64 s[14:15], s[14:15], 1
	global_load_u8 v3, v11, s[18:19]
	s_cmp_lg_u32 s16, s14
	s_wait_loadcnt 0x0
	v_and_b32_e32 v10, 0xffff, v3
	s_delay_alu instid0(VALU_DEP_1) | instskip(SKIP_1) | instid1(VALU_DEP_1)
	v_lshlrev_b64_e32 v[20:21], s0, v[10:11]
	s_add_nc_u64 s[0:1], s[0:1], 8
	v_or_b32_e32 v18, v20, v18
	s_delay_alu instid0(VALU_DEP_2)
	v_or_b32_e32 v19, v21, v19
	s_cbranch_scc1 .LBB1_141
.LBB1_142:                              ;   in Loop: Header=BB1_117 Depth=1
	s_wait_xcnt 0x0
	s_mov_b64 s[0:1], s[12:13]
	s_mov_b32 s17, 0
	s_cbranch_execz .LBB1_144
	s_branch .LBB1_145
.LBB1_143:                              ;   in Loop: Header=BB1_117 Depth=1
	s_wait_xcnt 0x0
	s_add_nc_u64 s[0:1], s[12:13], 8
                                        ; implicit-def: $vgpr18_vgpr19
	s_mov_b32 s17, 0
.LBB1_144:                              ;   in Loop: Header=BB1_117 Depth=1
	global_load_b64 v[18:19], v11, s[12:13]
	s_add_co_i32 s17, s16, -8
.LBB1_145:                              ;   in Loop: Header=BB1_117 Depth=1
	s_delay_alu instid0(SALU_CYCLE_1)
	s_cmp_gt_u32 s17, 7
	s_cbranch_scc1 .LBB1_150
; %bb.146:                              ;   in Loop: Header=BB1_117 Depth=1
	v_mov_b64_e32 v[20:21], 0
	s_cmp_eq_u32 s17, 0
	s_cbranch_scc1 .LBB1_149
; %bb.147:                              ;   in Loop: Header=BB1_117 Depth=1
	s_wait_xcnt 0x0
	s_mov_b64 s[12:13], 0
	s_mov_b64 s[14:15], 0
.LBB1_148:                              ;   Parent Loop BB1_117 Depth=1
                                        ; =>  This Inner Loop Header: Depth=2
	s_wait_xcnt 0x0
	s_add_nc_u64 s[18:19], s[0:1], s[14:15]
	s_add_nc_u64 s[14:15], s[14:15], 1
	global_load_u8 v3, v11, s[18:19]
	s_cmp_lg_u32 s17, s14
	s_wait_loadcnt 0x0
	v_and_b32_e32 v10, 0xffff, v3
	s_delay_alu instid0(VALU_DEP_1) | instskip(SKIP_1) | instid1(VALU_DEP_1)
	v_lshlrev_b64_e32 v[22:23], s12, v[10:11]
	s_add_nc_u64 s[12:13], s[12:13], 8
	v_or_b32_e32 v20, v22, v20
	s_delay_alu instid0(VALU_DEP_2)
	v_or_b32_e32 v21, v23, v21
	s_cbranch_scc1 .LBB1_148
.LBB1_149:                              ;   in Loop: Header=BB1_117 Depth=1
	s_wait_xcnt 0x0
	s_mov_b64 s[12:13], s[0:1]
	s_mov_b32 s16, 0
	s_cbranch_execz .LBB1_151
	s_branch .LBB1_152
.LBB1_150:                              ;   in Loop: Header=BB1_117 Depth=1
	s_wait_xcnt 0x0
	s_add_nc_u64 s[12:13], s[0:1], 8
	s_mov_b32 s16, 0
.LBB1_151:                              ;   in Loop: Header=BB1_117 Depth=1
	global_load_b64 v[20:21], v11, s[0:1]
	s_add_co_i32 s16, s17, -8
.LBB1_152:                              ;   in Loop: Header=BB1_117 Depth=1
	s_delay_alu instid0(SALU_CYCLE_1)
	s_cmp_gt_u32 s16, 7
	s_cbranch_scc1 .LBB1_157
; %bb.153:                              ;   in Loop: Header=BB1_117 Depth=1
	v_mov_b64_e32 v[22:23], 0
	s_cmp_eq_u32 s16, 0
	s_cbranch_scc1 .LBB1_156
; %bb.154:                              ;   in Loop: Header=BB1_117 Depth=1
	s_wait_xcnt 0x0
	s_mov_b64 s[0:1], 0
	s_mov_b64 s[14:15], 0
.LBB1_155:                              ;   Parent Loop BB1_117 Depth=1
                                        ; =>  This Inner Loop Header: Depth=2
	s_wait_xcnt 0x0
	s_add_nc_u64 s[18:19], s[12:13], s[14:15]
	s_add_nc_u64 s[14:15], s[14:15], 1
	global_load_u8 v3, v11, s[18:19]
	s_cmp_lg_u32 s16, s14
	s_wait_loadcnt 0x0
	v_and_b32_e32 v10, 0xffff, v3
	s_delay_alu instid0(VALU_DEP_1) | instskip(SKIP_1) | instid1(VALU_DEP_1)
	v_lshlrev_b64_e32 v[24:25], s0, v[10:11]
	s_add_nc_u64 s[0:1], s[0:1], 8
	v_or_b32_e32 v22, v24, v22
	s_delay_alu instid0(VALU_DEP_2)
	v_or_b32_e32 v23, v25, v23
	s_cbranch_scc1 .LBB1_155
.LBB1_156:                              ;   in Loop: Header=BB1_117 Depth=1
	s_wait_xcnt 0x0
	s_mov_b64 s[0:1], s[12:13]
	s_mov_b32 s17, 0
	s_cbranch_execz .LBB1_158
	s_branch .LBB1_159
.LBB1_157:                              ;   in Loop: Header=BB1_117 Depth=1
	s_wait_xcnt 0x0
	s_add_nc_u64 s[0:1], s[12:13], 8
                                        ; implicit-def: $vgpr22_vgpr23
	s_mov_b32 s17, 0
.LBB1_158:                              ;   in Loop: Header=BB1_117 Depth=1
	global_load_b64 v[22:23], v11, s[12:13]
	s_add_co_i32 s17, s16, -8
.LBB1_159:                              ;   in Loop: Header=BB1_117 Depth=1
	s_delay_alu instid0(SALU_CYCLE_1)
	s_cmp_gt_u32 s17, 7
	s_cbranch_scc1 .LBB1_164
; %bb.160:                              ;   in Loop: Header=BB1_117 Depth=1
	v_mov_b64_e32 v[24:25], 0
	s_cmp_eq_u32 s17, 0
	s_cbranch_scc1 .LBB1_163
; %bb.161:                              ;   in Loop: Header=BB1_117 Depth=1
	s_wait_xcnt 0x0
	s_mov_b64 s[12:13], 0
	s_mov_b64 s[14:15], s[0:1]
.LBB1_162:                              ;   Parent Loop BB1_117 Depth=1
                                        ; =>  This Inner Loop Header: Depth=2
	global_load_u8 v3, v11, s[14:15]
	s_add_co_i32 s17, s17, -1
	s_wait_xcnt 0x0
	s_add_nc_u64 s[14:15], s[14:15], 1
	s_cmp_lg_u32 s17, 0
	s_wait_loadcnt 0x0
	v_and_b32_e32 v10, 0xffff, v3
	s_delay_alu instid0(VALU_DEP_1) | instskip(SKIP_1) | instid1(VALU_DEP_1)
	v_lshlrev_b64_e32 v[26:27], s12, v[10:11]
	s_add_nc_u64 s[12:13], s[12:13], 8
	v_or_b32_e32 v24, v26, v24
	s_delay_alu instid0(VALU_DEP_2)
	v_or_b32_e32 v25, v27, v25
	s_cbranch_scc1 .LBB1_162
.LBB1_163:                              ;   in Loop: Header=BB1_117 Depth=1
	s_wait_xcnt 0x0
	s_cbranch_execz .LBB1_165
	s_branch .LBB1_166
.LBB1_164:                              ;   in Loop: Header=BB1_117 Depth=1
	s_wait_xcnt 0x0
.LBB1_165:                              ;   in Loop: Header=BB1_117 Depth=1
	global_load_b64 v[24:25], v11, s[0:1]
.LBB1_166:                              ;   in Loop: Header=BB1_117 Depth=1
	s_wait_xcnt 0x0
	v_readfirstlane_b32 s0, v48
	v_mov_b64_e32 v[32:33], 0
	s_delay_alu instid0(VALU_DEP_2)
	v_cmp_eq_u32_e64 s0, s0, v48
	s_and_saveexec_b32 s1, s0
	s_cbranch_execz .LBB1_172
; %bb.167:                              ;   in Loop: Header=BB1_117 Depth=1
	global_load_b64 v[28:29], v11, s[2:3] offset:24 scope:SCOPE_SYS
	s_wait_loadcnt 0x0
	global_inv scope:SCOPE_SYS
	s_clause 0x1
	global_load_b64 v[26:27], v11, s[2:3] offset:40
	global_load_b64 v[32:33], v11, s[2:3]
	s_mov_b32 s12, exec_lo
	s_wait_loadcnt 0x1
	v_and_b32_e32 v26, v26, v28
	v_and_b32_e32 v27, v27, v29
	s_delay_alu instid0(VALU_DEP_1) | instskip(SKIP_1) | instid1(VALU_DEP_1)
	v_mul_u64_e32 v[26:27], 24, v[26:27]
	s_wait_loadcnt 0x0
	v_add_nc_u64_e32 v[26:27], v[32:33], v[26:27]
	global_load_b64 v[26:27], v[26:27], off scope:SCOPE_SYS
	s_wait_xcnt 0x0
	s_wait_loadcnt 0x0
	global_atomic_cmpswap_b64 v[32:33], v11, v[26:29], s[2:3] offset:24 th:TH_ATOMIC_RETURN scope:SCOPE_SYS
	s_wait_loadcnt 0x0
	global_inv scope:SCOPE_SYS
	s_wait_xcnt 0x0
	v_cmpx_ne_u64_e64 v[32:33], v[28:29]
	s_cbranch_execz .LBB1_171
; %bb.168:                              ;   in Loop: Header=BB1_117 Depth=1
	s_mov_b32 s13, 0
.LBB1_169:                              ;   Parent Loop BB1_117 Depth=1
                                        ; =>  This Inner Loop Header: Depth=2
	s_sleep 1
	s_clause 0x1
	global_load_b64 v[26:27], v11, s[2:3] offset:40
	global_load_b64 v[34:35], v11, s[2:3]
	v_mov_b64_e32 v[28:29], v[32:33]
	s_wait_loadcnt 0x1
	s_delay_alu instid0(VALU_DEP_1) | instskip(SKIP_1) | instid1(VALU_DEP_1)
	v_and_b32_e32 v3, v26, v28
	s_wait_loadcnt 0x0
	v_mad_nc_u64_u32 v[32:33], v3, 24, v[34:35]
	s_delay_alu instid0(VALU_DEP_3) | instskip(NEXT) | instid1(VALU_DEP_1)
	v_and_b32_e32 v3, v27, v29
	v_mad_u32 v33, v3, 24, v33
	global_load_b64 v[26:27], v[32:33], off scope:SCOPE_SYS
	s_wait_xcnt 0x0
	s_wait_loadcnt 0x0
	global_atomic_cmpswap_b64 v[32:33], v11, v[26:29], s[2:3] offset:24 th:TH_ATOMIC_RETURN scope:SCOPE_SYS
	s_wait_loadcnt 0x0
	global_inv scope:SCOPE_SYS
	v_cmp_eq_u64_e32 vcc_lo, v[32:33], v[28:29]
	s_or_b32 s13, vcc_lo, s13
	s_wait_xcnt 0x0
	s_and_not1_b32 exec_lo, exec_lo, s13
	s_cbranch_execnz .LBB1_169
; %bb.170:                              ;   in Loop: Header=BB1_117 Depth=1
	s_or_b32 exec_lo, exec_lo, s13
.LBB1_171:                              ;   in Loop: Header=BB1_117 Depth=1
	s_delay_alu instid0(SALU_CYCLE_1)
	s_or_b32 exec_lo, exec_lo, s12
.LBB1_172:                              ;   in Loop: Header=BB1_117 Depth=1
	s_delay_alu instid0(SALU_CYCLE_1)
	s_or_b32 exec_lo, exec_lo, s1
	s_clause 0x1
	global_load_b64 v[34:35], v11, s[2:3] offset:40
	global_load_b128 v[26:29], v11, s[2:3]
	v_readfirstlane_b32 s12, v32
	v_readfirstlane_b32 s13, v33
	s_mov_b32 s1, exec_lo
	s_wait_loadcnt 0x1
	v_and_b32_e32 v34, s12, v34
	v_and_b32_e32 v35, s13, v35
	s_delay_alu instid0(VALU_DEP_1) | instskip(SKIP_1) | instid1(VALU_DEP_1)
	v_mul_u64_e32 v[32:33], 24, v[34:35]
	s_wait_loadcnt 0x0
	v_add_nc_u64_e32 v[32:33], v[26:27], v[32:33]
	s_wait_xcnt 0x0
	s_and_saveexec_b32 s14, s0
	s_cbranch_execz .LBB1_174
; %bb.173:                              ;   in Loop: Header=BB1_117 Depth=1
	v_mov_b32_e32 v10, s1
	global_store_b128 v[32:33], v[10:13], off offset:8
.LBB1_174:                              ;   in Loop: Header=BB1_117 Depth=1
	s_wait_xcnt 0x0
	s_or_b32 exec_lo, exec_lo, s14
	v_cmp_lt_u64_e64 vcc_lo, s[6:7], 57
	v_lshlrev_b64_e32 v[34:35], 12, v[34:35]
	v_and_b32_e32 v6, 0xffffff1f, v6
	s_lshl_b32 s1, s10, 2
	s_delay_alu instid0(SALU_CYCLE_1) | instskip(SKIP_1) | instid1(VALU_DEP_3)
	s_add_co_i32 s1, s1, 28
	v_cndmask_b32_e32 v3, 0, v2, vcc_lo
	v_add_nc_u64_e32 v[28:29], v[28:29], v[34:35]
	s_delay_alu instid0(VALU_DEP_2) | instskip(NEXT) | instid1(VALU_DEP_2)
	v_or_b32_e32 v3, v6, v3
	v_readfirstlane_b32 s14, v28
	s_delay_alu instid0(VALU_DEP_3) | instskip(NEXT) | instid1(VALU_DEP_3)
	v_readfirstlane_b32 s15, v29
	v_and_or_b32 v6, 0x1e0, s1, v3
	s_clause 0x3
	global_store_b128 v30, v[6:9], s[14:15]
	global_store_b128 v30, v[14:17], s[14:15] offset:16
	global_store_b128 v30, v[18:21], s[14:15] offset:32
	;; [unrolled: 1-line block ×3, first 2 shown]
	s_wait_xcnt 0x0
	s_and_saveexec_b32 s1, s0
	s_cbranch_execz .LBB1_182
; %bb.175:                              ;   in Loop: Header=BB1_117 Depth=1
	s_clause 0x1
	global_load_b64 v[18:19], v11, s[2:3] offset:32 scope:SCOPE_SYS
	global_load_b64 v[6:7], v11, s[2:3] offset:40
	s_mov_b32 s14, exec_lo
	v_dual_mov_b32 v16, s12 :: v_dual_mov_b32 v17, s13
	s_wait_loadcnt 0x0
	v_and_b32_e32 v7, s13, v7
	v_and_b32_e32 v6, s12, v6
	s_delay_alu instid0(VALU_DEP_1) | instskip(NEXT) | instid1(VALU_DEP_1)
	v_mul_u64_e32 v[6:7], 24, v[6:7]
	v_add_nc_u64_e32 v[14:15], v[26:27], v[6:7]
	global_store_b64 v[14:15], v[18:19], off
	global_wb scope:SCOPE_SYS
	s_wait_storecnt 0x0
	s_wait_xcnt 0x0
	global_atomic_cmpswap_b64 v[8:9], v11, v[16:19], s[2:3] offset:32 th:TH_ATOMIC_RETURN scope:SCOPE_SYS
	s_wait_loadcnt 0x0
	v_cmpx_ne_u64_e64 v[8:9], v[18:19]
	s_cbranch_execz .LBB1_178
; %bb.176:                              ;   in Loop: Header=BB1_117 Depth=1
	s_mov_b32 s15, 0
.LBB1_177:                              ;   Parent Loop BB1_117 Depth=1
                                        ; =>  This Inner Loop Header: Depth=2
	v_dual_mov_b32 v6, s12 :: v_dual_mov_b32 v7, s13
	s_sleep 1
	global_store_b64 v[14:15], v[8:9], off
	global_wb scope:SCOPE_SYS
	s_wait_storecnt 0x0
	s_wait_xcnt 0x0
	global_atomic_cmpswap_b64 v[6:7], v11, v[6:9], s[2:3] offset:32 th:TH_ATOMIC_RETURN scope:SCOPE_SYS
	s_wait_loadcnt 0x0
	v_cmp_eq_u64_e32 vcc_lo, v[6:7], v[8:9]
	v_mov_b64_e32 v[8:9], v[6:7]
	s_or_b32 s15, vcc_lo, s15
	s_delay_alu instid0(SALU_CYCLE_1)
	s_and_not1_b32 exec_lo, exec_lo, s15
	s_cbranch_execnz .LBB1_177
.LBB1_178:                              ;   in Loop: Header=BB1_117 Depth=1
	s_or_b32 exec_lo, exec_lo, s14
	global_load_b64 v[6:7], v11, s[2:3] offset:16
	s_mov_b32 s15, exec_lo
	s_mov_b32 s14, exec_lo
	v_mbcnt_lo_u32_b32 v3, s15, 0
	s_wait_xcnt 0x0
	s_delay_alu instid0(VALU_DEP_1)
	v_cmpx_eq_u32_e32 0, v3
	s_cbranch_execz .LBB1_180
; %bb.179:                              ;   in Loop: Header=BB1_117 Depth=1
	s_bcnt1_i32_b32 s15, s15
	s_delay_alu instid0(SALU_CYCLE_1)
	v_mov_b32_e32 v10, s15
	global_wb scope:SCOPE_SYS
	s_wait_loadcnt 0x0
	s_wait_storecnt 0x0
	global_atomic_add_u64 v[6:7], v[10:11], off offset:8 scope:SCOPE_SYS
.LBB1_180:                              ;   in Loop: Header=BB1_117 Depth=1
	s_wait_xcnt 0x0
	s_or_b32 exec_lo, exec_lo, s14
	s_wait_loadcnt 0x0
	global_load_b64 v[8:9], v[6:7], off offset:16
	s_wait_loadcnt 0x0
	v_cmp_eq_u64_e32 vcc_lo, 0, v[8:9]
	s_cbranch_vccnz .LBB1_182
; %bb.181:                              ;   in Loop: Header=BB1_117 Depth=1
	global_load_b32 v10, v[6:7], off offset:24
	s_wait_loadcnt 0x0
	v_readfirstlane_b32 s14, v10
	global_wb scope:SCOPE_SYS
	s_wait_storecnt 0x0
	s_wait_xcnt 0x0
	global_store_b64 v[8:9], v[10:11], off scope:SCOPE_SYS
	s_and_b32 m0, s14, 0xffffff
	s_sendmsg sendmsg(MSG_INTERRUPT)
.LBB1_182:                              ;   in Loop: Header=BB1_117 Depth=1
	s_wait_xcnt 0x0
	s_or_b32 exec_lo, exec_lo, s1
	v_mov_b32_e32 v31, v11
	s_delay_alu instid0(VALU_DEP_1)
	v_add_nc_u64_e32 v[6:7], v[28:29], v[30:31]
	s_branch .LBB1_186
.LBB1_183:                              ;   in Loop: Header=BB1_186 Depth=2
	s_wait_xcnt 0x0
	s_or_b32 exec_lo, exec_lo, s1
	s_delay_alu instid0(VALU_DEP_1)
	v_readfirstlane_b32 s1, v3
	s_cmp_eq_u32 s1, 0
	s_cbranch_scc1 .LBB1_185
; %bb.184:                              ;   in Loop: Header=BB1_186 Depth=2
	s_sleep 1
	s_cbranch_execnz .LBB1_186
	s_branch .LBB1_188
.LBB1_185:                              ;   in Loop: Header=BB1_117 Depth=1
	s_branch .LBB1_188
.LBB1_186:                              ;   Parent Loop BB1_117 Depth=1
                                        ; =>  This Inner Loop Header: Depth=2
	v_mov_b32_e32 v3, 1
	s_and_saveexec_b32 s1, s0
	s_cbranch_execz .LBB1_183
; %bb.187:                              ;   in Loop: Header=BB1_186 Depth=2
	global_load_b32 v3, v[32:33], off offset:20 scope:SCOPE_SYS
	s_wait_loadcnt 0x0
	global_inv scope:SCOPE_SYS
	v_and_b32_e32 v3, 1, v3
	s_branch .LBB1_183
.LBB1_188:                              ;   in Loop: Header=BB1_117 Depth=1
	global_load_b64 v[6:7], v[6:7], off
	s_wait_xcnt 0x0
	s_and_saveexec_b32 s14, s0
	s_cbranch_execz .LBB1_116
; %bb.189:                              ;   in Loop: Header=BB1_117 Depth=1
	s_clause 0x2
	global_load_b64 v[8:9], v11, s[2:3] offset:40
	global_load_b64 v[18:19], v11, s[2:3] offset:24 scope:SCOPE_SYS
	global_load_b64 v[14:15], v11, s[2:3]
	s_wait_loadcnt 0x2
	v_readfirstlane_b32 s16, v8
	v_readfirstlane_b32 s17, v9
	s_add_nc_u64 s[0:1], s[16:17], 1
	s_delay_alu instid0(SALU_CYCLE_1) | instskip(NEXT) | instid1(SALU_CYCLE_1)
	s_add_nc_u64 s[12:13], s[0:1], s[12:13]
	s_cmp_eq_u64 s[12:13], 0
	s_cselect_b32 s1, s1, s13
	s_cselect_b32 s0, s0, s12
	s_delay_alu instid0(SALU_CYCLE_1) | instskip(SKIP_1) | instid1(SALU_CYCLE_1)
	v_dual_mov_b32 v17, s1 :: v_dual_mov_b32 v16, s0
	s_and_b64 s[12:13], s[0:1], s[16:17]
	s_mul_u64 s[12:13], s[12:13], 24
	s_wait_loadcnt 0x0
	v_add_nc_u64_e32 v[8:9], s[12:13], v[14:15]
	global_store_b64 v[8:9], v[18:19], off
	global_wb scope:SCOPE_SYS
	s_wait_storecnt 0x0
	s_wait_xcnt 0x0
	global_atomic_cmpswap_b64 v[16:17], v11, v[16:19], s[2:3] offset:24 th:TH_ATOMIC_RETURN scope:SCOPE_SYS
	s_wait_loadcnt 0x0
	v_cmp_ne_u64_e32 vcc_lo, v[16:17], v[18:19]
	s_and_b32 exec_lo, exec_lo, vcc_lo
	s_cbranch_execz .LBB1_116
; %bb.190:                              ;   in Loop: Header=BB1_117 Depth=1
	s_mov_b32 s12, 0
.LBB1_191:                              ;   Parent Loop BB1_117 Depth=1
                                        ; =>  This Inner Loop Header: Depth=2
	v_dual_mov_b32 v14, s0 :: v_dual_mov_b32 v15, s1
	s_sleep 1
	global_store_b64 v[8:9], v[16:17], off
	global_wb scope:SCOPE_SYS
	s_wait_storecnt 0x0
	s_wait_xcnt 0x0
	global_atomic_cmpswap_b64 v[14:15], v11, v[14:17], s[2:3] offset:24 th:TH_ATOMIC_RETURN scope:SCOPE_SYS
	s_wait_loadcnt 0x0
	v_cmp_eq_u64_e32 vcc_lo, v[14:15], v[16:17]
	v_mov_b64_e32 v[16:17], v[14:15]
	s_or_b32 s12, vcc_lo, s12
	s_delay_alu instid0(SALU_CYCLE_1)
	s_and_not1_b32 exec_lo, exec_lo, s12
	s_cbranch_execnz .LBB1_191
	s_branch .LBB1_116
.LBB1_192:
	s_or_b32 exec_lo, exec_lo, s6
	s_branch .LBB1_114
.LBB1_193:
	v_readfirstlane_b32 s0, v48
	v_mov_b64_e32 v[8:9], 0
	s_delay_alu instid0(VALU_DEP_2)
	v_cmp_eq_u32_e64 s0, s0, v48
	s_and_saveexec_b32 s1, s0
	s_cbranch_execz .LBB1_199
; %bb.194:
	s_wait_loadcnt 0x0
	v_mov_b32_e32 v0, 0
	s_mov_b32 s4, exec_lo
	global_load_b64 v[10:11], v0, s[2:3] offset:24 scope:SCOPE_SYS
	s_wait_loadcnt 0x0
	global_inv scope:SCOPE_SYS
	s_clause 0x1
	global_load_b64 v[2:3], v0, s[2:3] offset:40
	global_load_b64 v[8:9], v0, s[2:3]
	s_wait_loadcnt 0x1
	v_and_b32_e32 v2, v2, v10
	v_and_b32_e32 v3, v3, v11
	s_delay_alu instid0(VALU_DEP_1) | instskip(SKIP_1) | instid1(VALU_DEP_1)
	v_mul_u64_e32 v[2:3], 24, v[2:3]
	s_wait_loadcnt 0x0
	v_add_nc_u64_e32 v[2:3], v[8:9], v[2:3]
	global_load_b64 v[8:9], v[2:3], off scope:SCOPE_SYS
	s_wait_xcnt 0x0
	s_wait_loadcnt 0x0
	global_atomic_cmpswap_b64 v[8:9], v0, v[8:11], s[2:3] offset:24 th:TH_ATOMIC_RETURN scope:SCOPE_SYS
	s_wait_loadcnt 0x0
	global_inv scope:SCOPE_SYS
	s_wait_xcnt 0x0
	v_cmpx_ne_u64_e64 v[8:9], v[10:11]
	s_cbranch_execz .LBB1_198
; %bb.195:
	s_mov_b32 s5, 0
.LBB1_196:                              ; =>This Inner Loop Header: Depth=1
	s_sleep 1
	s_clause 0x1
	global_load_b64 v[2:3], v0, s[2:3] offset:40
	global_load_b64 v[12:13], v0, s[2:3]
	v_mov_b64_e32 v[10:11], v[8:9]
	s_wait_loadcnt 0x1
	s_delay_alu instid0(VALU_DEP_1) | instskip(SKIP_1) | instid1(VALU_DEP_1)
	v_and_b32_e32 v1, v2, v10
	s_wait_loadcnt 0x0
	v_mad_nc_u64_u32 v[8:9], v1, 24, v[12:13]
	s_delay_alu instid0(VALU_DEP_3) | instskip(NEXT) | instid1(VALU_DEP_1)
	v_and_b32_e32 v1, v3, v11
	v_mad_u32 v9, v1, 24, v9
	global_load_b64 v[8:9], v[8:9], off scope:SCOPE_SYS
	s_wait_xcnt 0x0
	s_wait_loadcnt 0x0
	global_atomic_cmpswap_b64 v[8:9], v0, v[8:11], s[2:3] offset:24 th:TH_ATOMIC_RETURN scope:SCOPE_SYS
	s_wait_loadcnt 0x0
	global_inv scope:SCOPE_SYS
	v_cmp_eq_u64_e32 vcc_lo, v[8:9], v[10:11]
	s_or_b32 s5, vcc_lo, s5
	s_wait_xcnt 0x0
	s_and_not1_b32 exec_lo, exec_lo, s5
	s_cbranch_execnz .LBB1_196
; %bb.197:
	s_or_b32 exec_lo, exec_lo, s5
.LBB1_198:
	s_delay_alu instid0(SALU_CYCLE_1)
	s_or_b32 exec_lo, exec_lo, s4
.LBB1_199:
	s_delay_alu instid0(SALU_CYCLE_1)
	s_or_b32 exec_lo, exec_lo, s1
	v_readfirstlane_b32 s4, v8
	v_mov_b32_e32 v31, 0
	v_readfirstlane_b32 s5, v9
	s_mov_b32 s1, exec_lo
	global_load_b64 v[10:11], v31, s[2:3] offset:40
	s_wait_loadcnt 0x1
	global_load_b128 v[0:3], v31, s[2:3]
	s_wait_loadcnt 0x1
	v_and_b32_e32 v8, s4, v10
	v_and_b32_e32 v9, s5, v11
	s_delay_alu instid0(VALU_DEP_1) | instskip(SKIP_1) | instid1(VALU_DEP_1)
	v_mul_u64_e32 v[10:11], 24, v[8:9]
	s_wait_loadcnt 0x0
	v_add_nc_u64_e32 v[10:11], v[0:1], v[10:11]
	s_wait_xcnt 0x0
	s_and_saveexec_b32 s6, s0
	s_cbranch_execz .LBB1_201
; %bb.200:
	v_mov_b64_e32 v[14:15], 0x100000002
	v_dual_mov_b32 v12, s1 :: v_dual_mov_b32 v13, v31
	global_store_b128 v[10:11], v[12:15], off offset:8
.LBB1_201:
	s_wait_xcnt 0x0
	s_or_b32 exec_lo, exec_lo, s6
	v_lshlrev_b64_e32 v[8:9], 12, v[8:9]
	s_mov_b32 s12, 0
	v_and_or_b32 v6, 0xffffff1f, v6, 32
	s_mov_b32 s14, s12
	s_mov_b32 s15, s12
	;; [unrolled: 1-line block ×3, first 2 shown]
	v_mov_b64_e32 v[16:17], s[14:15]
	v_add_nc_u64_e32 v[12:13], v[2:3], v[8:9]
	v_mov_b64_e32 v[14:15], s[12:13]
	v_dual_mov_b32 v8, v31 :: v_dual_mov_b32 v9, v31
	s_delay_alu instid0(VALU_DEP_3) | instskip(NEXT) | instid1(VALU_DEP_4)
	v_readfirstlane_b32 s6, v12
	v_readfirstlane_b32 s7, v13
	s_clause 0x3
	global_store_b128 v30, v[6:9], s[6:7]
	global_store_b128 v30, v[14:17], s[6:7] offset:16
	global_store_b128 v30, v[14:17], s[6:7] offset:32
	;; [unrolled: 1-line block ×3, first 2 shown]
	s_wait_xcnt 0x0
	s_and_saveexec_b32 s1, s0
	s_cbranch_execz .LBB1_209
; %bb.202:
	v_dual_mov_b32 v8, 0 :: v_dual_mov_b32 v15, s5
	s_mov_b32 s6, exec_lo
	s_clause 0x1
	global_load_b64 v[16:17], v8, s[2:3] offset:32 scope:SCOPE_SYS
	global_load_b64 v[2:3], v8, s[2:3] offset:40
	s_wait_loadcnt 0x0
	v_dual_mov_b32 v14, s4 :: v_dual_bitop2_b32 v3, s5, v3 bitop3:0x40
	v_and_b32_e32 v2, s4, v2
	s_delay_alu instid0(VALU_DEP_1) | instskip(NEXT) | instid1(VALU_DEP_1)
	v_mul_u64_e32 v[2:3], 24, v[2:3]
	v_add_nc_u64_e32 v[6:7], v[0:1], v[2:3]
	global_store_b64 v[6:7], v[16:17], off
	global_wb scope:SCOPE_SYS
	s_wait_storecnt 0x0
	s_wait_xcnt 0x0
	global_atomic_cmpswap_b64 v[2:3], v8, v[14:17], s[2:3] offset:32 th:TH_ATOMIC_RETURN scope:SCOPE_SYS
	s_wait_loadcnt 0x0
	v_cmpx_ne_u64_e64 v[2:3], v[16:17]
	s_cbranch_execz .LBB1_205
; %bb.203:
	s_mov_b32 s7, 0
.LBB1_204:                              ; =>This Inner Loop Header: Depth=1
	v_dual_mov_b32 v0, s4 :: v_dual_mov_b32 v1, s5
	s_sleep 1
	global_store_b64 v[6:7], v[2:3], off
	global_wb scope:SCOPE_SYS
	s_wait_storecnt 0x0
	s_wait_xcnt 0x0
	global_atomic_cmpswap_b64 v[0:1], v8, v[0:3], s[2:3] offset:32 th:TH_ATOMIC_RETURN scope:SCOPE_SYS
	s_wait_loadcnt 0x0
	v_cmp_eq_u64_e32 vcc_lo, v[0:1], v[2:3]
	v_mov_b64_e32 v[2:3], v[0:1]
	s_or_b32 s7, vcc_lo, s7
	s_delay_alu instid0(SALU_CYCLE_1)
	s_and_not1_b32 exec_lo, exec_lo, s7
	s_cbranch_execnz .LBB1_204
.LBB1_205:
	s_or_b32 exec_lo, exec_lo, s6
	v_mov_b32_e32 v3, 0
	s_mov_b32 s7, exec_lo
	s_mov_b32 s6, exec_lo
	v_mbcnt_lo_u32_b32 v2, s7, 0
	global_load_b64 v[0:1], v3, s[2:3] offset:16
	s_wait_xcnt 0x0
	v_cmpx_eq_u32_e32 0, v2
	s_cbranch_execz .LBB1_207
; %bb.206:
	s_bcnt1_i32_b32 s7, s7
	s_delay_alu instid0(SALU_CYCLE_1)
	v_mov_b32_e32 v2, s7
	global_wb scope:SCOPE_SYS
	s_wait_loadcnt 0x0
	s_wait_storecnt 0x0
	global_atomic_add_u64 v[0:1], v[2:3], off offset:8 scope:SCOPE_SYS
.LBB1_207:
	s_wait_xcnt 0x0
	s_or_b32 exec_lo, exec_lo, s6
	s_wait_loadcnt 0x0
	global_load_b64 v[2:3], v[0:1], off offset:16
	s_wait_loadcnt 0x0
	v_cmp_eq_u64_e32 vcc_lo, 0, v[2:3]
	s_cbranch_vccnz .LBB1_209
; %bb.208:
	global_load_b32 v0, v[0:1], off offset:24
	s_wait_xcnt 0x0
	v_mov_b32_e32 v1, 0
	s_wait_loadcnt 0x0
	v_readfirstlane_b32 s6, v0
	global_wb scope:SCOPE_SYS
	s_wait_storecnt 0x0
	global_store_b64 v[2:3], v[0:1], off scope:SCOPE_SYS
	s_and_b32 m0, s6, 0xffffff
	s_sendmsg sendmsg(MSG_INTERRUPT)
.LBB1_209:
	s_wait_xcnt 0x0
	s_or_b32 exec_lo, exec_lo, s1
	v_add_nc_u64_e32 v[0:1], v[12:13], v[30:31]
	s_branch .LBB1_213
.LBB1_210:                              ;   in Loop: Header=BB1_213 Depth=1
	s_wait_xcnt 0x0
	s_or_b32 exec_lo, exec_lo, s1
	s_delay_alu instid0(VALU_DEP_1)
	v_readfirstlane_b32 s1, v2
	s_cmp_eq_u32 s1, 0
	s_cbranch_scc1 .LBB1_212
; %bb.211:                              ;   in Loop: Header=BB1_213 Depth=1
	s_sleep 1
	s_cbranch_execnz .LBB1_213
	s_branch .LBB1_216
.LBB1_212:
	s_branch .LBB1_216
.LBB1_213:                              ; =>This Inner Loop Header: Depth=1
	v_mov_b32_e32 v2, 1
	s_and_saveexec_b32 s1, s0
	s_cbranch_execz .LBB1_210
; %bb.214:                              ;   in Loop: Header=BB1_213 Depth=1
	global_load_b32 v2, v[10:11], off offset:20 scope:SCOPE_SYS
	s_wait_loadcnt 0x0
	global_inv scope:SCOPE_SYS
	v_and_b32_e32 v2, 1, v2
	s_branch .LBB1_210
.LBB1_215:
	s_branch .LBB1_249
.LBB1_216:
	global_load_b64 v[0:1], v[0:1], off
	s_wait_xcnt 0x0
	s_and_saveexec_b32 s6, s0
	s_cbranch_execz .LBB1_220
; %bb.217:
	v_mov_b32_e32 v10, 0
	s_clause 0x2
	global_load_b64 v[2:3], v10, s[2:3] offset:40
	global_load_b64 v[14:15], v10, s[2:3] offset:24 scope:SCOPE_SYS
	global_load_b64 v[6:7], v10, s[2:3]
	s_wait_loadcnt 0x2
	v_readfirstlane_b32 s10, v2
	v_readfirstlane_b32 s11, v3
	s_add_nc_u64 s[0:1], s[10:11], 1
	s_delay_alu instid0(SALU_CYCLE_1) | instskip(NEXT) | instid1(SALU_CYCLE_1)
	s_add_nc_u64 s[4:5], s[0:1], s[4:5]
	s_cmp_eq_u64 s[4:5], 0
	s_cselect_b32 s1, s1, s5
	s_cselect_b32 s0, s0, s4
	v_mov_b32_e32 v13, s1
	s_and_b64 s[4:5], s[0:1], s[10:11]
	v_mov_b32_e32 v12, s0
	s_mul_u64 s[4:5], s[4:5], 24
	s_wait_loadcnt 0x0
	v_add_nc_u64_e32 v[2:3], s[4:5], v[6:7]
	global_store_b64 v[2:3], v[14:15], off
	global_wb scope:SCOPE_SYS
	s_wait_storecnt 0x0
	s_wait_xcnt 0x0
	global_atomic_cmpswap_b64 v[8:9], v10, v[12:15], s[2:3] offset:24 th:TH_ATOMIC_RETURN scope:SCOPE_SYS
	s_wait_loadcnt 0x0
	v_cmp_ne_u64_e32 vcc_lo, v[8:9], v[14:15]
	s_and_b32 exec_lo, exec_lo, vcc_lo
	s_cbranch_execz .LBB1_220
; %bb.218:
	s_mov_b32 s4, 0
.LBB1_219:                              ; =>This Inner Loop Header: Depth=1
	v_dual_mov_b32 v6, s0 :: v_dual_mov_b32 v7, s1
	s_sleep 1
	global_store_b64 v[2:3], v[8:9], off
	global_wb scope:SCOPE_SYS
	s_wait_storecnt 0x0
	s_wait_xcnt 0x0
	global_atomic_cmpswap_b64 v[6:7], v10, v[6:9], s[2:3] offset:24 th:TH_ATOMIC_RETURN scope:SCOPE_SYS
	s_wait_loadcnt 0x0
	v_cmp_eq_u64_e32 vcc_lo, v[6:7], v[8:9]
	v_mov_b64_e32 v[8:9], v[6:7]
	s_or_b32 s4, vcc_lo, s4
	s_delay_alu instid0(SALU_CYCLE_1)
	s_and_not1_b32 exec_lo, exec_lo, s4
	s_cbranch_execnz .LBB1_219
.LBB1_220:
	s_or_b32 exec_lo, exec_lo, s6
	s_get_pc_i64 s[4:5]
	s_add_nc_u64 s[4:5], s[4:5], .str.4@rel64+4
	s_delay_alu instid0(SALU_CYCLE_1)
	s_cmp_lg_u64 s[4:5], 0
	s_cbranch_scc1 .LBB1_115
.LBB1_221:
                                        ; implicit-def: $vgpr6_vgpr7
	s_cbranch_execz .LBB1_249
; %bb.222:
	v_readfirstlane_b32 s0, v48
	v_mov_b64_e32 v[2:3], 0
	s_delay_alu instid0(VALU_DEP_2)
	v_cmp_eq_u32_e64 s0, s0, v48
	s_and_saveexec_b32 s1, s0
	s_cbranch_execz .LBB1_228
; %bb.223:
	s_wait_loadcnt 0x0
	v_mov_b32_e32 v6, 0
	s_mov_b32 s4, exec_lo
	global_load_b64 v[10:11], v6, s[2:3] offset:24 scope:SCOPE_SYS
	s_wait_loadcnt 0x0
	global_inv scope:SCOPE_SYS
	s_clause 0x1
	global_load_b64 v[2:3], v6, s[2:3] offset:40
	global_load_b64 v[8:9], v6, s[2:3]
	s_wait_loadcnt 0x1
	v_and_b32_e32 v2, v2, v10
	v_and_b32_e32 v3, v3, v11
	s_delay_alu instid0(VALU_DEP_1) | instskip(SKIP_1) | instid1(VALU_DEP_1)
	v_mul_u64_e32 v[2:3], 24, v[2:3]
	s_wait_loadcnt 0x0
	v_add_nc_u64_e32 v[2:3], v[8:9], v[2:3]
	global_load_b64 v[8:9], v[2:3], off scope:SCOPE_SYS
	s_wait_xcnt 0x0
	s_wait_loadcnt 0x0
	global_atomic_cmpswap_b64 v[2:3], v6, v[8:11], s[2:3] offset:24 th:TH_ATOMIC_RETURN scope:SCOPE_SYS
	s_wait_loadcnt 0x0
	global_inv scope:SCOPE_SYS
	s_wait_xcnt 0x0
	v_cmpx_ne_u64_e64 v[2:3], v[10:11]
	s_cbranch_execz .LBB1_227
; %bb.224:
	s_mov_b32 s5, 0
.LBB1_225:                              ; =>This Inner Loop Header: Depth=1
	s_sleep 1
	s_clause 0x1
	global_load_b64 v[8:9], v6, s[2:3] offset:40
	global_load_b64 v[12:13], v6, s[2:3]
	v_mov_b64_e32 v[10:11], v[2:3]
	s_wait_loadcnt 0x1
	s_delay_alu instid0(VALU_DEP_1) | instskip(NEXT) | instid1(VALU_DEP_2)
	v_and_b32_e32 v2, v8, v10
	v_and_b32_e32 v7, v9, v11
	s_wait_loadcnt 0x0
	s_delay_alu instid0(VALU_DEP_2) | instskip(NEXT) | instid1(VALU_DEP_1)
	v_mad_nc_u64_u32 v[2:3], v2, 24, v[12:13]
	v_mad_u32 v3, v7, 24, v3
	global_load_b64 v[8:9], v[2:3], off scope:SCOPE_SYS
	s_wait_xcnt 0x0
	s_wait_loadcnt 0x0
	global_atomic_cmpswap_b64 v[2:3], v6, v[8:11], s[2:3] offset:24 th:TH_ATOMIC_RETURN scope:SCOPE_SYS
	s_wait_loadcnt 0x0
	global_inv scope:SCOPE_SYS
	v_cmp_eq_u64_e32 vcc_lo, v[2:3], v[10:11]
	s_or_b32 s5, vcc_lo, s5
	s_wait_xcnt 0x0
	s_and_not1_b32 exec_lo, exec_lo, s5
	s_cbranch_execnz .LBB1_225
; %bb.226:
	s_or_b32 exec_lo, exec_lo, s5
.LBB1_227:
	s_delay_alu instid0(SALU_CYCLE_1)
	s_or_b32 exec_lo, exec_lo, s4
.LBB1_228:
	s_delay_alu instid0(SALU_CYCLE_1)
	s_or_b32 exec_lo, exec_lo, s1
	v_readfirstlane_b32 s4, v2
	v_mov_b32_e32 v31, 0
	v_readfirstlane_b32 s5, v3
	s_mov_b32 s1, exec_lo
	global_load_b64 v[10:11], v31, s[2:3] offset:40
	s_wait_loadcnt 0x1
	global_load_b128 v[6:9], v31, s[2:3]
	s_wait_loadcnt 0x1
	v_and_b32_e32 v2, s4, v10
	v_and_b32_e32 v3, s5, v11
	s_delay_alu instid0(VALU_DEP_1) | instskip(SKIP_1) | instid1(VALU_DEP_1)
	v_mul_u64_e32 v[10:11], 24, v[2:3]
	s_wait_loadcnt 0x0
	v_add_nc_u64_e32 v[10:11], v[6:7], v[10:11]
	s_wait_xcnt 0x0
	s_and_saveexec_b32 s6, s0
	s_cbranch_execz .LBB1_230
; %bb.229:
	v_mov_b64_e32 v[14:15], 0x100000002
	v_dual_mov_b32 v12, s1 :: v_dual_mov_b32 v13, v31
	global_store_b128 v[10:11], v[12:15], off offset:8
.LBB1_230:
	s_wait_xcnt 0x0
	s_or_b32 exec_lo, exec_lo, s6
	v_lshlrev_b64_e32 v[2:3], 12, v[2:3]
	s_mov_b32 s12, 0
	v_and_or_b32 v0, 0xffffff1f, v0, 32
	s_mov_b32 s13, s12
	s_mov_b32 s14, s12
	;; [unrolled: 1-line block ×3, first 2 shown]
	v_mov_b64_e32 v[12:13], s[12:13]
	v_add_nc_u64_e32 v[8:9], v[8:9], v[2:3]
	v_mov_b64_e32 v[14:15], s[14:15]
	v_dual_mov_b32 v2, v31 :: v_dual_mov_b32 v3, v31
	s_delay_alu instid0(VALU_DEP_3) | instskip(NEXT) | instid1(VALU_DEP_4)
	v_readfirstlane_b32 s6, v8
	v_readfirstlane_b32 s7, v9
	s_clause 0x3
	global_store_b128 v30, v[0:3], s[6:7]
	global_store_b128 v30, v[12:15], s[6:7] offset:16
	global_store_b128 v30, v[12:15], s[6:7] offset:32
	;; [unrolled: 1-line block ×3, first 2 shown]
	s_wait_xcnt 0x0
	s_and_saveexec_b32 s1, s0
	s_cbranch_execz .LBB1_238
; %bb.231:
	v_dual_mov_b32 v12, 0 :: v_dual_mov_b32 v15, s5
	s_mov_b32 s6, exec_lo
	s_clause 0x1
	global_load_b64 v[16:17], v12, s[2:3] offset:32 scope:SCOPE_SYS
	global_load_b64 v[0:1], v12, s[2:3] offset:40
	s_wait_loadcnt 0x0
	v_dual_mov_b32 v14, s4 :: v_dual_bitop2_b32 v1, s5, v1 bitop3:0x40
	v_and_b32_e32 v0, s4, v0
	s_delay_alu instid0(VALU_DEP_1) | instskip(NEXT) | instid1(VALU_DEP_1)
	v_mul_u64_e32 v[0:1], 24, v[0:1]
	v_add_nc_u64_e32 v[6:7], v[6:7], v[0:1]
	global_store_b64 v[6:7], v[16:17], off
	global_wb scope:SCOPE_SYS
	s_wait_storecnt 0x0
	s_wait_xcnt 0x0
	global_atomic_cmpswap_b64 v[2:3], v12, v[14:17], s[2:3] offset:32 th:TH_ATOMIC_RETURN scope:SCOPE_SYS
	s_wait_loadcnt 0x0
	v_cmpx_ne_u64_e64 v[2:3], v[16:17]
	s_cbranch_execz .LBB1_234
; %bb.232:
	s_mov_b32 s7, 0
.LBB1_233:                              ; =>This Inner Loop Header: Depth=1
	v_dual_mov_b32 v0, s4 :: v_dual_mov_b32 v1, s5
	s_sleep 1
	global_store_b64 v[6:7], v[2:3], off
	global_wb scope:SCOPE_SYS
	s_wait_storecnt 0x0
	s_wait_xcnt 0x0
	global_atomic_cmpswap_b64 v[0:1], v12, v[0:3], s[2:3] offset:32 th:TH_ATOMIC_RETURN scope:SCOPE_SYS
	s_wait_loadcnt 0x0
	v_cmp_eq_u64_e32 vcc_lo, v[0:1], v[2:3]
	v_mov_b64_e32 v[2:3], v[0:1]
	s_or_b32 s7, vcc_lo, s7
	s_delay_alu instid0(SALU_CYCLE_1)
	s_and_not1_b32 exec_lo, exec_lo, s7
	s_cbranch_execnz .LBB1_233
.LBB1_234:
	s_or_b32 exec_lo, exec_lo, s6
	v_mov_b32_e32 v3, 0
	s_mov_b32 s7, exec_lo
	s_mov_b32 s6, exec_lo
	v_mbcnt_lo_u32_b32 v2, s7, 0
	global_load_b64 v[0:1], v3, s[2:3] offset:16
	s_wait_xcnt 0x0
	v_cmpx_eq_u32_e32 0, v2
	s_cbranch_execz .LBB1_236
; %bb.235:
	s_bcnt1_i32_b32 s7, s7
	s_delay_alu instid0(SALU_CYCLE_1)
	v_mov_b32_e32 v2, s7
	global_wb scope:SCOPE_SYS
	s_wait_loadcnt 0x0
	s_wait_storecnt 0x0
	global_atomic_add_u64 v[0:1], v[2:3], off offset:8 scope:SCOPE_SYS
.LBB1_236:
	s_wait_xcnt 0x0
	s_or_b32 exec_lo, exec_lo, s6
	s_wait_loadcnt 0x0
	global_load_b64 v[2:3], v[0:1], off offset:16
	s_wait_loadcnt 0x0
	v_cmp_eq_u64_e32 vcc_lo, 0, v[2:3]
	s_cbranch_vccnz .LBB1_238
; %bb.237:
	global_load_b32 v0, v[0:1], off offset:24
	s_wait_xcnt 0x0
	v_mov_b32_e32 v1, 0
	s_wait_loadcnt 0x0
	v_readfirstlane_b32 s6, v0
	global_wb scope:SCOPE_SYS
	s_wait_storecnt 0x0
	global_store_b64 v[2:3], v[0:1], off scope:SCOPE_SYS
	s_and_b32 m0, s6, 0xffffff
	s_sendmsg sendmsg(MSG_INTERRUPT)
.LBB1_238:
	s_wait_xcnt 0x0
	s_or_b32 exec_lo, exec_lo, s1
	v_add_nc_u64_e32 v[0:1], v[8:9], v[30:31]
	s_branch .LBB1_242
.LBB1_239:                              ;   in Loop: Header=BB1_242 Depth=1
	s_wait_xcnt 0x0
	s_or_b32 exec_lo, exec_lo, s1
	s_delay_alu instid0(VALU_DEP_1)
	v_readfirstlane_b32 s1, v2
	s_cmp_eq_u32 s1, 0
	s_cbranch_scc1 .LBB1_241
; %bb.240:                              ;   in Loop: Header=BB1_242 Depth=1
	s_sleep 1
	s_cbranch_execnz .LBB1_242
	s_branch .LBB1_244
.LBB1_241:
	s_branch .LBB1_244
.LBB1_242:                              ; =>This Inner Loop Header: Depth=1
	v_mov_b32_e32 v2, 1
	s_and_saveexec_b32 s1, s0
	s_cbranch_execz .LBB1_239
; %bb.243:                              ;   in Loop: Header=BB1_242 Depth=1
	global_load_b32 v2, v[10:11], off offset:20 scope:SCOPE_SYS
	s_wait_loadcnt 0x0
	global_inv scope:SCOPE_SYS
	v_and_b32_e32 v2, 1, v2
	s_branch .LBB1_239
.LBB1_244:
	global_load_b64 v[6:7], v[0:1], off
	s_wait_xcnt 0x0
	s_and_saveexec_b32 s6, s0
	s_cbranch_execz .LBB1_248
; %bb.245:
	v_mov_b32_e32 v10, 0
	s_clause 0x2
	global_load_b64 v[0:1], v10, s[2:3] offset:40
	global_load_b64 v[14:15], v10, s[2:3] offset:24 scope:SCOPE_SYS
	global_load_b64 v[2:3], v10, s[2:3]
	s_wait_loadcnt 0x2
	v_readfirstlane_b32 s10, v0
	v_readfirstlane_b32 s11, v1
	s_add_nc_u64 s[0:1], s[10:11], 1
	s_delay_alu instid0(SALU_CYCLE_1) | instskip(NEXT) | instid1(SALU_CYCLE_1)
	s_add_nc_u64 s[4:5], s[0:1], s[4:5]
	s_cmp_eq_u64 s[4:5], 0
	s_cselect_b32 s1, s1, s5
	s_cselect_b32 s0, s0, s4
	v_mov_b32_e32 v13, s1
	s_and_b64 s[4:5], s[0:1], s[10:11]
	v_mov_b32_e32 v12, s0
	s_mul_u64 s[4:5], s[4:5], 24
	s_wait_loadcnt 0x0
	v_add_nc_u64_e32 v[8:9], s[4:5], v[2:3]
	global_store_b64 v[8:9], v[14:15], off
	global_wb scope:SCOPE_SYS
	s_wait_storecnt 0x0
	s_wait_xcnt 0x0
	global_atomic_cmpswap_b64 v[2:3], v10, v[12:15], s[2:3] offset:24 th:TH_ATOMIC_RETURN scope:SCOPE_SYS
	s_wait_loadcnt 0x0
	v_cmp_ne_u64_e32 vcc_lo, v[2:3], v[14:15]
	s_and_b32 exec_lo, exec_lo, vcc_lo
	s_cbranch_execz .LBB1_248
; %bb.246:
	s_mov_b32 s4, 0
.LBB1_247:                              ; =>This Inner Loop Header: Depth=1
	v_dual_mov_b32 v0, s0 :: v_dual_mov_b32 v1, s1
	s_sleep 1
	global_store_b64 v[8:9], v[2:3], off
	global_wb scope:SCOPE_SYS
	s_wait_storecnt 0x0
	s_wait_xcnt 0x0
	global_atomic_cmpswap_b64 v[0:1], v10, v[0:3], s[2:3] offset:24 th:TH_ATOMIC_RETURN scope:SCOPE_SYS
	s_wait_loadcnt 0x0
	v_cmp_eq_u64_e32 vcc_lo, v[0:1], v[2:3]
	v_mov_b64_e32 v[2:3], v[0:1]
	s_or_b32 s4, vcc_lo, s4
	s_delay_alu instid0(SALU_CYCLE_1)
	s_and_not1_b32 exec_lo, exec_lo, s4
	s_cbranch_execnz .LBB1_247
.LBB1_248:
	s_or_b32 exec_lo, exec_lo, s6
.LBB1_249:
	v_readfirstlane_b32 s0, v48
	v_mov_b64_e32 v[8:9], 0
	s_delay_alu instid0(VALU_DEP_2)
	v_cmp_eq_u32_e64 s0, s0, v48
	s_and_saveexec_b32 s1, s0
	s_cbranch_execz .LBB1_255
; %bb.250:
	s_wait_loadcnt 0x0
	v_mov_b32_e32 v0, 0
	s_mov_b32 s4, exec_lo
	global_load_b64 v[10:11], v0, s[2:3] offset:24 scope:SCOPE_SYS
	s_wait_loadcnt 0x0
	global_inv scope:SCOPE_SYS
	s_clause 0x1
	global_load_b64 v[2:3], v0, s[2:3] offset:40
	global_load_b64 v[8:9], v0, s[2:3]
	s_wait_loadcnt 0x1
	v_and_b32_e32 v2, v2, v10
	v_and_b32_e32 v3, v3, v11
	s_delay_alu instid0(VALU_DEP_1) | instskip(SKIP_1) | instid1(VALU_DEP_1)
	v_mul_u64_e32 v[2:3], 24, v[2:3]
	s_wait_loadcnt 0x0
	v_add_nc_u64_e32 v[2:3], v[8:9], v[2:3]
	global_load_b64 v[8:9], v[2:3], off scope:SCOPE_SYS
	s_wait_xcnt 0x0
	s_wait_loadcnt 0x0
	global_atomic_cmpswap_b64 v[8:9], v0, v[8:11], s[2:3] offset:24 th:TH_ATOMIC_RETURN scope:SCOPE_SYS
	s_wait_loadcnt 0x0
	global_inv scope:SCOPE_SYS
	s_wait_xcnt 0x0
	v_cmpx_ne_u64_e64 v[8:9], v[10:11]
	s_cbranch_execz .LBB1_254
; %bb.251:
	s_mov_b32 s5, 0
.LBB1_252:                              ; =>This Inner Loop Header: Depth=1
	s_sleep 1
	s_clause 0x1
	global_load_b64 v[2:3], v0, s[2:3] offset:40
	global_load_b64 v[12:13], v0, s[2:3]
	v_mov_b64_e32 v[10:11], v[8:9]
	s_wait_loadcnt 0x1
	s_delay_alu instid0(VALU_DEP_1) | instskip(SKIP_1) | instid1(VALU_DEP_1)
	v_and_b32_e32 v1, v2, v10
	s_wait_loadcnt 0x0
	v_mad_nc_u64_u32 v[8:9], v1, 24, v[12:13]
	s_delay_alu instid0(VALU_DEP_3) | instskip(NEXT) | instid1(VALU_DEP_1)
	v_and_b32_e32 v1, v3, v11
	v_mad_u32 v9, v1, 24, v9
	global_load_b64 v[8:9], v[8:9], off scope:SCOPE_SYS
	s_wait_xcnt 0x0
	s_wait_loadcnt 0x0
	global_atomic_cmpswap_b64 v[8:9], v0, v[8:11], s[2:3] offset:24 th:TH_ATOMIC_RETURN scope:SCOPE_SYS
	s_wait_loadcnt 0x0
	global_inv scope:SCOPE_SYS
	v_cmp_eq_u64_e32 vcc_lo, v[8:9], v[10:11]
	s_or_b32 s5, vcc_lo, s5
	s_wait_xcnt 0x0
	s_and_not1_b32 exec_lo, exec_lo, s5
	s_cbranch_execnz .LBB1_252
; %bb.253:
	s_or_b32 exec_lo, exec_lo, s5
.LBB1_254:
	s_delay_alu instid0(SALU_CYCLE_1)
	s_or_b32 exec_lo, exec_lo, s4
.LBB1_255:
	s_delay_alu instid0(SALU_CYCLE_1)
	s_or_b32 exec_lo, exec_lo, s1
	v_readfirstlane_b32 s4, v8
	v_mov_b32_e32 v31, 0
	v_readfirstlane_b32 s5, v9
	s_mov_b32 s1, exec_lo
	global_load_b64 v[10:11], v31, s[2:3] offset:40
	s_wait_loadcnt 0x1
	global_load_b128 v[0:3], v31, s[2:3]
	s_wait_loadcnt 0x1
	v_and_b32_e32 v8, s4, v10
	v_and_b32_e32 v9, s5, v11
	s_delay_alu instid0(VALU_DEP_1) | instskip(SKIP_1) | instid1(VALU_DEP_1)
	v_mul_u64_e32 v[10:11], 24, v[8:9]
	s_wait_loadcnt 0x0
	v_add_nc_u64_e32 v[10:11], v[0:1], v[10:11]
	s_wait_xcnt 0x0
	s_and_saveexec_b32 s6, s0
	s_cbranch_execz .LBB1_257
; %bb.256:
	v_mov_b64_e32 v[14:15], 0x100000002
	v_dual_mov_b32 v12, s1 :: v_dual_mov_b32 v13, v31
	global_store_b128 v[10:11], v[12:15], off offset:8
.LBB1_257:
	s_wait_xcnt 0x0
	s_or_b32 exec_lo, exec_lo, s6
	v_lshlrev_b64_e32 v[8:9], 12, v[8:9]
	s_mov_b32 s12, 0
	v_and_or_b32 v6, 0xffffff1f, v6, 32
	s_mov_b32 s14, s12
	s_mov_b32 s15, s12
	s_mov_b32 s13, s12
	v_mov_b64_e32 v[16:17], s[14:15]
	v_add_nc_u64_e32 v[12:13], v[2:3], v[8:9]
	v_mov_b64_e32 v[14:15], s[12:13]
	v_dual_mov_b32 v8, 0x331 :: v_dual_mov_b32 v9, v31
	s_delay_alu instid0(VALU_DEP_3) | instskip(NEXT) | instid1(VALU_DEP_4)
	v_readfirstlane_b32 s6, v12
	v_readfirstlane_b32 s7, v13
	s_clause 0x3
	global_store_b128 v30, v[6:9], s[6:7]
	global_store_b128 v30, v[14:17], s[6:7] offset:16
	global_store_b128 v30, v[14:17], s[6:7] offset:32
	;; [unrolled: 1-line block ×3, first 2 shown]
	s_wait_xcnt 0x0
	s_and_saveexec_b32 s1, s0
	s_cbranch_execz .LBB1_265
; %bb.258:
	v_dual_mov_b32 v8, 0 :: v_dual_mov_b32 v15, s5
	s_mov_b32 s6, exec_lo
	s_clause 0x1
	global_load_b64 v[16:17], v8, s[2:3] offset:32 scope:SCOPE_SYS
	global_load_b64 v[2:3], v8, s[2:3] offset:40
	s_wait_loadcnt 0x0
	v_dual_mov_b32 v14, s4 :: v_dual_bitop2_b32 v3, s5, v3 bitop3:0x40
	v_and_b32_e32 v2, s4, v2
	s_delay_alu instid0(VALU_DEP_1) | instskip(NEXT) | instid1(VALU_DEP_1)
	v_mul_u64_e32 v[2:3], 24, v[2:3]
	v_add_nc_u64_e32 v[6:7], v[0:1], v[2:3]
	global_store_b64 v[6:7], v[16:17], off
	global_wb scope:SCOPE_SYS
	s_wait_storecnt 0x0
	s_wait_xcnt 0x0
	global_atomic_cmpswap_b64 v[2:3], v8, v[14:17], s[2:3] offset:32 th:TH_ATOMIC_RETURN scope:SCOPE_SYS
	s_wait_loadcnt 0x0
	v_cmpx_ne_u64_e64 v[2:3], v[16:17]
	s_cbranch_execz .LBB1_261
; %bb.259:
	s_mov_b32 s7, 0
.LBB1_260:                              ; =>This Inner Loop Header: Depth=1
	v_dual_mov_b32 v0, s4 :: v_dual_mov_b32 v1, s5
	s_sleep 1
	global_store_b64 v[6:7], v[2:3], off
	global_wb scope:SCOPE_SYS
	s_wait_storecnt 0x0
	s_wait_xcnt 0x0
	global_atomic_cmpswap_b64 v[0:1], v8, v[0:3], s[2:3] offset:32 th:TH_ATOMIC_RETURN scope:SCOPE_SYS
	s_wait_loadcnt 0x0
	v_cmp_eq_u64_e32 vcc_lo, v[0:1], v[2:3]
	v_mov_b64_e32 v[2:3], v[0:1]
	s_or_b32 s7, vcc_lo, s7
	s_delay_alu instid0(SALU_CYCLE_1)
	s_and_not1_b32 exec_lo, exec_lo, s7
	s_cbranch_execnz .LBB1_260
.LBB1_261:
	s_or_b32 exec_lo, exec_lo, s6
	v_mov_b32_e32 v3, 0
	s_mov_b32 s7, exec_lo
	s_mov_b32 s6, exec_lo
	v_mbcnt_lo_u32_b32 v2, s7, 0
	global_load_b64 v[0:1], v3, s[2:3] offset:16
	s_wait_xcnt 0x0
	v_cmpx_eq_u32_e32 0, v2
	s_cbranch_execz .LBB1_263
; %bb.262:
	s_bcnt1_i32_b32 s7, s7
	s_delay_alu instid0(SALU_CYCLE_1)
	v_mov_b32_e32 v2, s7
	global_wb scope:SCOPE_SYS
	s_wait_loadcnt 0x0
	s_wait_storecnt 0x0
	global_atomic_add_u64 v[0:1], v[2:3], off offset:8 scope:SCOPE_SYS
.LBB1_263:
	s_wait_xcnt 0x0
	s_or_b32 exec_lo, exec_lo, s6
	s_wait_loadcnt 0x0
	global_load_b64 v[2:3], v[0:1], off offset:16
	s_wait_loadcnt 0x0
	v_cmp_eq_u64_e32 vcc_lo, 0, v[2:3]
	s_cbranch_vccnz .LBB1_265
; %bb.264:
	global_load_b32 v0, v[0:1], off offset:24
	s_wait_xcnt 0x0
	v_mov_b32_e32 v1, 0
	s_wait_loadcnt 0x0
	v_readfirstlane_b32 s6, v0
	global_wb scope:SCOPE_SYS
	s_wait_storecnt 0x0
	global_store_b64 v[2:3], v[0:1], off scope:SCOPE_SYS
	s_and_b32 m0, s6, 0xffffff
	s_sendmsg sendmsg(MSG_INTERRUPT)
.LBB1_265:
	s_wait_xcnt 0x0
	s_or_b32 exec_lo, exec_lo, s1
	v_add_nc_u64_e32 v[0:1], v[12:13], v[30:31]
	s_branch .LBB1_269
.LBB1_266:                              ;   in Loop: Header=BB1_269 Depth=1
	s_wait_xcnt 0x0
	s_or_b32 exec_lo, exec_lo, s1
	s_delay_alu instid0(VALU_DEP_1)
	v_readfirstlane_b32 s1, v2
	s_cmp_eq_u32 s1, 0
	s_cbranch_scc1 .LBB1_268
; %bb.267:                              ;   in Loop: Header=BB1_269 Depth=1
	s_sleep 1
	s_cbranch_execnz .LBB1_269
	s_branch .LBB1_271
.LBB1_268:
	s_branch .LBB1_271
.LBB1_269:                              ; =>This Inner Loop Header: Depth=1
	v_mov_b32_e32 v2, 1
	s_and_saveexec_b32 s1, s0
	s_cbranch_execz .LBB1_266
; %bb.270:                              ;   in Loop: Header=BB1_269 Depth=1
	global_load_b32 v2, v[10:11], off offset:20 scope:SCOPE_SYS
	s_wait_loadcnt 0x0
	global_inv scope:SCOPE_SYS
	v_and_b32_e32 v2, 1, v2
	s_branch .LBB1_266
.LBB1_271:
	global_load_b64 v[0:1], v[0:1], off
	s_wait_xcnt 0x0
	s_and_saveexec_b32 s6, s0
	s_cbranch_execz .LBB1_275
; %bb.272:
	v_mov_b32_e32 v10, 0
	s_clause 0x2
	global_load_b64 v[2:3], v10, s[2:3] offset:40
	global_load_b64 v[14:15], v10, s[2:3] offset:24 scope:SCOPE_SYS
	global_load_b64 v[6:7], v10, s[2:3]
	s_wait_loadcnt 0x2
	v_readfirstlane_b32 s10, v2
	v_readfirstlane_b32 s11, v3
	s_add_nc_u64 s[0:1], s[10:11], 1
	s_delay_alu instid0(SALU_CYCLE_1) | instskip(NEXT) | instid1(SALU_CYCLE_1)
	s_add_nc_u64 s[4:5], s[0:1], s[4:5]
	s_cmp_eq_u64 s[4:5], 0
	s_cselect_b32 s1, s1, s5
	s_cselect_b32 s0, s0, s4
	v_mov_b32_e32 v13, s1
	s_and_b64 s[4:5], s[0:1], s[10:11]
	v_mov_b32_e32 v12, s0
	s_mul_u64 s[4:5], s[4:5], 24
	s_wait_loadcnt 0x0
	v_add_nc_u64_e32 v[2:3], s[4:5], v[6:7]
	global_store_b64 v[2:3], v[14:15], off
	global_wb scope:SCOPE_SYS
	s_wait_storecnt 0x0
	s_wait_xcnt 0x0
	global_atomic_cmpswap_b64 v[8:9], v10, v[12:15], s[2:3] offset:24 th:TH_ATOMIC_RETURN scope:SCOPE_SYS
	s_wait_loadcnt 0x0
	v_cmp_ne_u64_e32 vcc_lo, v[8:9], v[14:15]
	s_and_b32 exec_lo, exec_lo, vcc_lo
	s_cbranch_execz .LBB1_275
; %bb.273:
	s_mov_b32 s4, 0
.LBB1_274:                              ; =>This Inner Loop Header: Depth=1
	v_dual_mov_b32 v6, s0 :: v_dual_mov_b32 v7, s1
	s_sleep 1
	global_store_b64 v[2:3], v[8:9], off
	global_wb scope:SCOPE_SYS
	s_wait_storecnt 0x0
	s_wait_xcnt 0x0
	global_atomic_cmpswap_b64 v[6:7], v10, v[6:9], s[2:3] offset:24 th:TH_ATOMIC_RETURN scope:SCOPE_SYS
	s_wait_loadcnt 0x0
	v_cmp_eq_u64_e32 vcc_lo, v[6:7], v[8:9]
	v_mov_b64_e32 v[8:9], v[6:7]
	s_or_b32 s4, vcc_lo, s4
	s_delay_alu instid0(SALU_CYCLE_1)
	s_and_not1_b32 exec_lo, exec_lo, s4
	s_cbranch_execnz .LBB1_274
.LBB1_275:
	s_or_b32 exec_lo, exec_lo, s6
	v_mov_b64_e32 v[2:3], v[4:5]
	s_mov_b32 s0, 0
.LBB1_276:                              ; =>This Inner Loop Header: Depth=1
	global_load_u8 v6, v[2:3], off
	s_wait_xcnt 0x0
	v_add_nc_u64_e32 v[2:3], 1, v[2:3]
	s_wait_loadcnt 0x0
	v_cmp_eq_u16_e32 vcc_lo, 0, v6
	s_or_b32 s0, vcc_lo, s0
	s_delay_alu instid0(SALU_CYCLE_1)
	s_and_not1_b32 exec_lo, exec_lo, s0
	s_cbranch_execnz .LBB1_276
; %bb.277:
	s_or_b32 exec_lo, exec_lo, s0
	s_delay_alu instid0(SALU_CYCLE_1)
	s_mov_b32 s0, exec_lo
	v_cmpx_ne_u64_e32 0, v[4:5]
	s_xor_b32 s6, exec_lo, s0
	s_cbranch_execz .LBB1_363
; %bb.278:
	v_dual_mov_b32 v31, 0 :: v_dual_sub_nc_u32 v26, v2, v4
	v_mov_b64_e32 v[8:9], 0x100000002
	v_and_b32_e32 v28, 2, v0
	s_delay_alu instid0(VALU_DEP_3)
	v_dual_ashrrev_i32 v27, 31, v26 :: v_dual_bitop2_b32 v0, -3, v0 bitop3:0x40
	s_mov_b32 s10, 0
	s_mov_b32 s7, 0
	s_branch .LBB1_280
.LBB1_279:                              ;   in Loop: Header=BB1_280 Depth=1
	s_or_b32 exec_lo, exec_lo, s11
	v_sub_nc_u64_e32 v[26:27], v[26:27], v[32:33]
	v_add_nc_u64_e32 v[4:5], v[4:5], v[32:33]
	s_delay_alu instid0(VALU_DEP_2) | instskip(SKIP_1) | instid1(SALU_CYCLE_1)
	v_cmp_eq_u64_e32 vcc_lo, 0, v[26:27]
	s_or_b32 s7, vcc_lo, s7
	s_and_not1_b32 exec_lo, exec_lo, s7
	s_cbranch_execz .LBB1_362
.LBB1_280:                              ; =>This Loop Header: Depth=1
                                        ;     Child Loop BB1_283 Depth 2
                                        ;     Child Loop BB1_291 Depth 2
	;; [unrolled: 1-line block ×11, first 2 shown]
	s_delay_alu instid0(VALU_DEP_1) | instskip(NEXT) | instid1(VALU_DEP_3)
	v_min_u64 v[32:33], v[26:27], 56
	v_add_nc_u64_e32 v[12:13], 8, v[4:5]
	s_mov_b32 s0, exec_lo
	v_cmpx_gt_u64_e32 8, v[26:27]
	s_xor_b32 s4, exec_lo, s0
	s_cbranch_execz .LBB1_286
; %bb.281:                              ;   in Loop: Header=BB1_280 Depth=1
	v_mov_b64_e32 v[2:3], 0
	s_mov_b32 s5, exec_lo
	v_cmpx_ne_u64_e32 0, v[26:27]
	s_cbranch_execz .LBB1_285
; %bb.282:                              ;   in Loop: Header=BB1_280 Depth=1
	v_mov_b64_e32 v[2:3], 0
	v_mov_b64_e32 v[10:11], v[4:5]
	v_lshlrev_b32_e32 v6, 3, v32
	s_mov_b64 s[0:1], 0
	s_mov_b32 s11, 0
.LBB1_283:                              ;   Parent Loop BB1_280 Depth=1
                                        ; =>  This Inner Loop Header: Depth=2
	global_load_u8 v7, v[10:11], off
	v_mov_b32_e32 v13, s10
	s_wait_xcnt 0x0
	v_add_nc_u64_e32 v[10:11], 1, v[10:11]
	s_wait_loadcnt 0x0
	v_and_b32_e32 v12, 0xffff, v7
	s_delay_alu instid0(VALU_DEP_1) | instskip(SKIP_1) | instid1(SALU_CYCLE_1)
	v_lshlrev_b64_e32 v[12:13], s0, v[12:13]
	s_add_nc_u64 s[0:1], s[0:1], 8
	v_cmp_eq_u32_e32 vcc_lo, s0, v6
	s_delay_alu instid0(VALU_DEP_2) | instskip(NEXT) | instid1(VALU_DEP_3)
	v_or_b32_e32 v3, v13, v3
	v_or_b32_e32 v2, v12, v2
	s_or_b32 s11, vcc_lo, s11
	s_delay_alu instid0(SALU_CYCLE_1)
	s_and_not1_b32 exec_lo, exec_lo, s11
	s_cbranch_execnz .LBB1_283
; %bb.284:                              ;   in Loop: Header=BB1_280 Depth=1
	s_or_b32 exec_lo, exec_lo, s11
.LBB1_285:                              ;   in Loop: Header=BB1_280 Depth=1
	s_delay_alu instid0(SALU_CYCLE_1)
	s_or_b32 exec_lo, exec_lo, s5
	v_mov_b64_e32 v[12:13], v[4:5]
.LBB1_286:                              ;   in Loop: Header=BB1_280 Depth=1
	s_or_saveexec_b32 s0, s4
	v_mov_b32_e32 v14, 0
	s_xor_b32 exec_lo, exec_lo, s0
	s_cbranch_execz .LBB1_288
; %bb.287:                              ;   in Loop: Header=BB1_280 Depth=1
	global_load_b64 v[2:3], v[4:5], off
	v_add_nc_u32_e32 v14, -8, v32
.LBB1_288:                              ;   in Loop: Header=BB1_280 Depth=1
	s_wait_xcnt 0x0
	s_or_b32 exec_lo, exec_lo, s0
	v_add_nc_u64_e32 v[6:7], 8, v[12:13]
                                        ; implicit-def: $vgpr10_vgpr11
	s_mov_b32 s0, exec_lo
	v_cmpx_gt_u32_e32 8, v14
	s_xor_b32 s11, exec_lo, s0
	s_cbranch_execz .LBB1_294
; %bb.289:                              ;   in Loop: Header=BB1_280 Depth=1
	v_mov_b64_e32 v[10:11], 0
	s_mov_b32 s12, exec_lo
	v_cmpx_ne_u32_e32 0, v14
	s_cbranch_execz .LBB1_293
; %bb.290:                              ;   in Loop: Header=BB1_280 Depth=1
	v_mov_b64_e32 v[10:11], 0
	s_mov_b64 s[0:1], 0
	s_mov_b32 s13, 0
	s_mov_b64 s[4:5], 0
.LBB1_291:                              ;   Parent Loop BB1_280 Depth=1
                                        ; =>  This Inner Loop Header: Depth=2
	s_delay_alu instid0(SALU_CYCLE_1) | instskip(SKIP_1) | instid1(SALU_CYCLE_1)
	v_add_nc_u64_e32 v[6:7], s[4:5], v[12:13]
	s_add_nc_u64 s[4:5], s[4:5], 1
	v_cmp_eq_u32_e32 vcc_lo, s4, v14
	global_load_u8 v6, v[6:7], off
	s_wait_xcnt 0x0
	v_mov_b32_e32 v7, s10
	s_or_b32 s13, vcc_lo, s13
	s_wait_loadcnt 0x0
	v_and_b32_e32 v6, 0xffff, v6
	s_delay_alu instid0(VALU_DEP_1) | instskip(SKIP_1) | instid1(VALU_DEP_1)
	v_lshlrev_b64_e32 v[6:7], s0, v[6:7]
	s_add_nc_u64 s[0:1], s[0:1], 8
	v_or_b32_e32 v11, v7, v11
	s_delay_alu instid0(VALU_DEP_2)
	v_or_b32_e32 v10, v6, v10
	s_and_not1_b32 exec_lo, exec_lo, s13
	s_cbranch_execnz .LBB1_291
; %bb.292:                              ;   in Loop: Header=BB1_280 Depth=1
	s_or_b32 exec_lo, exec_lo, s13
.LBB1_293:                              ;   in Loop: Header=BB1_280 Depth=1
	s_delay_alu instid0(SALU_CYCLE_1)
	s_or_b32 exec_lo, exec_lo, s12
	v_mov_b64_e32 v[6:7], v[12:13]
                                        ; implicit-def: $vgpr14
.LBB1_294:                              ;   in Loop: Header=BB1_280 Depth=1
	s_or_saveexec_b32 s0, s11
	v_mov_b32_e32 v15, 0
	s_xor_b32 exec_lo, exec_lo, s0
	s_cbranch_execz .LBB1_296
; %bb.295:                              ;   in Loop: Header=BB1_280 Depth=1
	global_load_b64 v[10:11], v[12:13], off
	v_add_nc_u32_e32 v15, -8, v14
.LBB1_296:                              ;   in Loop: Header=BB1_280 Depth=1
	s_wait_xcnt 0x0
	s_or_b32 exec_lo, exec_lo, s0
	v_add_nc_u64_e32 v[16:17], 8, v[6:7]
	s_mov_b32 s0, exec_lo
	v_cmpx_gt_u32_e32 8, v15
	s_xor_b32 s11, exec_lo, s0
	s_cbranch_execz .LBB1_302
; %bb.297:                              ;   in Loop: Header=BB1_280 Depth=1
	v_mov_b64_e32 v[12:13], 0
	s_mov_b32 s12, exec_lo
	v_cmpx_ne_u32_e32 0, v15
	s_cbranch_execz .LBB1_301
; %bb.298:                              ;   in Loop: Header=BB1_280 Depth=1
	v_mov_b64_e32 v[12:13], 0
	s_mov_b64 s[0:1], 0
	s_mov_b32 s13, 0
	s_mov_b64 s[4:5], 0
.LBB1_299:                              ;   Parent Loop BB1_280 Depth=1
                                        ; =>  This Inner Loop Header: Depth=2
	s_delay_alu instid0(SALU_CYCLE_1) | instskip(SKIP_1) | instid1(SALU_CYCLE_1)
	v_add_nc_u64_e32 v[16:17], s[4:5], v[6:7]
	s_add_nc_u64 s[4:5], s[4:5], 1
	v_cmp_eq_u32_e32 vcc_lo, s4, v15
	global_load_u8 v14, v[16:17], off
	s_wait_xcnt 0x0
	v_mov_b32_e32 v17, s10
	s_or_b32 s13, vcc_lo, s13
	s_wait_loadcnt 0x0
	v_and_b32_e32 v16, 0xffff, v14
	s_delay_alu instid0(VALU_DEP_1) | instskip(SKIP_1) | instid1(VALU_DEP_1)
	v_lshlrev_b64_e32 v[16:17], s0, v[16:17]
	s_add_nc_u64 s[0:1], s[0:1], 8
	v_or_b32_e32 v13, v17, v13
	s_delay_alu instid0(VALU_DEP_2)
	v_or_b32_e32 v12, v16, v12
	s_and_not1_b32 exec_lo, exec_lo, s13
	s_cbranch_execnz .LBB1_299
; %bb.300:                              ;   in Loop: Header=BB1_280 Depth=1
	s_or_b32 exec_lo, exec_lo, s13
.LBB1_301:                              ;   in Loop: Header=BB1_280 Depth=1
	s_delay_alu instid0(SALU_CYCLE_1)
	s_or_b32 exec_lo, exec_lo, s12
	v_mov_b64_e32 v[16:17], v[6:7]
                                        ; implicit-def: $vgpr15
.LBB1_302:                              ;   in Loop: Header=BB1_280 Depth=1
	s_or_saveexec_b32 s0, s11
	v_mov_b32_e32 v18, 0
	s_xor_b32 exec_lo, exec_lo, s0
	s_cbranch_execz .LBB1_304
; %bb.303:                              ;   in Loop: Header=BB1_280 Depth=1
	global_load_b64 v[12:13], v[6:7], off
	v_add_nc_u32_e32 v18, -8, v15
.LBB1_304:                              ;   in Loop: Header=BB1_280 Depth=1
	s_wait_xcnt 0x0
	s_or_b32 exec_lo, exec_lo, s0
	v_add_nc_u64_e32 v[6:7], 8, v[16:17]
                                        ; implicit-def: $vgpr14_vgpr15
	s_mov_b32 s0, exec_lo
	v_cmpx_gt_u32_e32 8, v18
	s_xor_b32 s11, exec_lo, s0
	s_cbranch_execz .LBB1_310
; %bb.305:                              ;   in Loop: Header=BB1_280 Depth=1
	v_mov_b64_e32 v[14:15], 0
	s_mov_b32 s12, exec_lo
	v_cmpx_ne_u32_e32 0, v18
	s_cbranch_execz .LBB1_309
; %bb.306:                              ;   in Loop: Header=BB1_280 Depth=1
	v_mov_b64_e32 v[14:15], 0
	s_mov_b64 s[0:1], 0
	s_mov_b32 s13, 0
	s_mov_b64 s[4:5], 0
.LBB1_307:                              ;   Parent Loop BB1_280 Depth=1
                                        ; =>  This Inner Loop Header: Depth=2
	s_delay_alu instid0(SALU_CYCLE_1) | instskip(SKIP_1) | instid1(SALU_CYCLE_1)
	v_add_nc_u64_e32 v[6:7], s[4:5], v[16:17]
	s_add_nc_u64 s[4:5], s[4:5], 1
	v_cmp_eq_u32_e32 vcc_lo, s4, v18
	global_load_u8 v6, v[6:7], off
	s_wait_xcnt 0x0
	v_mov_b32_e32 v7, s10
	s_or_b32 s13, vcc_lo, s13
	s_wait_loadcnt 0x0
	v_and_b32_e32 v6, 0xffff, v6
	s_delay_alu instid0(VALU_DEP_1) | instskip(SKIP_1) | instid1(VALU_DEP_1)
	v_lshlrev_b64_e32 v[6:7], s0, v[6:7]
	s_add_nc_u64 s[0:1], s[0:1], 8
	v_or_b32_e32 v15, v7, v15
	s_delay_alu instid0(VALU_DEP_2)
	v_or_b32_e32 v14, v6, v14
	s_and_not1_b32 exec_lo, exec_lo, s13
	s_cbranch_execnz .LBB1_307
; %bb.308:                              ;   in Loop: Header=BB1_280 Depth=1
	s_or_b32 exec_lo, exec_lo, s13
.LBB1_309:                              ;   in Loop: Header=BB1_280 Depth=1
	s_delay_alu instid0(SALU_CYCLE_1)
	s_or_b32 exec_lo, exec_lo, s12
	v_mov_b64_e32 v[6:7], v[16:17]
                                        ; implicit-def: $vgpr18
.LBB1_310:                              ;   in Loop: Header=BB1_280 Depth=1
	s_or_saveexec_b32 s0, s11
	v_mov_b32_e32 v19, 0
	s_xor_b32 exec_lo, exec_lo, s0
	s_cbranch_execz .LBB1_312
; %bb.311:                              ;   in Loop: Header=BB1_280 Depth=1
	global_load_b64 v[14:15], v[16:17], off
	v_add_nc_u32_e32 v19, -8, v18
.LBB1_312:                              ;   in Loop: Header=BB1_280 Depth=1
	s_wait_xcnt 0x0
	s_or_b32 exec_lo, exec_lo, s0
	v_add_nc_u64_e32 v[20:21], 8, v[6:7]
	s_mov_b32 s0, exec_lo
	v_cmpx_gt_u32_e32 8, v19
	s_xor_b32 s11, exec_lo, s0
	s_cbranch_execz .LBB1_318
; %bb.313:                              ;   in Loop: Header=BB1_280 Depth=1
	v_mov_b64_e32 v[16:17], 0
	s_mov_b32 s12, exec_lo
	v_cmpx_ne_u32_e32 0, v19
	s_cbranch_execz .LBB1_317
; %bb.314:                              ;   in Loop: Header=BB1_280 Depth=1
	v_mov_b64_e32 v[16:17], 0
	s_mov_b64 s[0:1], 0
	s_mov_b32 s13, 0
	s_mov_b64 s[4:5], 0
.LBB1_315:                              ;   Parent Loop BB1_280 Depth=1
                                        ; =>  This Inner Loop Header: Depth=2
	s_delay_alu instid0(SALU_CYCLE_1) | instskip(SKIP_1) | instid1(SALU_CYCLE_1)
	v_add_nc_u64_e32 v[20:21], s[4:5], v[6:7]
	s_add_nc_u64 s[4:5], s[4:5], 1
	v_cmp_eq_u32_e32 vcc_lo, s4, v19
	global_load_u8 v18, v[20:21], off
	s_wait_xcnt 0x0
	v_mov_b32_e32 v21, s10
	s_or_b32 s13, vcc_lo, s13
	s_wait_loadcnt 0x0
	v_and_b32_e32 v20, 0xffff, v18
	s_delay_alu instid0(VALU_DEP_1) | instskip(SKIP_1) | instid1(VALU_DEP_1)
	v_lshlrev_b64_e32 v[20:21], s0, v[20:21]
	s_add_nc_u64 s[0:1], s[0:1], 8
	v_or_b32_e32 v17, v21, v17
	s_delay_alu instid0(VALU_DEP_2)
	v_or_b32_e32 v16, v20, v16
	s_and_not1_b32 exec_lo, exec_lo, s13
	s_cbranch_execnz .LBB1_315
; %bb.316:                              ;   in Loop: Header=BB1_280 Depth=1
	s_or_b32 exec_lo, exec_lo, s13
.LBB1_317:                              ;   in Loop: Header=BB1_280 Depth=1
	s_delay_alu instid0(SALU_CYCLE_1)
	s_or_b32 exec_lo, exec_lo, s12
	v_mov_b64_e32 v[20:21], v[6:7]
                                        ; implicit-def: $vgpr19
.LBB1_318:                              ;   in Loop: Header=BB1_280 Depth=1
	s_or_saveexec_b32 s0, s11
	v_mov_b32_e32 v22, 0
	s_xor_b32 exec_lo, exec_lo, s0
	s_cbranch_execz .LBB1_320
; %bb.319:                              ;   in Loop: Header=BB1_280 Depth=1
	global_load_b64 v[16:17], v[6:7], off
	v_add_nc_u32_e32 v22, -8, v19
.LBB1_320:                              ;   in Loop: Header=BB1_280 Depth=1
	s_wait_xcnt 0x0
	s_or_b32 exec_lo, exec_lo, s0
	v_add_nc_u64_e32 v[6:7], 8, v[20:21]
                                        ; implicit-def: $vgpr18_vgpr19
	s_mov_b32 s0, exec_lo
	v_cmpx_gt_u32_e32 8, v22
	s_xor_b32 s11, exec_lo, s0
	s_cbranch_execz .LBB1_326
; %bb.321:                              ;   in Loop: Header=BB1_280 Depth=1
	v_mov_b64_e32 v[18:19], 0
	s_mov_b32 s12, exec_lo
	v_cmpx_ne_u32_e32 0, v22
	s_cbranch_execz .LBB1_325
; %bb.322:                              ;   in Loop: Header=BB1_280 Depth=1
	v_mov_b64_e32 v[18:19], 0
	s_mov_b64 s[0:1], 0
	s_mov_b32 s13, 0
	s_mov_b64 s[4:5], 0
.LBB1_323:                              ;   Parent Loop BB1_280 Depth=1
                                        ; =>  This Inner Loop Header: Depth=2
	s_delay_alu instid0(SALU_CYCLE_1) | instskip(SKIP_1) | instid1(SALU_CYCLE_1)
	v_add_nc_u64_e32 v[6:7], s[4:5], v[20:21]
	s_add_nc_u64 s[4:5], s[4:5], 1
	v_cmp_eq_u32_e32 vcc_lo, s4, v22
	global_load_u8 v6, v[6:7], off
	s_wait_xcnt 0x0
	v_mov_b32_e32 v7, s10
	s_or_b32 s13, vcc_lo, s13
	s_wait_loadcnt 0x0
	v_and_b32_e32 v6, 0xffff, v6
	s_delay_alu instid0(VALU_DEP_1) | instskip(SKIP_1) | instid1(VALU_DEP_1)
	v_lshlrev_b64_e32 v[6:7], s0, v[6:7]
	s_add_nc_u64 s[0:1], s[0:1], 8
	v_or_b32_e32 v19, v7, v19
	s_delay_alu instid0(VALU_DEP_2)
	v_or_b32_e32 v18, v6, v18
	s_and_not1_b32 exec_lo, exec_lo, s13
	s_cbranch_execnz .LBB1_323
; %bb.324:                              ;   in Loop: Header=BB1_280 Depth=1
	s_or_b32 exec_lo, exec_lo, s13
.LBB1_325:                              ;   in Loop: Header=BB1_280 Depth=1
	s_delay_alu instid0(SALU_CYCLE_1)
	s_or_b32 exec_lo, exec_lo, s12
	v_mov_b64_e32 v[6:7], v[20:21]
                                        ; implicit-def: $vgpr22
.LBB1_326:                              ;   in Loop: Header=BB1_280 Depth=1
	s_or_saveexec_b32 s0, s11
	v_mov_b32_e32 v23, 0
	s_xor_b32 exec_lo, exec_lo, s0
	s_cbranch_execz .LBB1_328
; %bb.327:                              ;   in Loop: Header=BB1_280 Depth=1
	global_load_b64 v[18:19], v[20:21], off
	v_add_nc_u32_e32 v23, -8, v22
.LBB1_328:                              ;   in Loop: Header=BB1_280 Depth=1
	s_wait_xcnt 0x0
	s_or_b32 exec_lo, exec_lo, s0
	s_delay_alu instid0(SALU_CYCLE_1) | instskip(NEXT) | instid1(VALU_DEP_1)
	s_mov_b32 s0, exec_lo
	v_cmpx_gt_u32_e32 8, v23
	s_xor_b32 s4, exec_lo, s0
	s_cbranch_execz .LBB1_334
; %bb.329:                              ;   in Loop: Header=BB1_280 Depth=1
	v_mov_b64_e32 v[20:21], 0
	s_mov_b32 s5, exec_lo
	v_cmpx_ne_u32_e32 0, v23
	s_cbranch_execz .LBB1_333
; %bb.330:                              ;   in Loop: Header=BB1_280 Depth=1
	v_mov_b64_e32 v[20:21], 0
	s_mov_b64 s[0:1], 0
	s_mov_b32 s11, 0
.LBB1_331:                              ;   Parent Loop BB1_280 Depth=1
                                        ; =>  This Inner Loop Header: Depth=2
	global_load_u8 v22, v[6:7], off
	v_dual_mov_b32 v25, s10 :: v_dual_add_nc_u32 v23, -1, v23
	s_wait_xcnt 0x0
	v_add_nc_u64_e32 v[6:7], 1, v[6:7]
	s_delay_alu instid0(VALU_DEP_2) | instskip(SKIP_3) | instid1(VALU_DEP_1)
	v_cmp_eq_u32_e32 vcc_lo, 0, v23
	s_or_b32 s11, vcc_lo, s11
	s_wait_loadcnt 0x0
	v_and_b32_e32 v24, 0xffff, v22
	v_lshlrev_b64_e32 v[24:25], s0, v[24:25]
	s_add_nc_u64 s[0:1], s[0:1], 8
	s_delay_alu instid0(VALU_DEP_1) | instskip(NEXT) | instid1(VALU_DEP_2)
	v_or_b32_e32 v21, v25, v21
	v_or_b32_e32 v20, v24, v20
	s_and_not1_b32 exec_lo, exec_lo, s11
	s_cbranch_execnz .LBB1_331
; %bb.332:                              ;   in Loop: Header=BB1_280 Depth=1
	s_or_b32 exec_lo, exec_lo, s11
.LBB1_333:                              ;   in Loop: Header=BB1_280 Depth=1
	s_delay_alu instid0(SALU_CYCLE_1)
	s_or_b32 exec_lo, exec_lo, s5
                                        ; implicit-def: $vgpr6_vgpr7
.LBB1_334:                              ;   in Loop: Header=BB1_280 Depth=1
	s_and_not1_saveexec_b32 s0, s4
	s_cbranch_execz .LBB1_336
; %bb.335:                              ;   in Loop: Header=BB1_280 Depth=1
	global_load_b64 v[20:21], v[6:7], off
.LBB1_336:                              ;   in Loop: Header=BB1_280 Depth=1
	s_wait_xcnt 0x0
	s_or_b32 exec_lo, exec_lo, s0
	v_readfirstlane_b32 s0, v48
	v_mov_b64_e32 v[6:7], 0
	s_delay_alu instid0(VALU_DEP_2)
	v_cmp_eq_u32_e64 s0, s0, v48
	s_and_saveexec_b32 s1, s0
	s_cbranch_execz .LBB1_342
; %bb.337:                              ;   in Loop: Header=BB1_280 Depth=1
	global_load_b64 v[24:25], v31, s[2:3] offset:24 scope:SCOPE_SYS
	s_wait_loadcnt 0x0
	global_inv scope:SCOPE_SYS
	s_clause 0x1
	global_load_b64 v[6:7], v31, s[2:3] offset:40
	global_load_b64 v[22:23], v31, s[2:3]
	s_mov_b32 s4, exec_lo
	s_wait_loadcnt 0x1
	v_and_b32_e32 v6, v6, v24
	v_and_b32_e32 v7, v7, v25
	s_delay_alu instid0(VALU_DEP_1) | instskip(SKIP_1) | instid1(VALU_DEP_1)
	v_mul_u64_e32 v[6:7], 24, v[6:7]
	s_wait_loadcnt 0x0
	v_add_nc_u64_e32 v[6:7], v[22:23], v[6:7]
	global_load_b64 v[22:23], v[6:7], off scope:SCOPE_SYS
	s_wait_xcnt 0x0
	s_wait_loadcnt 0x0
	global_atomic_cmpswap_b64 v[6:7], v31, v[22:25], s[2:3] offset:24 th:TH_ATOMIC_RETURN scope:SCOPE_SYS
	s_wait_loadcnt 0x0
	global_inv scope:SCOPE_SYS
	s_wait_xcnt 0x0
	v_cmpx_ne_u64_e64 v[6:7], v[24:25]
	s_cbranch_execz .LBB1_341
; %bb.338:                              ;   in Loop: Header=BB1_280 Depth=1
	s_mov_b32 s5, 0
.LBB1_339:                              ;   Parent Loop BB1_280 Depth=1
                                        ; =>  This Inner Loop Header: Depth=2
	s_sleep 1
	s_clause 0x1
	global_load_b64 v[22:23], v31, s[2:3] offset:40
	global_load_b64 v[34:35], v31, s[2:3]
	v_mov_b64_e32 v[24:25], v[6:7]
	s_wait_loadcnt 0x1
	s_delay_alu instid0(VALU_DEP_1) | instskip(NEXT) | instid1(VALU_DEP_2)
	v_and_b32_e32 v6, v22, v24
	v_and_b32_e32 v22, v23, v25
	s_wait_loadcnt 0x0
	s_delay_alu instid0(VALU_DEP_2) | instskip(NEXT) | instid1(VALU_DEP_1)
	v_mad_nc_u64_u32 v[6:7], v6, 24, v[34:35]
	v_mad_u32 v7, v22, 24, v7
	global_load_b64 v[22:23], v[6:7], off scope:SCOPE_SYS
	s_wait_xcnt 0x0
	s_wait_loadcnt 0x0
	global_atomic_cmpswap_b64 v[6:7], v31, v[22:25], s[2:3] offset:24 th:TH_ATOMIC_RETURN scope:SCOPE_SYS
	s_wait_loadcnt 0x0
	global_inv scope:SCOPE_SYS
	v_cmp_eq_u64_e32 vcc_lo, v[6:7], v[24:25]
	s_or_b32 s5, vcc_lo, s5
	s_wait_xcnt 0x0
	s_and_not1_b32 exec_lo, exec_lo, s5
	s_cbranch_execnz .LBB1_339
; %bb.340:                              ;   in Loop: Header=BB1_280 Depth=1
	s_or_b32 exec_lo, exec_lo, s5
.LBB1_341:                              ;   in Loop: Header=BB1_280 Depth=1
	s_delay_alu instid0(SALU_CYCLE_1)
	s_or_b32 exec_lo, exec_lo, s4
.LBB1_342:                              ;   in Loop: Header=BB1_280 Depth=1
	s_delay_alu instid0(SALU_CYCLE_1)
	s_or_b32 exec_lo, exec_lo, s1
	s_clause 0x1
	global_load_b64 v[34:35], v31, s[2:3] offset:40
	global_load_b128 v[22:25], v31, s[2:3]
	v_readfirstlane_b32 s4, v6
	v_readfirstlane_b32 s5, v7
	s_mov_b32 s1, exec_lo
	s_wait_loadcnt 0x1
	v_and_b32_e32 v36, s4, v34
	v_and_b32_e32 v37, s5, v35
	s_delay_alu instid0(VALU_DEP_1) | instskip(SKIP_1) | instid1(VALU_DEP_1)
	v_mul_u64_e32 v[6:7], 24, v[36:37]
	s_wait_loadcnt 0x0
	v_add_nc_u64_e32 v[34:35], v[22:23], v[6:7]
	s_wait_xcnt 0x0
	s_and_saveexec_b32 s11, s0
	s_cbranch_execz .LBB1_344
; %bb.343:                              ;   in Loop: Header=BB1_280 Depth=1
	v_dual_mov_b32 v6, s1 :: v_dual_mov_b32 v7, v31
	global_store_b128 v[34:35], v[6:9], off offset:8
.LBB1_344:                              ;   in Loop: Header=BB1_280 Depth=1
	s_wait_xcnt 0x0
	s_or_b32 exec_lo, exec_lo, s11
	v_cmp_gt_u64_e32 vcc_lo, 57, v[26:27]
	v_lshlrev_b64_e32 v[6:7], 12, v[36:37]
	v_and_b32_e32 v0, 0xffffff1f, v0
	v_lshl_add_u32 v36, v32, 2, 28
	v_cndmask_b32_e32 v29, 0, v28, vcc_lo
	s_delay_alu instid0(VALU_DEP_4) | instskip(NEXT) | instid1(VALU_DEP_2)
	v_add_nc_u64_e32 v[6:7], v[24:25], v[6:7]
	v_or_b32_e32 v0, v0, v29
	s_delay_alu instid0(VALU_DEP_2) | instskip(NEXT) | instid1(VALU_DEP_3)
	v_readfirstlane_b32 s12, v6
	v_readfirstlane_b32 s13, v7
	s_delay_alu instid0(VALU_DEP_3)
	v_and_or_b32 v0, 0x1e0, v36, v0
	s_clause 0x3
	global_store_b128 v30, v[0:3], s[12:13]
	global_store_b128 v30, v[10:13], s[12:13] offset:16
	global_store_b128 v30, v[14:17], s[12:13] offset:32
	;; [unrolled: 1-line block ×3, first 2 shown]
	s_wait_xcnt 0x0
	s_and_saveexec_b32 s1, s0
	s_cbranch_execz .LBB1_352
; %bb.345:                              ;   in Loop: Header=BB1_280 Depth=1
	s_clause 0x1
	global_load_b64 v[14:15], v31, s[2:3] offset:32 scope:SCOPE_SYS
	global_load_b64 v[0:1], v31, s[2:3] offset:40
	s_mov_b32 s11, exec_lo
	v_dual_mov_b32 v12, s4 :: v_dual_mov_b32 v13, s5
	s_wait_loadcnt 0x0
	v_and_b32_e32 v1, s5, v1
	v_and_b32_e32 v0, s4, v0
	s_delay_alu instid0(VALU_DEP_1) | instskip(NEXT) | instid1(VALU_DEP_1)
	v_mul_u64_e32 v[0:1], 24, v[0:1]
	v_add_nc_u64_e32 v[10:11], v[22:23], v[0:1]
	global_store_b64 v[10:11], v[14:15], off
	global_wb scope:SCOPE_SYS
	s_wait_storecnt 0x0
	s_wait_xcnt 0x0
	global_atomic_cmpswap_b64 v[2:3], v31, v[12:15], s[2:3] offset:32 th:TH_ATOMIC_RETURN scope:SCOPE_SYS
	s_wait_loadcnt 0x0
	v_cmpx_ne_u64_e64 v[2:3], v[14:15]
	s_cbranch_execz .LBB1_348
; %bb.346:                              ;   in Loop: Header=BB1_280 Depth=1
	s_mov_b32 s12, 0
.LBB1_347:                              ;   Parent Loop BB1_280 Depth=1
                                        ; =>  This Inner Loop Header: Depth=2
	v_dual_mov_b32 v0, s4 :: v_dual_mov_b32 v1, s5
	s_sleep 1
	global_store_b64 v[10:11], v[2:3], off
	global_wb scope:SCOPE_SYS
	s_wait_storecnt 0x0
	s_wait_xcnt 0x0
	global_atomic_cmpswap_b64 v[0:1], v31, v[0:3], s[2:3] offset:32 th:TH_ATOMIC_RETURN scope:SCOPE_SYS
	s_wait_loadcnt 0x0
	v_cmp_eq_u64_e32 vcc_lo, v[0:1], v[2:3]
	v_mov_b64_e32 v[2:3], v[0:1]
	s_or_b32 s12, vcc_lo, s12
	s_delay_alu instid0(SALU_CYCLE_1)
	s_and_not1_b32 exec_lo, exec_lo, s12
	s_cbranch_execnz .LBB1_347
.LBB1_348:                              ;   in Loop: Header=BB1_280 Depth=1
	s_or_b32 exec_lo, exec_lo, s11
	global_load_b64 v[0:1], v31, s[2:3] offset:16
	s_mov_b32 s12, exec_lo
	s_mov_b32 s11, exec_lo
	v_mbcnt_lo_u32_b32 v2, s12, 0
	s_wait_xcnt 0x0
	s_delay_alu instid0(VALU_DEP_1)
	v_cmpx_eq_u32_e32 0, v2
	s_cbranch_execz .LBB1_350
; %bb.349:                              ;   in Loop: Header=BB1_280 Depth=1
	s_bcnt1_i32_b32 s12, s12
	s_delay_alu instid0(SALU_CYCLE_1)
	v_dual_mov_b32 v3, v31 :: v_dual_mov_b32 v2, s12
	global_wb scope:SCOPE_SYS
	s_wait_loadcnt 0x0
	s_wait_storecnt 0x0
	global_atomic_add_u64 v[0:1], v[2:3], off offset:8 scope:SCOPE_SYS
.LBB1_350:                              ;   in Loop: Header=BB1_280 Depth=1
	s_wait_xcnt 0x0
	s_or_b32 exec_lo, exec_lo, s11
	s_wait_loadcnt 0x0
	global_load_b64 v[2:3], v[0:1], off offset:16
	s_wait_loadcnt 0x0
	v_cmp_eq_u64_e32 vcc_lo, 0, v[2:3]
	s_cbranch_vccnz .LBB1_352
; %bb.351:                              ;   in Loop: Header=BB1_280 Depth=1
	global_load_b32 v0, v[0:1], off offset:24
	s_wait_xcnt 0x0
	v_mov_b32_e32 v1, v31
	s_wait_loadcnt 0x0
	v_readfirstlane_b32 s11, v0
	global_wb scope:SCOPE_SYS
	s_wait_storecnt 0x0
	global_store_b64 v[2:3], v[0:1], off scope:SCOPE_SYS
	s_and_b32 m0, s11, 0xffffff
	s_sendmsg sendmsg(MSG_INTERRUPT)
.LBB1_352:                              ;   in Loop: Header=BB1_280 Depth=1
	s_wait_xcnt 0x0
	s_or_b32 exec_lo, exec_lo, s1
	v_add_nc_u64_e32 v[0:1], v[6:7], v[30:31]
	s_branch .LBB1_356
.LBB1_353:                              ;   in Loop: Header=BB1_356 Depth=2
	s_wait_xcnt 0x0
	s_or_b32 exec_lo, exec_lo, s1
	s_delay_alu instid0(VALU_DEP_1)
	v_readfirstlane_b32 s1, v2
	s_cmp_eq_u32 s1, 0
	s_cbranch_scc1 .LBB1_355
; %bb.354:                              ;   in Loop: Header=BB1_356 Depth=2
	s_sleep 1
	s_cbranch_execnz .LBB1_356
	s_branch .LBB1_358
.LBB1_355:                              ;   in Loop: Header=BB1_280 Depth=1
	s_branch .LBB1_358
.LBB1_356:                              ;   Parent Loop BB1_280 Depth=1
                                        ; =>  This Inner Loop Header: Depth=2
	v_mov_b32_e32 v2, 1
	s_and_saveexec_b32 s1, s0
	s_cbranch_execz .LBB1_353
; %bb.357:                              ;   in Loop: Header=BB1_356 Depth=2
	global_load_b32 v2, v[34:35], off offset:20 scope:SCOPE_SYS
	s_wait_loadcnt 0x0
	global_inv scope:SCOPE_SYS
	v_and_b32_e32 v2, 1, v2
	s_branch .LBB1_353
.LBB1_358:                              ;   in Loop: Header=BB1_280 Depth=1
	global_load_b64 v[0:1], v[0:1], off
	s_wait_xcnt 0x0
	s_and_saveexec_b32 s11, s0
	s_cbranch_execz .LBB1_279
; %bb.359:                              ;   in Loop: Header=BB1_280 Depth=1
	s_clause 0x2
	global_load_b64 v[2:3], v31, s[2:3] offset:40
	global_load_b64 v[14:15], v31, s[2:3] offset:24 scope:SCOPE_SYS
	global_load_b64 v[6:7], v31, s[2:3]
	s_wait_loadcnt 0x2
	v_readfirstlane_b32 s12, v2
	v_readfirstlane_b32 s13, v3
	s_add_nc_u64 s[0:1], s[12:13], 1
	s_delay_alu instid0(SALU_CYCLE_1) | instskip(NEXT) | instid1(SALU_CYCLE_1)
	s_add_nc_u64 s[4:5], s[0:1], s[4:5]
	s_cmp_eq_u64 s[4:5], 0
	s_cselect_b32 s1, s1, s5
	s_cselect_b32 s0, s0, s4
	s_delay_alu instid0(SALU_CYCLE_1) | instskip(SKIP_1) | instid1(SALU_CYCLE_1)
	v_dual_mov_b32 v13, s1 :: v_dual_mov_b32 v12, s0
	s_and_b64 s[4:5], s[0:1], s[12:13]
	s_mul_u64 s[4:5], s[4:5], 24
	s_wait_loadcnt 0x0
	v_add_nc_u64_e32 v[2:3], s[4:5], v[6:7]
	global_store_b64 v[2:3], v[14:15], off
	global_wb scope:SCOPE_SYS
	s_wait_storecnt 0x0
	s_wait_xcnt 0x0
	global_atomic_cmpswap_b64 v[12:13], v31, v[12:15], s[2:3] offset:24 th:TH_ATOMIC_RETURN scope:SCOPE_SYS
	s_wait_loadcnt 0x0
	v_cmp_ne_u64_e32 vcc_lo, v[12:13], v[14:15]
	s_and_b32 exec_lo, exec_lo, vcc_lo
	s_cbranch_execz .LBB1_279
; %bb.360:                              ;   in Loop: Header=BB1_280 Depth=1
	s_mov_b32 s4, 0
.LBB1_361:                              ;   Parent Loop BB1_280 Depth=1
                                        ; =>  This Inner Loop Header: Depth=2
	v_dual_mov_b32 v10, s0 :: v_dual_mov_b32 v11, s1
	s_sleep 1
	global_store_b64 v[2:3], v[12:13], off
	global_wb scope:SCOPE_SYS
	s_wait_storecnt 0x0
	s_wait_xcnt 0x0
	global_atomic_cmpswap_b64 v[6:7], v31, v[10:13], s[2:3] offset:24 th:TH_ATOMIC_RETURN scope:SCOPE_SYS
	s_wait_loadcnt 0x0
	v_cmp_eq_u64_e32 vcc_lo, v[6:7], v[12:13]
	v_mov_b64_e32 v[12:13], v[6:7]
	s_or_b32 s4, vcc_lo, s4
	s_delay_alu instid0(SALU_CYCLE_1)
	s_and_not1_b32 exec_lo, exec_lo, s4
	s_cbranch_execnz .LBB1_361
	s_branch .LBB1_279
.LBB1_362:
	s_or_b32 exec_lo, exec_lo, s7
                                        ; implicit-def: $vgpr30
                                        ; implicit-def: $vgpr48
.LBB1_363:
	s_and_not1_saveexec_b32 s6, s6
	s_cbranch_execz .LBB1_391
; %bb.364:
	v_readfirstlane_b32 s0, v48
	v_mov_b64_e32 v[2:3], 0
	s_delay_alu instid0(VALU_DEP_2)
	v_cmp_eq_u32_e64 s0, s0, v48
	s_and_saveexec_b32 s1, s0
	s_cbranch_execz .LBB1_370
; %bb.365:
	v_mov_b32_e32 v4, 0
	s_mov_b32 s4, exec_lo
	global_load_b64 v[8:9], v4, s[2:3] offset:24 scope:SCOPE_SYS
	s_wait_loadcnt 0x0
	global_inv scope:SCOPE_SYS
	s_clause 0x1
	global_load_b64 v[2:3], v4, s[2:3] offset:40
	global_load_b64 v[6:7], v4, s[2:3]
	s_wait_loadcnt 0x1
	v_and_b32_e32 v2, v2, v8
	v_and_b32_e32 v3, v3, v9
	s_delay_alu instid0(VALU_DEP_1) | instskip(SKIP_1) | instid1(VALU_DEP_1)
	v_mul_u64_e32 v[2:3], 24, v[2:3]
	s_wait_loadcnt 0x0
	v_add_nc_u64_e32 v[2:3], v[6:7], v[2:3]
	global_load_b64 v[6:7], v[2:3], off scope:SCOPE_SYS
	s_wait_xcnt 0x0
	s_wait_loadcnt 0x0
	global_atomic_cmpswap_b64 v[2:3], v4, v[6:9], s[2:3] offset:24 th:TH_ATOMIC_RETURN scope:SCOPE_SYS
	s_wait_loadcnt 0x0
	global_inv scope:SCOPE_SYS
	s_wait_xcnt 0x0
	v_cmpx_ne_u64_e64 v[2:3], v[8:9]
	s_cbranch_execz .LBB1_369
; %bb.366:
	s_mov_b32 s5, 0
.LBB1_367:                              ; =>This Inner Loop Header: Depth=1
	s_sleep 1
	s_clause 0x1
	global_load_b64 v[6:7], v4, s[2:3] offset:40
	global_load_b64 v[10:11], v4, s[2:3]
	v_mov_b64_e32 v[8:9], v[2:3]
	s_wait_loadcnt 0x1
	s_delay_alu instid0(VALU_DEP_1) | instskip(NEXT) | instid1(VALU_DEP_2)
	v_and_b32_e32 v2, v6, v8
	v_and_b32_e32 v5, v7, v9
	s_wait_loadcnt 0x0
	s_delay_alu instid0(VALU_DEP_2) | instskip(NEXT) | instid1(VALU_DEP_1)
	v_mad_nc_u64_u32 v[2:3], v2, 24, v[10:11]
	v_mad_u32 v3, v5, 24, v3
	global_load_b64 v[6:7], v[2:3], off scope:SCOPE_SYS
	s_wait_xcnt 0x0
	s_wait_loadcnt 0x0
	global_atomic_cmpswap_b64 v[2:3], v4, v[6:9], s[2:3] offset:24 th:TH_ATOMIC_RETURN scope:SCOPE_SYS
	s_wait_loadcnt 0x0
	global_inv scope:SCOPE_SYS
	v_cmp_eq_u64_e32 vcc_lo, v[2:3], v[8:9]
	s_or_b32 s5, vcc_lo, s5
	s_wait_xcnt 0x0
	s_and_not1_b32 exec_lo, exec_lo, s5
	s_cbranch_execnz .LBB1_367
; %bb.368:
	s_or_b32 exec_lo, exec_lo, s5
.LBB1_369:
	s_delay_alu instid0(SALU_CYCLE_1)
	s_or_b32 exec_lo, exec_lo, s4
.LBB1_370:
	s_delay_alu instid0(SALU_CYCLE_1)
	s_or_b32 exec_lo, exec_lo, s1
	v_readfirstlane_b32 s4, v2
	v_mov_b32_e32 v31, 0
	v_readfirstlane_b32 s5, v3
	s_mov_b32 s1, exec_lo
	s_clause 0x1
	global_load_b64 v[8:9], v31, s[2:3] offset:40
	global_load_b128 v[4:7], v31, s[2:3]
	s_wait_loadcnt 0x1
	v_and_b32_e32 v2, s4, v8
	v_and_b32_e32 v3, s5, v9
	s_delay_alu instid0(VALU_DEP_1) | instskip(SKIP_1) | instid1(VALU_DEP_1)
	v_mul_u64_e32 v[8:9], 24, v[2:3]
	s_wait_loadcnt 0x0
	v_add_nc_u64_e32 v[8:9], v[4:5], v[8:9]
	s_wait_xcnt 0x0
	s_and_saveexec_b32 s7, s0
	s_cbranch_execz .LBB1_372
; %bb.371:
	v_mov_b64_e32 v[12:13], 0x100000002
	v_dual_mov_b32 v10, s1 :: v_dual_mov_b32 v11, v31
	global_store_b128 v[8:9], v[10:13], off offset:8
.LBB1_372:
	s_wait_xcnt 0x0
	s_or_b32 exec_lo, exec_lo, s7
	v_lshlrev_b64_e32 v[2:3], 12, v[2:3]
	s_mov_b32 s12, 0
	v_and_or_b32 v0, 0xffffff1f, v0, 32
	s_mov_b32 s13, s12
	s_mov_b32 s14, s12
	;; [unrolled: 1-line block ×3, first 2 shown]
	v_mov_b64_e32 v[10:11], s[12:13]
	v_add_nc_u64_e32 v[6:7], v[6:7], v[2:3]
	v_mov_b64_e32 v[12:13], s[14:15]
	v_dual_mov_b32 v2, v31 :: v_dual_mov_b32 v3, v31
	s_delay_alu instid0(VALU_DEP_3) | instskip(NEXT) | instid1(VALU_DEP_4)
	v_readfirstlane_b32 s10, v6
	v_readfirstlane_b32 s11, v7
	s_clause 0x3
	global_store_b128 v30, v[0:3], s[10:11]
	global_store_b128 v30, v[10:13], s[10:11] offset:16
	global_store_b128 v30, v[10:13], s[10:11] offset:32
	global_store_b128 v30, v[10:13], s[10:11] offset:48
	s_wait_xcnt 0x0
	s_and_saveexec_b32 s1, s0
	s_cbranch_execz .LBB1_380
; %bb.373:
	v_dual_mov_b32 v10, 0 :: v_dual_mov_b32 v13, s5
	s_mov_b32 s7, exec_lo
	s_clause 0x1
	global_load_b64 v[14:15], v10, s[2:3] offset:32 scope:SCOPE_SYS
	global_load_b64 v[0:1], v10, s[2:3] offset:40
	s_wait_loadcnt 0x0
	v_dual_mov_b32 v12, s4 :: v_dual_bitop2_b32 v1, s5, v1 bitop3:0x40
	v_and_b32_e32 v0, s4, v0
	s_delay_alu instid0(VALU_DEP_1) | instskip(NEXT) | instid1(VALU_DEP_1)
	v_mul_u64_e32 v[0:1], 24, v[0:1]
	v_add_nc_u64_e32 v[4:5], v[4:5], v[0:1]
	global_store_b64 v[4:5], v[14:15], off
	global_wb scope:SCOPE_SYS
	s_wait_storecnt 0x0
	s_wait_xcnt 0x0
	global_atomic_cmpswap_b64 v[2:3], v10, v[12:15], s[2:3] offset:32 th:TH_ATOMIC_RETURN scope:SCOPE_SYS
	s_wait_loadcnt 0x0
	v_cmpx_ne_u64_e64 v[2:3], v[14:15]
	s_cbranch_execz .LBB1_376
; %bb.374:
	s_mov_b32 s10, 0
.LBB1_375:                              ; =>This Inner Loop Header: Depth=1
	v_dual_mov_b32 v0, s4 :: v_dual_mov_b32 v1, s5
	s_sleep 1
	global_store_b64 v[4:5], v[2:3], off
	global_wb scope:SCOPE_SYS
	s_wait_storecnt 0x0
	s_wait_xcnt 0x0
	global_atomic_cmpswap_b64 v[0:1], v10, v[0:3], s[2:3] offset:32 th:TH_ATOMIC_RETURN scope:SCOPE_SYS
	s_wait_loadcnt 0x0
	v_cmp_eq_u64_e32 vcc_lo, v[0:1], v[2:3]
	v_mov_b64_e32 v[2:3], v[0:1]
	s_or_b32 s10, vcc_lo, s10
	s_delay_alu instid0(SALU_CYCLE_1)
	s_and_not1_b32 exec_lo, exec_lo, s10
	s_cbranch_execnz .LBB1_375
.LBB1_376:
	s_or_b32 exec_lo, exec_lo, s7
	v_mov_b32_e32 v3, 0
	s_mov_b32 s10, exec_lo
	s_mov_b32 s7, exec_lo
	v_mbcnt_lo_u32_b32 v2, s10, 0
	global_load_b64 v[0:1], v3, s[2:3] offset:16
	s_wait_xcnt 0x0
	v_cmpx_eq_u32_e32 0, v2
	s_cbranch_execz .LBB1_378
; %bb.377:
	s_bcnt1_i32_b32 s10, s10
	s_delay_alu instid0(SALU_CYCLE_1)
	v_mov_b32_e32 v2, s10
	global_wb scope:SCOPE_SYS
	s_wait_loadcnt 0x0
	s_wait_storecnt 0x0
	global_atomic_add_u64 v[0:1], v[2:3], off offset:8 scope:SCOPE_SYS
.LBB1_378:
	s_wait_xcnt 0x0
	s_or_b32 exec_lo, exec_lo, s7
	s_wait_loadcnt 0x0
	global_load_b64 v[2:3], v[0:1], off offset:16
	s_wait_loadcnt 0x0
	v_cmp_eq_u64_e32 vcc_lo, 0, v[2:3]
	s_cbranch_vccnz .LBB1_380
; %bb.379:
	global_load_b32 v0, v[0:1], off offset:24
	s_wait_xcnt 0x0
	v_mov_b32_e32 v1, 0
	s_wait_loadcnt 0x0
	v_readfirstlane_b32 s7, v0
	global_wb scope:SCOPE_SYS
	s_wait_storecnt 0x0
	global_store_b64 v[2:3], v[0:1], off scope:SCOPE_SYS
	s_and_b32 m0, s7, 0xffffff
	s_sendmsg sendmsg(MSG_INTERRUPT)
.LBB1_380:
	s_wait_xcnt 0x0
	s_or_b32 exec_lo, exec_lo, s1
	v_add_nc_u64_e32 v[0:1], v[6:7], v[30:31]
	s_branch .LBB1_384
.LBB1_381:                              ;   in Loop: Header=BB1_384 Depth=1
	s_wait_xcnt 0x0
	s_or_b32 exec_lo, exec_lo, s1
	s_delay_alu instid0(VALU_DEP_1)
	v_readfirstlane_b32 s1, v2
	s_cmp_eq_u32 s1, 0
	s_cbranch_scc1 .LBB1_383
; %bb.382:                              ;   in Loop: Header=BB1_384 Depth=1
	s_sleep 1
	s_cbranch_execnz .LBB1_384
	s_branch .LBB1_386
.LBB1_383:
	s_branch .LBB1_386
.LBB1_384:                              ; =>This Inner Loop Header: Depth=1
	v_mov_b32_e32 v2, 1
	s_and_saveexec_b32 s1, s0
	s_cbranch_execz .LBB1_381
; %bb.385:                              ;   in Loop: Header=BB1_384 Depth=1
	global_load_b32 v2, v[8:9], off offset:20 scope:SCOPE_SYS
	s_wait_loadcnt 0x0
	global_inv scope:SCOPE_SYS
	v_and_b32_e32 v2, 1, v2
	s_branch .LBB1_381
.LBB1_386:
	global_load_b64 v[0:1], v[0:1], off
	s_wait_xcnt 0x0
	s_and_saveexec_b32 s7, s0
	s_cbranch_execz .LBB1_390
; %bb.387:
	v_mov_b32_e32 v8, 0
	s_clause 0x2
	global_load_b64 v[2:3], v8, s[2:3] offset:40
	global_load_b64 v[12:13], v8, s[2:3] offset:24 scope:SCOPE_SYS
	global_load_b64 v[4:5], v8, s[2:3]
	s_wait_loadcnt 0x2
	v_readfirstlane_b32 s10, v2
	v_readfirstlane_b32 s11, v3
	s_add_nc_u64 s[0:1], s[10:11], 1
	s_delay_alu instid0(SALU_CYCLE_1) | instskip(NEXT) | instid1(SALU_CYCLE_1)
	s_add_nc_u64 s[4:5], s[0:1], s[4:5]
	s_cmp_eq_u64 s[4:5], 0
	s_cselect_b32 s1, s1, s5
	s_cselect_b32 s0, s0, s4
	v_mov_b32_e32 v11, s1
	s_and_b64 s[4:5], s[0:1], s[10:11]
	v_mov_b32_e32 v10, s0
	s_mul_u64 s[4:5], s[4:5], 24
	s_wait_loadcnt 0x0
	v_add_nc_u64_e32 v[6:7], s[4:5], v[4:5]
	global_store_b64 v[6:7], v[12:13], off
	global_wb scope:SCOPE_SYS
	s_wait_storecnt 0x0
	s_wait_xcnt 0x0
	global_atomic_cmpswap_b64 v[4:5], v8, v[10:13], s[2:3] offset:24 th:TH_ATOMIC_RETURN scope:SCOPE_SYS
	s_wait_loadcnt 0x0
	v_cmp_ne_u64_e32 vcc_lo, v[4:5], v[12:13]
	s_and_b32 exec_lo, exec_lo, vcc_lo
	s_cbranch_execz .LBB1_390
; %bb.388:
	s_mov_b32 s4, 0
.LBB1_389:                              ; =>This Inner Loop Header: Depth=1
	v_dual_mov_b32 v2, s0 :: v_dual_mov_b32 v3, s1
	s_sleep 1
	global_store_b64 v[6:7], v[4:5], off
	global_wb scope:SCOPE_SYS
	s_wait_storecnt 0x0
	s_wait_xcnt 0x0
	global_atomic_cmpswap_b64 v[2:3], v8, v[2:5], s[2:3] offset:24 th:TH_ATOMIC_RETURN scope:SCOPE_SYS
	s_wait_loadcnt 0x0
	v_cmp_eq_u64_e32 vcc_lo, v[2:3], v[4:5]
	v_mov_b64_e32 v[4:5], v[2:3]
	s_or_b32 s4, vcc_lo, s4
	s_delay_alu instid0(SALU_CYCLE_1)
	s_and_not1_b32 exec_lo, exec_lo, s4
	s_cbranch_execnz .LBB1_389
.LBB1_390:
	s_or_b32 exec_lo, exec_lo, s7
.LBB1_391:
	s_delay_alu instid0(SALU_CYCLE_1)
	s_or_b32 exec_lo, exec_lo, s6
	s_get_pc_i64 s[0:1]
	s_add_nc_u64 s[0:1], s[0:1], .str.3@rel64+4
	s_get_pc_i64 s[2:3]
	s_add_nc_u64 s[2:3], s[2:3], .str.3@rel64+32
	v_dual_mov_b32 v2, s0 :: v_dual_mov_b32 v3, s1
	s_sub_co_i32 s4, s2, s0
	v_mov_b32_e32 v6, 1
	s_ashr_i32 s5, s4, 31
	s_delay_alu instid0(SALU_CYCLE_1) | instskip(SKIP_2) | instid1(SALU_CYCLE_1)
	v_dual_mov_b32 v4, s4 :: v_dual_mov_b32 v5, s5
	s_get_pc_i64 s[2:3]
	s_add_nc_u64 s[2:3], s[2:3], __ockl_fprintf_append_string_n@rel64+4
	s_swap_pc_i64 s[30:31], s[2:3]
	s_trap 2
.Lfunc_end1:
	.size	__assert_fail, .Lfunc_end1-__assert_fail
                                        ; -- End function
	.set .L__assert_fail.num_vgpr, max(49, .L__ockl_fprintf_append_string_n.num_vgpr)
	.set .L__assert_fail.num_agpr, max(0, .L__ockl_fprintf_append_string_n.num_agpr)
	.set .L__assert_fail.numbered_sgpr, max(34, .L__ockl_fprintf_append_string_n.numbered_sgpr)
	.set .L__assert_fail.num_named_barrier, max(0, .L__ockl_fprintf_append_string_n.num_named_barrier)
	.set .L__assert_fail.private_seg_size, 64+max(.L__ockl_fprintf_append_string_n.private_seg_size)
	.set .L__assert_fail.uses_vcc, or(1, .L__ockl_fprintf_append_string_n.uses_vcc)
	.set .L__assert_fail.uses_flat_scratch, or(1, .L__ockl_fprintf_append_string_n.uses_flat_scratch)
	.set .L__assert_fail.has_dyn_sized_stack, or(0, .L__ockl_fprintf_append_string_n.has_dyn_sized_stack)
	.set .L__assert_fail.has_recursion, or(0, .L__ockl_fprintf_append_string_n.has_recursion)
	.set .L__assert_fail.has_indirect_call, or(0, .L__ockl_fprintf_append_string_n.has_indirect_call)
	.section	.AMDGPU.csdata,"",@progbits
; Function info:
; codeLenInByte = 15740
; TotalNumSgprs: 36
; NumVgprs: 49
; ScratchSize: 64
; MemoryBound: 0
	.text
	.p2align	2                               ; -- Begin function _ZN12_GLOBAL__N_17runRingI12hip_bfloat1610FuncMinMaxIS1_E11ProtoSimpleILi1ELi1ELi0ELi1ELi0ELi0EELi0ELi1ELi0EEEviiP15ncclDevWorkColl
	.type	_ZN12_GLOBAL__N_17runRingI12hip_bfloat1610FuncMinMaxIS1_E11ProtoSimpleILi1ELi1ELi0ELi1ELi0ELi0EELi0ELi1ELi0EEEviiP15ncclDevWorkColl,@function
_ZN12_GLOBAL__N_17runRingI12hip_bfloat1610FuncMinMaxIS1_E11ProtoSimpleILi1ELi1ELi0ELi1ELi0ELi0EELi0ELi1ELi0EEEviiP15ncclDevWorkColl: ; @_ZN12_GLOBAL__N_17runRingI12hip_bfloat1610FuncMinMaxIS1_E11ProtoSimpleILi1ELi1ELi0ELi1ELi0ELi0EELi0ELi1ELi0EEEviiP15ncclDevWorkColl
; %bb.0:
	s_wait_loadcnt_dscnt 0x0
	s_wait_kmcnt 0x0
	s_mov_b32 s43, s33
	s_mov_b32 s33, s32
	s_or_saveexec_b32 s0, -1
	scratch_store_b32 off, v41, s33 offset:4 ; 4-byte Folded Spill
	s_wait_xcnt 0x0
	s_mov_b32 exec_lo, s0
	s_add_co_i32 s32, s32, 16
	scratch_store_b32 off, v40, s33         ; 4-byte Folded Spill
	v_writelane_b32 v41, s30, 0
	v_writelane_b32 v41, s31, 1
	s_trap 2
	ds_load_b64 v[14:15], v0
	ds_load_b32 v9, v0
	flat_load_b64 v[6:7], v[2:3]
                                        ; implicit-def: $vgpr28_vgpr29
                                        ; implicit-def: $vgpr4_vgpr5
                                        ; implicit-def: $vgpr18_vgpr19
	s_wait_dscnt 0x2
	v_readfirstlane_b32 s0, v14
	v_readfirstlane_b32 s1, v15
	flat_load_u16 v17, v[2:3] offset:8
	flat_load_b32 v25, v15, s[0:1] offset:-4 scale_offset
	s_wait_xcnt 0x0
	s_mov_b32 s0, exec_lo
	s_wait_loadcnt_dscnt 0x202
	v_and_b32_e32 v8, 0xff, v6
	v_mov_b32_e32 v16, v7
	s_delay_alu instid0(VALU_DEP_2)
	v_cmpx_ne_u32_e64 v9, v8
	s_xor_b32 s0, exec_lo, s0
	s_cbranch_execz .LBB2_6
; %bb.1:
	v_bfe_u32 v10, v6, 8, 8
	v_not_b32_e32 v8, v8
	s_mov_b32 s1, exec_lo
                                        ; implicit-def: $vgpr28_vgpr29
                                        ; implicit-def: $vgpr4_vgpr5
                                        ; implicit-def: $vgpr18_vgpr19
	s_delay_alu instid0(VALU_DEP_2)
	v_cmpx_ne_u32_e64 v9, v10
	s_xor_b32 s1, exec_lo, s1
	s_cbranch_execz .LBB2_3
; %bb.2:
	s_clause 0x1
	flat_load_b128 v[4:7], v[2:3] offset:72
	flat_load_b64 v[10:11], v[2:3] offset:96
	v_add_nc_u32_e32 v8, v9, v8
	s_wait_loadcnt_dscnt 0x101
	s_delay_alu instid0(VALU_DEP_1) | instskip(SKIP_3) | instid1(VALU_DEP_3)
	v_mad_nc_u64_u32 v[18:19], v6, v8, v[4:5]
	v_ashrrev_i32_e32 v5, 31, v8
	s_wait_loadcnt_dscnt 0x0
	v_lshrrev_b64 v[28:29], 13, v[10:11]
                                        ; implicit-def: $vgpr10
	v_mad_u32 v4, v7, v8, v19
                                        ; implicit-def: $vgpr8
	s_delay_alu instid0(VALU_DEP_1)
	v_mad_u32 v19, v6, v5, v4
	v_mov_b64_e32 v[4:5], v[6:7]
.LBB2_3:
	s_wait_xcnt 0x0
	s_and_not1_saveexec_b32 s1, s1
	s_cbranch_execz .LBB2_5
; %bb.4:
	s_clause 0x1
	flat_load_b128 v[18:21], v[2:3] offset:72
	flat_load_b128 v[4:7], v[2:3] offset:88
	s_wait_loadcnt_dscnt 0x0
	v_dual_add_nc_u32 v6, v10, v8 :: v_dual_lshrrev_b32 v28, 2, v7
	s_delay_alu instid0(VALU_DEP_1) | instskip(NEXT) | instid1(VALU_DEP_1)
	v_mad_nc_u64_u32 v[18:19], v20, v6, v[18:19]
	v_mad_u32 v8, v21, v6, v19
	v_ashrrev_i32_e32 v6, 31, v6
	s_delay_alu instid0(VALU_DEP_1)
	v_mad_u32 v19, v20, v6, v8
.LBB2_5:
	s_wait_xcnt 0x0
	s_or_b32 exec_lo, exec_lo, s1
.LBB2_6:
	s_and_not1_saveexec_b32 s0, s0
	s_cbranch_execz .LBB2_8
; %bb.7:
	s_clause 0x1
	flat_load_b64 v[6:7], v[2:3] offset:96
	flat_load_b64 v[4:5], v[2:3] offset:72
	v_mov_b64_e32 v[18:19], 0
	s_wait_loadcnt_dscnt 0x101
	v_lshlrev_b64_e32 v[28:29], 8, v[6:7]
.LBB2_8:
	s_wait_xcnt 0x0
	s_or_b32 exec_lo, exec_lo, s0
	s_trap 2
	ds_load_b64 v[6:7], v0
	s_mov_b32 s1, 0
	s_mov_b32 s2, exec_lo
	s_wait_dscnt 0x0
	v_cmp_ne_u32_e32 vcc_lo, -1, v6
	v_cndmask_b32_e64 v15, 0, 1, vcc_lo
	v_cmp_ne_u32_e32 vcc_lo, -1, v7
	s_delay_alu instid0(VALU_DEP_2) | instskip(NEXT) | instid1(VALU_DEP_1)
	v_add_co_ci_u32_e64 v6, null, 0, v15, vcc_lo
	v_lshlrev_b32_e32 v7, 1, v6
	s_delay_alu instid0(VALU_DEP_1)
	v_cmpx_le_u32_e64 v7, v1
	s_xor_b32 s14, exec_lo, s2
	s_cbranch_execz .LBB2_769
; %bb.9:
	s_clause 0x1
	flat_load_b128 v[10:13], v[2:3] offset:16
	flat_load_b64 v[34:35], v[2:3] offset:104
	s_trap 2
	s_load_b32 s0, s[8:9], 0x0
	s_bfe_u32 s2, ttmp6, 0x4000c
	s_and_b32 s3, ttmp6, 15
	s_add_co_i32 s2, s2, 1
	s_getreg_b32 s4, hwreg(HW_REG_IB_STS2, 6, 4)
	s_mul_i32 s2, ttmp9, s2
	v_dual_mov_b32 v2, 0 :: v_dual_mov_b32 v30, 4
	s_add_co_i32 s3, s3, s2
	s_cmp_eq_u32 s4, 0
	s_cselect_b32 s2, ttmp9, s3
	s_wait_kmcnt 0x0
	s_cmp_lt_u32 s2, s0
	s_mov_b32 s2, exec_lo
	s_cselect_b32 s0, 12, 18
	s_delay_alu instid0(SALU_CYCLE_1)
	s_add_nc_u64 s[0:1], s[8:9], s[0:1]
	global_load_u16 v29, v2, s[0:1]
	s_wait_xcnt 0x0
	ds_load_b32 v2, v0
	s_wait_dscnt 0x0
	v_readfirstlane_b32 s1, v2
	v_cmpx_ge_u32_e64 v0, v15
	s_cbranch_execz .LBB2_19
; %bb.10:
	v_cmp_ge_u32_e64 s0, v0, v6
                                        ; implicit-def: $vgpr30
	s_and_saveexec_b32 s3, s0
	s_delay_alu instid0(SALU_CYCLE_1)
	s_xor_b32 s0, exec_lo, s3
	s_cbranch_execz .LBB2_16
; %bb.11:
	v_cndmask_b32_e64 v2, 0, 1, vcc_lo
	s_mov_b32 s3, exec_lo
	s_delay_alu instid0(VALU_DEP_1) | instskip(NEXT) | instid1(VALU_DEP_1)
	v_sub_nc_u32_e32 v2, v1, v2
	v_cmpx_ge_u32_e64 v0, v2
	s_xor_b32 s3, exec_lo, s3
; %bb.12:
                                        ; implicit-def: $vgpr6
; %bb.13:
	s_delay_alu instid0(SALU_CYCLE_1)
	s_or_saveexec_b32 s3, s3
	v_mov_b32_e32 v30, 16
	s_xor_b32 exec_lo, exec_lo, s3
; %bb.14:
	v_sub_nc_u32_e32 v2, v1, v6
	s_delay_alu instid0(VALU_DEP_1)
	v_cmp_lt_i32_e32 vcc_lo, v0, v2
	v_cndmask_b32_e64 v30, 32, 0, vcc_lo
; %bb.15:
	s_or_b32 exec_lo, exec_lo, s3
.LBB2_16:
	s_and_not1_saveexec_b32 s0, s0
; %bb.17:
	v_mov_b32_e32 v30, 8
; %bb.18:
	s_or_b32 exec_lo, exec_lo, s0
.LBB2_19:
	s_delay_alu instid0(SALU_CYCLE_1) | instskip(NEXT) | instid1(VALU_DEP_1)
	s_or_b32 exec_lo, exec_lo, s2
	v_dual_mov_b32 v38, -1 :: v_dual_bitop2_b32 v2, 36, v30 bitop3:0x40
	s_delay_alu instid0(VALU_DEP_1)
	v_cmp_ne_u32_e32 vcc_lo, 0, v2
	s_and_saveexec_b32 s0, vcc_lo
	s_cbranch_execz .LBB2_21
; %bb.20:
	s_trap 2
	ds_load_b32 v38, v0
.LBB2_21:
	s_or_b32 exec_lo, exec_lo, s0
	v_and_b32_e32 v2, 24, v30
	s_mov_b32 s2, exec_lo
	s_delay_alu instid0(VALU_DEP_1)
	v_cmpx_ne_u32_e32 0, v2
	s_cbranch_execz .LBB2_23
; %bb.22:
	s_trap 2
	s_wait_dscnt 0x0
	ds_load_b32 v38, v0
.LBB2_23:
	s_or_b32 exec_lo, exec_lo, s2
	s_wait_loadcnt 0x4
	v_lshrrev_b64 v[2:3], 31, v[16:17]
	v_mov_b64_e32 v[20:21], 0
	v_mov_b64_e32 v[6:7], 0
                                        ; implicit-def: $vgpr24
                                        ; implicit-def: $vgpr32_vgpr33
                                        ; implicit-def: $vgpr26_vgpr27
                                        ; implicit-def: $vgpr22_vgpr23
	s_delay_alu instid0(VALU_DEP_3) | instskip(NEXT) | instid1(VALU_DEP_1)
	v_and_b32_e32 v2, 3, v2
	v_and_b32_e32 v17, 0xffff, v2
                                        ; implicit-def: $vgpr2_vgpr3
	s_and_saveexec_b32 s0, vcc_lo
	s_cbranch_execz .LBB2_33
; %bb.24:
	s_trap 2
	ds_load_b64 v[2:3], v0
	s_wait_dscnt 0x0
	v_readfirstlane_b32 s2, v2
	v_readfirstlane_b32 s3, v3
	flat_load_b64 v[2:3], v38, s[2:3] scale_offset
	s_wait_loadcnt_dscnt 0x0
	v_mad_nc_u64_u32 v[36:37], 0xa8, v17, v[2:3]
	flat_load_b32 v2, v[36:37] offset:640
	s_wait_loadcnt_dscnt 0x0
	v_cmp_eq_u32_e32 vcc_lo, 1, v2
                                        ; implicit-def: $vgpr2_vgpr3
	s_wait_xcnt 0x0
	s_and_saveexec_b32 s2, vcc_lo
	s_cbranch_execz .LBB2_26
; %bb.25:
	flat_load_b64 v[2:3], v[36:37] offset:648
	v_or_b32_e32 v30, 0x2000, v30
	s_wait_loadcnt_dscnt 0x0
	flat_load_b64 v[6:7], v[2:3]
	s_trap 2
	s_wait_loadcnt_dscnt 0x0
	ds_store_b64 v0, v[6:7]
	flat_load_b64 v[6:7], v[2:3] offset:8
	s_wait_loadcnt_dscnt 0x0
	ds_store_b64 v0, v[6:7]
	flat_load_b64 v[6:7], v[2:3] offset:16
	s_wait_loadcnt_dscnt 0x0
	ds_store_b64 v0, v[6:7]
.LBB2_26:
	s_wait_xcnt 0x0
	s_or_b32 exec_lo, exec_lo, s2
	flat_load_b64 v[8:9], v[36:37] offset:608
	v_and_b32_e32 v6, 32, v30
	s_mov_b32 s2, exec_lo
                                        ; implicit-def: $vgpr22_vgpr23
	s_wait_xcnt 0x0
	s_delay_alu instid0(VALU_DEP_1)
	v_cmpx_ne_u32_e32 0, v6
	s_cbranch_execz .LBB2_28
; %bb.27:
	flat_load_b64 v[22:23], v[36:37] offset:560
	global_wb scope:SCOPE_SYS
	s_wait_storecnt 0x0
	s_wait_xcnt 0x0
	s_wait_loadcnt_dscnt 0x0
	flat_store_b64 v[22:23], v[8:9] scope:SCOPE_SYS
.LBB2_28:
	s_wait_xcnt 0x0
	s_or_b32 exec_lo, exec_lo, s2
	v_and_b32_e32 v24, 4, v30
	v_add_nc_u64_e32 v[20:21], 0x1f8, v[36:37]
	v_mov_b64_e32 v[6:7], 0
                                        ; implicit-def: $vgpr32_vgpr33
                                        ; implicit-def: $vgpr26_vgpr27
	s_delay_alu instid0(VALU_DEP_3)
	v_cmp_ne_u32_e32 vcc_lo, 0, v24
                                        ; implicit-def: $vgpr24
	s_and_saveexec_b32 s2, vcc_lo
	s_cbranch_execz .LBB2_32
; %bb.29:
	v_and_b32_e32 v6, 0x800, v30
	s_mov_b32 s3, exec_lo
	s_delay_alu instid0(VALU_DEP_1)
	v_cmpx_eq_u32_e32 0, v6
	s_cbranch_execz .LBB2_31
; %bb.30:
	s_trap 2
	ds_store_b64 v0, v[20:21]
.LBB2_31:
	s_or_b32 exec_lo, exec_lo, s3
	flat_load_b64 v[22:23], v[36:37] offset:552
	s_wait_loadcnt_dscnt 0x0
	flat_load_b64 v[32:33], v[22:23] scope:SCOPE_SYS
	s_clause 0x2
	flat_load_b32 v24, v[36:37] offset:576
	flat_load_b64 v[6:7], v[36:37] offset:600
	flat_load_b64 v[26:27], v[36:37] offset:520
	s_wait_xcnt 0x0
	v_or_b32_e32 v36, 0x100, v30
	s_wait_loadcnt_dscnt 0x101
	v_cmp_eq_u64_e32 vcc_lo, 0, v[6:7]
	s_delay_alu instid0(VALU_DEP_2)
	v_dual_ashrrev_i32 v24, 1, v24 :: v_dual_cndmask_b32 v30, v36, v30, vcc_lo
.LBB2_32:
	s_or_b32 exec_lo, exec_lo, s2
.LBB2_33:
	s_delay_alu instid0(SALU_CYCLE_1) | instskip(NEXT) | instid1(VALU_DEP_1)
	s_or_b32 exec_lo, exec_lo, s0
	v_and_b32_e32 v36, 24, v30
	s_delay_alu instid0(VALU_DEP_1)
	v_cmp_ne_u32_e32 vcc_lo, 0, v36
                                        ; implicit-def: $vgpr36_vgpr37
	s_and_saveexec_b32 s0, vcc_lo
	s_cbranch_execz .LBB2_41
; %bb.34:
	s_trap 2
	ds_load_b64 v[6:7], v0
                                        ; implicit-def: $vgpr36_vgpr37
	s_wait_dscnt 0x0
	v_readfirstlane_b32 s2, v6
	v_readfirstlane_b32 s3, v7
	flat_load_b64 v[6:7], v38, s[2:3] scale_offset
	s_wait_xcnt 0x0
	s_mov_b32 s2, exec_lo
	s_wait_loadcnt_dscnt 0x0
	v_mad_nc_u64_u32 v[20:21], 0xa8, v17, v[6:7]
	v_or_b32_e32 v17, 0x100, v30
	flat_load_b128 v[6:9], v[20:21] offset:96
	s_wait_loadcnt_dscnt 0x0
	v_cmp_eq_u64_e32 vcc_lo, 0, v[6:7]
	v_cndmask_b32_e32 v30, v17, v30, vcc_lo
	s_delay_alu instid0(VALU_DEP_1) | instskip(SKIP_1) | instid1(VALU_DEP_1)
	v_and_b32_e32 v17, 16, v30
	s_wait_xcnt 0x0
	v_cmpx_ne_u32_e32 0, v17
	s_cbranch_execz .LBB2_36
; %bb.35:
	s_clause 0x2
	flat_load_b64 v[22:23], v[20:21] offset:48
	flat_load_b64 v[36:37], v[20:21] offset:120
	;; [unrolled: 1-line block ×3, first 2 shown]
.LBB2_36:
	s_wait_xcnt 0x0
	s_or_b32 exec_lo, exec_lo, s2
	v_and_b32_e32 v17, 8, v30
	s_mov_b32 s2, exec_lo
	s_delay_alu instid0(VALU_DEP_1)
	v_cmpx_ne_u32_e32 0, v17
	s_cbranch_execz .LBB2_40
; %bb.37:
	v_and_b32_e32 v17, 0x800, v30
	s_mov_b32 s3, exec_lo
	s_delay_alu instid0(VALU_DEP_1)
	v_cmpx_eq_u32_e32 0, v17
	s_cbranch_execz .LBB2_39
; %bb.38:
	s_trap 2
	ds_store_b64 v0, v[20:21]
.LBB2_39:
	s_or_b32 exec_lo, exec_lo, s3
	s_wait_loadcnt_dscnt 0x202
	flat_load_b64 v[22:23], v[20:21] offset:56
	s_wait_loadcnt_dscnt 0x0
	flat_load_b64 v[32:33], v[22:23] scope:SCOPE_SYS
	s_clause 0x1
	flat_load_b32 v17, v[20:21] offset:72
	flat_load_b64 v[26:27], v[20:21] offset:16
	s_wait_loadcnt_dscnt 0x101
	v_ashrrev_i32_e32 v24, 1, v17
.LBB2_40:
	s_wait_xcnt 0x0
	s_or_b32 exec_lo, exec_lo, s2
.LBB2_41:
	s_delay_alu instid0(SALU_CYCLE_1)
	s_or_b32 exec_lo, exec_lo, s0
	v_cmp_eq_u32_e64 s0, 0, v0
	s_and_saveexec_b32 s2, s0
	s_cbranch_execz .LBB2_43
; %bb.42:
	s_wait_dscnt 0x0
	v_mov_b64_e32 v[38:39], 0
	s_wait_loadcnt 0x2
	ds_store_2addr_b64 v0, v[12:13], v[10:11] offset1:1
	s_trap 2
	ds_store_b64 v0, v[38:39]
	s_wait_loadcnt 0x1
	ds_store_b64 v0, v[34:35]
.LBB2_43:
	s_or_b32 exec_lo, exec_lo, s2
	s_ashr_i32 s2, s1, 31
	s_wait_loadcnt 0x1
	v_and_b32_e32 v34, 0x1fffff00, v28
	s_lshr_b32 s2, s2, 29
	v_bfe_u32 v10, v16, 1, 30
	v_mov_b32_e32 v35, 0
	s_wait_loadcnt 0x0
	v_and_b32_e32 v96, 0xffff, v29
	s_add_co_i32 s1, s1, s2
                                        ; implicit-def: $vgpr28_vgpr29
	s_delay_alu instid0(SALU_CYCLE_1)
	s_ashr_i32 s15, s1, 4
	s_mov_b32 s1, exec_lo
	v_cmpx_ne_u32_e64 v25, v10
	s_xor_b32 s16, exec_lo, s1
	s_cbranch_execz .LBB2_561
; %bb.44:
                                        ; implicit-def: $vgpr28_vgpr29
	s_mov_b32 s1, exec_lo
	v_cmpx_ne_u32_e64 v14, v10
	s_xor_b32 s17, exec_lo, s1
	s_cbranch_execz .LBB2_308
; %bb.45:
	v_mov_b64_e32 v[28:29], 0
	s_mov_b32 s18, exec_lo
	v_cmpx_ne_u64_e32 0, v[4:5]
	s_cbranch_execz .LBB2_307
; %bb.46:
	v_dual_ashrrev_i32 v25, 31, v24 :: v_dual_bitop2_b32 v10, 31, v31 bitop3:0x40
	v_dual_mov_b32 v39, 0 :: v_dual_bitop2_b32 v97, 31, v0 bitop3:0x40
	v_lshrrev_b32_e32 v48, 5, v1
	s_lshr_b32 s2, s15, 27
	s_delay_alu instid0(VALU_DEP_3) | instskip(NEXT) | instid1(VALU_DEP_3)
	v_cmp_eq_u32_e64 s4, 0, v10
	v_dual_mov_b32 v49, v39 :: v_dual_lshlrev_b32 v10, 1, v1
	s_delay_alu instid0(VALU_DEP_3)
	v_lshlrev_b32_e32 v52, 9, v48
	v_cmp_eq_u32_e32 vcc_lo, 32, v1
	s_wait_dscnt 0x1
	v_cmp_eq_u64_e64 s7, 0, v[36:37]
	v_mov_b64_e32 v[66:67], 0
	v_mov_b64_e32 v[28:29], 0
	v_cmp_ge_u32_e64 s1, v0, v1
	s_add_co_i32 s10, s15, s2
	v_cmp_ne_u32_e64 s2, 32, v1
	v_cmp_ne_u32_e64 s3, v1, v96
	v_cmp_le_u32_e64 s5, v97, v15
	v_cmp_lt_u32_e64 s6, v97, v15
	v_dual_mov_b32 v51, v39 :: v_dual_lshlrev_b32 v50, 4, v0
	v_dual_mov_b32 v53, v39 :: v_dual_lshlrev_b32 v54, 8, v48
	v_dual_mov_b32 v55, v39 :: v_dual_mov_b32 v65, v39
	v_and_b32_e32 v64, 0x3fc0, v10
	v_dual_mov_b32 v98, 1 :: v_dual_mov_b32 v99, 0x90
	s_ashr_i32 s20, s10, 5
	s_mov_b32 s19, 0
	s_xor_b32 s21, vcc_lo, -1
	s_trap 2
	s_branch .LBB2_49
.LBB2_47:                               ;   in Loop: Header=BB2_49 Depth=1
	s_wait_xcnt 0x0
	s_or_b32 exec_lo, exec_lo, s10
.LBB2_48:                               ;   in Loop: Header=BB2_49 Depth=1
	s_delay_alu instid0(SALU_CYCLE_1) | instskip(SKIP_1) | instid1(VALU_DEP_1)
	s_or_b32 exec_lo, exec_lo, s11
	v_add_nc_u64_e32 v[66:67], v[66:67], v[34:35]
	v_cmp_ge_u64_e32 vcc_lo, v[66:67], v[4:5]
	s_or_b32 s19, vcc_lo, s19
	s_delay_alu instid0(SALU_CYCLE_1)
	s_and_not1_b32 exec_lo, exec_lo, s19
	s_cbranch_execz .LBB2_306
.LBB2_49:                               ; =>This Loop Header: Depth=1
                                        ;     Child Loop BB2_58 Depth 2
                                        ;     Child Loop BB2_86 Depth 2
                                        ;     Child Loop BB2_105 Depth 2
                                        ;     Child Loop BB2_128 Depth 2
                                        ;     Child Loop BB2_165 Depth 2
                                        ;     Child Loop BB2_203 Depth 2
                                        ;     Child Loop BB2_224 Depth 2
                                        ;     Child Loop BB2_236 Depth 2
                                        ;     Child Loop BB2_261 Depth 2
                                        ;     Child Loop BB2_289 Depth 2
	v_sub_nc_u64_e32 v[10:11], v[4:5], v[66:67]
	s_delay_alu instid0(VALU_DEP_1) | instskip(NEXT) | instid1(VALU_DEP_1)
	v_min_u64 v[68:69], v[34:35], v[10:11]
	v_add_nc_u32_e32 v10, 15, v68
	s_delay_alu instid0(VALU_DEP_2) | instskip(NEXT) | instid1(VALU_DEP_2)
	v_cmp_eq_u64_e32 vcc_lo, 0, v[68:69]
	v_and_b32_e32 v10, 0x3ffffff0, v10
	s_or_b32 s22, s1, vcc_lo
	s_delay_alu instid0(SALU_CYCLE_1) | instskip(NEXT) | instid1(VALU_DEP_1)
	s_xor_b32 s10, s22, -1
	v_dual_mov_b32 v10, 0 :: v_dual_max_i32 v69, s20, v10
	s_and_saveexec_b32 s23, s10
	s_cbranch_execz .LBB2_254
; %bb.50:                               ;   in Loop: Header=BB2_49 Depth=1
	s_and_saveexec_b32 s10, s0
	s_cbranch_execz .LBB2_52
; %bb.51:                               ;   in Loop: Header=BB2_49 Depth=1
	s_trap 2
	ds_load_b64 v[10:11], v0
	v_mov_b64_e32 v[12:13], 0
	s_wait_dscnt 0x0
	v_lshl_add_u64 v[10:11], v[18:19], 1, v[10:11]
	s_delay_alu instid0(VALU_DEP_1)
	v_lshl_add_u64 v[10:11], v[66:67], 1, v[10:11]
	ds_store_b64 v0, v[10:11]
	ds_store_b64 v0, v[12:13]
.LBB2_52:                               ;   in Loop: Header=BB2_49 Depth=1
	s_or_b32 exec_lo, exec_lo, s10
	v_and_b32_e32 v10, 12, v30
	v_min_u32_e32 v69, v69, v68
	s_mov_b32 s11, exec_lo
	s_delay_alu instid0(VALU_DEP_2)
	v_cmpx_ne_u32_e32 0, v10
	s_cbranch_execz .LBB2_78
; %bb.53:                               ;   in Loop: Header=BB2_49 Depth=1
	s_wait_dscnt 0x0
	v_and_b32_e32 v38, 8, v30
	v_add_nc_u64_e32 v[10:11], 1, v[8:9]
	s_mov_b32 s12, exec_lo
	s_wait_loadcnt 0x0
	s_delay_alu instid0(VALU_DEP_2) | instskip(NEXT) | instid1(VALU_DEP_1)
	v_add_nc_u64_e32 v[12:13], v[32:33], v[38:39]
	v_cmpx_lt_u64_e64 v[12:13], v[10:11]
	s_cbranch_execz .LBB2_65
; %bb.54:                               ;   in Loop: Header=BB2_49 Depth=1
	v_and_b32_e32 v9, 64, v30
	s_mov_b32 s13, 0
	s_mov_b32 s27, 0
                                        ; implicit-def: $sgpr24
                                        ; implicit-def: $sgpr25
                                        ; implicit-def: $sgpr26
	s_delay_alu instid0(VALU_DEP_1)
	v_cmp_eq_u32_e32 vcc_lo, 0, v9
	s_branch .LBB2_58
.LBB2_55:                               ;   in Loop: Header=BB2_58 Depth=2
	s_wait_loadcnt_dscnt 0x0
	v_add_nc_u64_e32 v[12:13], v[32:33], v[38:39]
	s_or_b32 s40, s40, exec_lo
	s_delay_alu instid0(VALU_DEP_1)
	v_cmp_ge_u64_e64 s10, v[12:13], v[10:11]
	s_or_not1_b32 s29, s10, exec_lo
.LBB2_56:                               ;   in Loop: Header=BB2_58 Depth=2
	s_or_b32 exec_lo, exec_lo, s42
	s_delay_alu instid0(SALU_CYCLE_1)
	s_and_not1_b32 s10, s26, exec_lo
	s_and_b32 s26, s40, exec_lo
	s_and_not1_b32 s25, s25, exec_lo
	s_and_b32 s29, s29, exec_lo
	s_or_b32 s26, s10, s26
	s_or_b32 s25, s25, s29
.LBB2_57:                               ;   in Loop: Header=BB2_58 Depth=2
	s_or_b32 exec_lo, exec_lo, s28
	s_delay_alu instid0(SALU_CYCLE_1) | instskip(NEXT) | instid1(SALU_CYCLE_1)
	s_and_b32 s10, exec_lo, s25
	s_or_b32 s13, s10, s13
	s_and_not1_b32 s10, s24, exec_lo
	s_and_b32 s24, s26, exec_lo
	s_delay_alu instid0(SALU_CYCLE_1)
	s_or_b32 s24, s10, s24
	s_and_not1_b32 exec_lo, exec_lo, s13
	s_cbranch_execz .LBB2_62
.LBB2_58:                               ;   Parent Loop BB2_49 Depth=1
                                        ; =>  This Inner Loop Header: Depth=2
	s_sleep 1
	s_wait_loadcnt_dscnt 0x0
	flat_load_b64 v[32:33], v[22:23] scope:SCOPE_SYS
	s_or_b32 s26, s26, exec_lo
	s_or_b32 s25, s25, exec_lo
                                        ; implicit-def: $vgpr9
	s_wait_xcnt 0x0
	s_and_saveexec_b32 s28, vcc_lo
	s_cbranch_execz .LBB2_57
; %bb.59:                               ;   in Loop: Header=BB2_58 Depth=2
	s_cmp_lt_i32 s27, 0x270f
	s_mov_b32 s29, -1
	s_cselect_b32 s41, -1, 0
	s_cmp_gt_i32 s27, 0x270e
	s_cbranch_scc0 .LBB2_61
; %bb.60:                               ;   in Loop: Header=BB2_58 Depth=2
	s_trap 2
	ds_load_b64 v[12:13], v0
	s_and_not1_b32 s27, s41, exec_lo
	s_mov_b32 s40, 0
	s_wait_storecnt 0x0
	s_wait_loadcnt_dscnt 0x0
	flat_load_b32 v9, v[12:13] scope:SCOPE_SYS
	s_wait_loadcnt_dscnt 0x0
	global_inv scope:SCOPE_SYS
	v_cmp_eq_u32_e64 s10, 0, v9
	s_and_b32 s10, s10, exec_lo
	s_delay_alu instid0(SALU_CYCLE_1)
	s_or_b32 s41, s27, s10
	s_mov_b32 s27, 0
	s_and_saveexec_b32 s42, s41
	s_cbranch_execz .LBB2_56
	s_branch .LBB2_55
.LBB2_61:                               ;   in Loop: Header=BB2_58 Depth=2
	s_add_co_i32 s27, s27, 1
	s_mov_b32 s40, -1
                                        ; implicit-def: $vgpr9
	s_and_saveexec_b32 s42, s41
	s_cbranch_execz .LBB2_56
	s_branch .LBB2_55
.LBB2_62:                               ;   in Loop: Header=BB2_49 Depth=1
	s_or_b32 exec_lo, exec_lo, s13
	s_xor_b32 s10, s24, -1
	s_delay_alu instid0(SALU_CYCLE_1) | instskip(NEXT) | instid1(SALU_CYCLE_1)
	s_and_saveexec_b32 s13, s10
	s_xor_b32 s10, exec_lo, s13
	s_cbranch_execz .LBB2_64
; %bb.63:                               ;   in Loop: Header=BB2_49 Depth=1
	v_or_b32_e32 v30, 64, v30
	s_wait_storecnt 0x0
	s_wait_loadcnt_dscnt 0x0
	ds_store_b32 v0, v9
	s_trap 2
.LBB2_64:                               ;   in Loop: Header=BB2_49 Depth=1
	s_or_b32 exec_lo, exec_lo, s10
.LBB2_65:                               ;   in Loop: Header=BB2_49 Depth=1
	s_delay_alu instid0(SALU_CYCLE_1) | instskip(SKIP_2) | instid1(VALU_DEP_1)
	s_or_b32 exec_lo, exec_lo, s12
	v_and_b32_e32 v9, 0x108, v30
	;;#ASMSTART
	s_wakeup
	;;#ASMEND
	v_cmp_ne_u32_e32 vcc_lo, 0x108, v9
	v_and_b32_e32 v8, 7, v8
	s_and_saveexec_b32 s10, vcc_lo
	s_delay_alu instid0(SALU_CYCLE_1)
	s_xor_b32 s10, exec_lo, s10
; %bb.66:                               ;   in Loop: Header=BB2_49 Depth=1
	v_mov_b32_e32 v9, v39
; %bb.67:                               ;   in Loop: Header=BB2_49 Depth=1
	s_and_not1_saveexec_b32 s10, s10
	s_cbranch_execz .LBB2_69
; %bb.68:                               ;   in Loop: Header=BB2_49 Depth=1
	v_mad_nc_u64_u32 v[12:13], v8, 24, v[6:7]
	v_dual_mov_b32 v15, v39 :: v_dual_lshlrev_b32 v14, 1, v69
	v_mov_b32_e32 v9, v39
	flat_store_b64 v[12:13], v[14:15] offset:8
.LBB2_69:                               ;   in Loop: Header=BB2_49 Depth=1
	s_wait_xcnt 0x0
	s_or_b32 exec_lo, exec_lo, s10
	v_and_b32_e32 v12, 0x100, v30
	s_mov_b32 s10, -1
	s_delay_alu instid0(VALU_DEP_1)
	v_cmp_ne_u32_e32 vcc_lo, 0, v12
                                        ; implicit-def: $vgpr12_vgpr13
	s_and_saveexec_b32 s12, vcc_lo
	s_cbranch_execz .LBB2_73
; %bb.70:                               ;   in Loop: Header=BB2_49 Depth=1
	v_mad_nc_u64_u32 v[14:15], v8, 24, v[6:7]
	s_delay_alu instid0(VALU_DEP_1)
	v_mad_u32 v15, v9, 24, v15
	flat_load_b32 v12, v[14:15]
	s_wait_loadcnt_dscnt 0x0
	v_cmp_eq_u32_e64 s10, 1, v12
	v_cmp_ne_u32_e32 vcc_lo, 1, v12
                                        ; implicit-def: $vgpr12_vgpr13
	s_wait_xcnt 0x0
	s_and_saveexec_b32 s13, s10
	s_cbranch_execz .LBB2_72
; %bb.71:                               ;   in Loop: Header=BB2_49 Depth=1
	flat_load_b32 v12, v[14:15] offset:4 scope:SCOPE_SYS
	s_wait_loadcnt_dscnt 0x0
	v_ashrrev_i32_e32 v13, 31, v12
	s_delay_alu instid0(VALU_DEP_1)
	v_lshrrev_b64 v[12:13], 1, v[12:13]
.LBB2_72:                               ;   in Loop: Header=BB2_49 Depth=1
	s_wait_xcnt 0x0
	s_or_b32 exec_lo, exec_lo, s13
	s_delay_alu instid0(SALU_CYCLE_1)
	s_or_not1_b32 s10, vcc_lo, exec_lo
.LBB2_73:                               ;   in Loop: Header=BB2_49 Depth=1
	s_or_b32 exec_lo, exec_lo, s12
	s_and_saveexec_b32 s12, s10
; %bb.74:                               ;   in Loop: Header=BB2_49 Depth=1
	v_mul_u64_e32 v[12:13], v[8:9], v[24:25]
; %bb.75:                               ;   in Loop: Header=BB2_49 Depth=1
	s_or_b32 exec_lo, exec_lo, s12
	v_cmp_eq_u32_e32 vcc_lo, 0, v38
	v_and_b32_e32 v15, 0x2000, v30
	s_delay_alu instid0(VALU_DEP_3) | instskip(SKIP_2) | instid1(VALU_DEP_1)
	v_lshl_add_u64 v[8:9], v[12:13], 1, v[26:27]
	s_mov_b32 s10, exec_lo
	v_cndmask_b32_e32 v14, 0xc8, v99, vcc_lo
	v_add_nc_u32_e32 v12, v0, v14
	ds_store_b64 v12, v[8:9] offset:584
	v_cmpx_ne_u32_e32 0, v15
	s_cbranch_execz .LBB2_77
; %bb.76:                               ;   in Loop: Header=BB2_49 Depth=1
	ds_load_b64 v[8:9], v0 offset:872
	s_wait_dscnt 0x0
	v_add_nc_u64_e32 v[8:9], 1, v[8:9]
	ds_store_b64 v0, v[8:9] offset:872
.LBB2_77:                               ;   in Loop: Header=BB2_49 Depth=1
	s_or_b32 exec_lo, exec_lo, s10
	v_mov_b64_e32 v[8:9], v[10:11]
.LBB2_78:                               ;   in Loop: Header=BB2_49 Depth=1
	s_or_b32 exec_lo, exec_lo, s11
	s_and_saveexec_b32 s10, s2
	s_cbranch_execz .LBB2_97
; %bb.79:                               ;   in Loop: Header=BB2_49 Depth=1
	s_and_saveexec_b32 s11, s3
	s_delay_alu instid0(SALU_CYCLE_1)
	s_xor_b32 s11, exec_lo, s11
	s_cbranch_execz .LBB2_94
; %bb.80:                               ;   in Loop: Header=BB2_49 Depth=1
	s_and_saveexec_b32 s12, s4
	s_cbranch_execz .LBB2_93
; %bb.81:                               ;   in Loop: Header=BB2_49 Depth=1
	s_mov_b32 s24, exec_lo
	s_mov_b32 s13, exec_lo
	v_mbcnt_lo_u32_b32 v10, s24, 0
	global_wb scope:SCOPE_DEV
	s_wait_storecnt 0x0
	s_wait_loadcnt_dscnt 0x0
	global_inv scope:SCOPE_DEV
	v_cmpx_eq_u32_e32 0, v10
	s_cbranch_execz .LBB2_83
; %bb.82:                               ;   in Loop: Header=BB2_49 Depth=1
	s_bcnt1_i32_b32 s24, s24
	s_delay_alu instid0(SALU_CYCLE_1)
	v_mov_b32_e32 v38, s24
	s_wait_loadcnt 0x0
	ds_add_u64 v0, v[38:39]
	s_trap 2
.LBB2_83:                               ;   in Loop: Header=BB2_49 Depth=1
	s_or_b32 exec_lo, exec_lo, s13
	s_trap 2
	ds_load_b64 v[10:11], v0
	s_wait_dscnt 0x0
	v_add_nc_u64_e32 v[28:29], v[28:29], v[48:49]
	s_mov_b32 s13, exec_lo
	s_delay_alu instid0(VALU_DEP_1)
	v_cmpx_lt_u64_e64 v[10:11], v[28:29]
	s_cbranch_execz .LBB2_92
; %bb.84:                               ;   in Loop: Header=BB2_49 Depth=1
	s_mov_b32 s24, 0
	s_mov_b32 s27, 0
                                        ; implicit-def: $sgpr25
                                        ; implicit-def: $sgpr26
	s_branch .LBB2_86
.LBB2_85:                               ;   in Loop: Header=BB2_86 Depth=2
	s_or_b32 exec_lo, exec_lo, s29
	s_delay_alu instid0(SALU_CYCLE_1) | instskip(NEXT) | instid1(SALU_CYCLE_1)
	s_and_b32 s28, exec_lo, s40
	s_or_b32 s24, s28, s24
	s_and_not1_b32 s25, s25, exec_lo
	s_and_b32 s28, s26, exec_lo
	s_delay_alu instid0(SALU_CYCLE_1)
	s_or_b32 s25, s25, s28
	s_and_not1_b32 exec_lo, exec_lo, s24
	s_cbranch_execz .LBB2_90
.LBB2_86:                               ;   Parent Loop BB2_49 Depth=1
                                        ; =>  This Inner Loop Header: Depth=2
	s_add_co_i32 s27, s27, 1
	s_delay_alu instid0(SALU_CYCLE_1) | instskip(SKIP_1) | instid1(SALU_CYCLE_1)
	s_cmp_lg_u32 s27, 0x2710
	s_cselect_b32 s28, -1, 0
	s_and_b32 vcc_lo, exec_lo, s28
	s_cbranch_vccz .LBB2_88
; %bb.87:                               ;   in Loop: Header=BB2_86 Depth=2
	s_mov_b32 s40, -1
	s_or_b32 s26, s26, exec_lo
	s_and_saveexec_b32 s29, s28
	s_cbranch_execz .LBB2_85
	s_branch .LBB2_89
.LBB2_88:                               ;   in Loop: Header=BB2_86 Depth=2
	s_trap 2
	ds_load_b64 v[10:11], v0
	s_and_not1_b32 s28, s28, exec_lo
	s_mov_b32 s27, 0
	s_wait_loadcnt_dscnt 0x0
	flat_load_b32 v10, v[10:11] scope:SCOPE_SYS
	s_wait_loadcnt_dscnt 0x0
	global_inv scope:SCOPE_SYS
	v_cmp_eq_u32_e32 vcc_lo, 0, v10
	s_and_b32 s29, vcc_lo, exec_lo
	s_delay_alu instid0(SALU_CYCLE_1)
	s_or_b32 s28, s28, s29
	s_mov_b32 s40, -1
	s_or_b32 s26, s26, exec_lo
	s_and_saveexec_b32 s29, s28
	s_cbranch_execz .LBB2_85
.LBB2_89:                               ;   in Loop: Header=BB2_86 Depth=2
	s_sleep 1
	s_trap 2
	ds_load_b64 v[10:11], v0
	s_wait_dscnt 0x0
	s_and_not1_b32 s26, s26, exec_lo
	v_cmp_ge_u64_e32 vcc_lo, v[10:11], v[28:29]
	s_or_not1_b32 s40, vcc_lo, exec_lo
	s_branch .LBB2_85
.LBB2_90:                               ;   in Loop: Header=BB2_49 Depth=1
	s_or_b32 exec_lo, exec_lo, s24
	s_and_saveexec_b32 s24, s25
	s_delay_alu instid0(SALU_CYCLE_1)
	s_xor_b32 s24, exec_lo, s24
	s_cbranch_execz .LBB2_92
; %bb.91:                               ;   in Loop: Header=BB2_49 Depth=1
	ds_store_b32 v0, v98
	s_trap 2
.LBB2_92:                               ;   in Loop: Header=BB2_49 Depth=1
	s_or_b32 exec_lo, exec_lo, s13
	;;#ASMSTART
	s_wakeup
	;;#ASMEND
.LBB2_93:                               ;   in Loop: Header=BB2_49 Depth=1
	s_or_b32 exec_lo, exec_lo, s12
.LBB2_94:                               ;   in Loop: Header=BB2_49 Depth=1
	s_and_not1_saveexec_b32 s11, s11
	s_cbranch_execz .LBB2_96
; %bb.95:                               ;   in Loop: Header=BB2_49 Depth=1
	global_wb scope:SCOPE_DEV
	s_wait_storecnt 0x0
	s_wait_loadcnt_dscnt 0x0
	global_inv scope:SCOPE_DEV
	s_barrier_signal -1
	s_barrier_wait -1
.LBB2_96:                               ;   in Loop: Header=BB2_49 Depth=1
	s_or_b32 exec_lo, exec_lo, s11
.LBB2_97:                               ;   in Loop: Header=BB2_49 Depth=1
	s_delay_alu instid0(SALU_CYCLE_1) | instskip(SKIP_3) | instid1(VALU_DEP_1)
	s_or_b32 exec_lo, exec_lo, s10
	s_trap 2
	ds_load_b32 v10, v0
	v_and_b32_e32 v11, 0x4000, v30
	v_cmp_ne_u32_e32 vcc_lo, 0, v11
	s_and_b32 s11, s21, vcc_lo
	s_delay_alu instid0(SALU_CYCLE_1)
	s_and_saveexec_b32 s10, s11
	s_cbranch_execz .LBB2_116
; %bb.98:                               ;   in Loop: Header=BB2_49 Depth=1
	s_and_saveexec_b32 s11, s3
	s_delay_alu instid0(SALU_CYCLE_1)
	s_xor_b32 s11, exec_lo, s11
	s_cbranch_execz .LBB2_113
; %bb.99:                               ;   in Loop: Header=BB2_49 Depth=1
	s_and_saveexec_b32 s12, s4
	s_cbranch_execz .LBB2_112
; %bb.100:                              ;   in Loop: Header=BB2_49 Depth=1
	s_mov_b32 s24, exec_lo
	s_mov_b32 s13, exec_lo
	v_mbcnt_lo_u32_b32 v11, s24, 0
	global_wb scope:SCOPE_DEV
	s_wait_storecnt 0x0
	s_wait_loadcnt_dscnt 0x0
	global_inv scope:SCOPE_DEV
	v_cmpx_eq_u32_e32 0, v11
	s_cbranch_execz .LBB2_102
; %bb.101:                              ;   in Loop: Header=BB2_49 Depth=1
	s_bcnt1_i32_b32 s24, s24
	s_delay_alu instid0(SALU_CYCLE_1)
	v_mov_b32_e32 v38, s24
	s_wait_loadcnt 0x0
	ds_add_u64 v0, v[38:39]
	s_trap 2
.LBB2_102:                              ;   in Loop: Header=BB2_49 Depth=1
	s_or_b32 exec_lo, exec_lo, s13
	s_trap 2
	ds_load_b64 v[12:13], v0
	s_wait_dscnt 0x0
	v_add_nc_u64_e32 v[28:29], v[28:29], v[48:49]
	s_mov_b32 s13, exec_lo
	s_delay_alu instid0(VALU_DEP_1)
	v_cmpx_lt_u64_e64 v[12:13], v[28:29]
	s_cbranch_execz .LBB2_111
; %bb.103:                              ;   in Loop: Header=BB2_49 Depth=1
	s_mov_b32 s24, 0
	s_mov_b32 s27, 0
                                        ; implicit-def: $sgpr25
                                        ; implicit-def: $sgpr26
	s_branch .LBB2_105
.LBB2_104:                              ;   in Loop: Header=BB2_105 Depth=2
	s_or_b32 exec_lo, exec_lo, s29
	s_delay_alu instid0(SALU_CYCLE_1) | instskip(NEXT) | instid1(SALU_CYCLE_1)
	s_and_b32 s28, exec_lo, s40
	s_or_b32 s24, s28, s24
	s_and_not1_b32 s25, s25, exec_lo
	s_and_b32 s28, s26, exec_lo
	s_delay_alu instid0(SALU_CYCLE_1)
	s_or_b32 s25, s25, s28
	s_and_not1_b32 exec_lo, exec_lo, s24
	s_cbranch_execz .LBB2_109
.LBB2_105:                              ;   Parent Loop BB2_49 Depth=1
                                        ; =>  This Inner Loop Header: Depth=2
	s_add_co_i32 s27, s27, 1
	s_delay_alu instid0(SALU_CYCLE_1) | instskip(SKIP_1) | instid1(SALU_CYCLE_1)
	s_cmp_lg_u32 s27, 0x2710
	s_cselect_b32 s28, -1, 0
	s_and_b32 vcc_lo, exec_lo, s28
	s_cbranch_vccz .LBB2_107
; %bb.106:                              ;   in Loop: Header=BB2_105 Depth=2
	s_mov_b32 s40, -1
	s_or_b32 s26, s26, exec_lo
	s_and_saveexec_b32 s29, s28
	s_cbranch_execz .LBB2_104
	s_branch .LBB2_108
.LBB2_107:                              ;   in Loop: Header=BB2_105 Depth=2
	s_trap 2
	ds_load_b64 v[12:13], v0
	s_and_not1_b32 s28, s28, exec_lo
	s_mov_b32 s27, 0
	s_wait_loadcnt_dscnt 0x0
	flat_load_b32 v11, v[12:13] scope:SCOPE_SYS
	s_wait_loadcnt_dscnt 0x0
	global_inv scope:SCOPE_SYS
	v_cmp_eq_u32_e32 vcc_lo, 0, v11
	s_and_b32 s29, vcc_lo, exec_lo
	s_delay_alu instid0(SALU_CYCLE_1)
	s_or_b32 s28, s28, s29
	s_mov_b32 s40, -1
	s_or_b32 s26, s26, exec_lo
	s_and_saveexec_b32 s29, s28
	s_cbranch_execz .LBB2_104
.LBB2_108:                              ;   in Loop: Header=BB2_105 Depth=2
	s_sleep 1
	s_trap 2
	ds_load_b64 v[12:13], v0
	s_wait_dscnt 0x0
	s_and_not1_b32 s26, s26, exec_lo
	v_cmp_ge_u64_e32 vcc_lo, v[12:13], v[28:29]
	s_or_not1_b32 s40, vcc_lo, exec_lo
	s_branch .LBB2_104
.LBB2_109:                              ;   in Loop: Header=BB2_49 Depth=1
	s_or_b32 exec_lo, exec_lo, s24
	s_and_saveexec_b32 s24, s25
	s_delay_alu instid0(SALU_CYCLE_1)
	s_xor_b32 s24, exec_lo, s24
	s_cbranch_execz .LBB2_111
; %bb.110:                              ;   in Loop: Header=BB2_49 Depth=1
	ds_store_b32 v0, v98
	s_trap 2
.LBB2_111:                              ;   in Loop: Header=BB2_49 Depth=1
	s_or_b32 exec_lo, exec_lo, s13
	;;#ASMSTART
	s_wakeup
	;;#ASMEND
.LBB2_112:                              ;   in Loop: Header=BB2_49 Depth=1
	s_or_b32 exec_lo, exec_lo, s12
.LBB2_113:                              ;   in Loop: Header=BB2_49 Depth=1
	s_and_not1_saveexec_b32 s11, s11
	s_cbranch_execz .LBB2_115
; %bb.114:                              ;   in Loop: Header=BB2_49 Depth=1
	global_wb scope:SCOPE_DEV
	s_wait_storecnt 0x0
	s_wait_loadcnt_dscnt 0x0
	global_inv scope:SCOPE_DEV
	s_barrier_signal -1
	s_barrier_wait -1
.LBB2_115:                              ;   in Loop: Header=BB2_49 Depth=1
	s_or_b32 exec_lo, exec_lo, s11
.LBB2_116:                              ;   in Loop: Header=BB2_49 Depth=1
	s_delay_alu instid0(SALU_CYCLE_1)
	s_or_b32 exec_lo, exec_lo, s10
	s_trap 2
	ds_load_b64 v[70:71], v0
	s_wait_dscnt 0x0
	v_cmp_eq_u64_e32 vcc_lo, 0, v[70:71]
	s_cbranch_vccnz .LBB2_124
; %bb.117:                              ;   in Loop: Header=BB2_49 Depth=1
	s_trap 2
	ds_load_b64 v[80:81], v0
	s_wait_dscnt 0x0
	v_cmp_eq_u64_e32 vcc_lo, 0, v[80:81]
	s_cbranch_vccnz .LBB2_124
; %bb.118:                              ;   in Loop: Header=BB2_49 Depth=1
	s_trap 2
	ds_load_b64 v[12:13], v0
	s_mov_b32 s10, -1
	s_wait_dscnt 0x0
	v_readfirstlane_b32 s12, v12
	v_readfirstlane_b32 s13, v13
	s_and_saveexec_b32 s11, s5
	s_cbranch_execz .LBB2_120
; %bb.119:                              ;   in Loop: Header=BB2_49 Depth=1
	ds_load_b32 v11, v0 offset:720
	s_wait_dscnt 0x0
	v_and_b32_e32 v11, 15, v11
	s_delay_alu instid0(VALU_DEP_1)
	v_cmp_eq_u32_e32 vcc_lo, 0, v11
	s_or_not1_b32 s10, vcc_lo, exec_lo
.LBB2_120:                              ;   in Loop: Header=BB2_49 Depth=1
	s_or_b32 exec_lo, exec_lo, s11
	s_and_saveexec_b32 s11, s6
	s_cbranch_execz .LBB2_122
; %bb.121:                              ;   in Loop: Header=BB2_49 Depth=1
	ds_load_b32 v11, v0 offset:784
	s_wait_dscnt 0x0
	v_and_b32_e32 v11, 15, v11
	s_delay_alu instid0(VALU_DEP_1) | instskip(SKIP_3) | instid1(SALU_CYCLE_1)
	v_cmp_eq_u32_e32 vcc_lo, 0, v11
	s_and_b32 s24, s10, vcc_lo
	s_and_not1_b32 s10, s10, exec_lo
	s_and_b32 s24, s24, exec_lo
	s_or_b32 s10, s10, s24
.LBB2_122:                              ;   in Loop: Header=BB2_49 Depth=1
	s_or_b32 exec_lo, exec_lo, s11
	v_cmp_eq_u32_e32 vcc_lo, 0, v10
	s_xor_b32 s10, s10, -1
	s_mov_b32 s25, -1
	v_cndmask_b32_e64 v11, 0, 1, s10
	v_dual_mov_b32 v16, 0 :: v_dual_cndmask_b32 v38, 0, v69, vcc_lo
	s_delay_alu instid0(VALU_DEP_2) | instskip(NEXT) | instid1(VALU_DEP_2)
	v_cmp_ne_u32_e32 vcc_lo, 0, v11
	v_lshlrev_b32_e32 v100, 1, v38
	s_cbranch_vccz .LBB2_125
; %bb.123:                              ;   in Loop: Header=BB2_49 Depth=1
	v_mov_b32_e32 v17, v0
	s_and_saveexec_b32 s11, s25
	s_cbranch_execnz .LBB2_200
	s_branch .LBB2_228
.LBB2_124:                              ;   in Loop: Header=BB2_49 Depth=1
	s_mov_b32 s10, 0
	s_and_saveexec_b32 s11, s2
	s_cbranch_execnz .LBB2_229
	s_branch .LBB2_247
.LBB2_125:                              ;   in Loop: Header=BB2_49 Depth=1
	v_dual_lshrrev_b32 v10, 8, v38 :: v_dual_lshrrev_b32 v11, 5, v0
	s_mov_b32 s24, exec_lo
	s_delay_alu instid0(VALU_DEP_2) | instskip(NEXT) | instid1(VALU_DEP_2)
	v_sub_nc_u32_e32 v102, v100, v50
	v_dual_lshlrev_b32 v101, 9, v10 :: v_dual_sub_nc_u32 v10, v10, v11
	s_delay_alu instid0(VALU_DEP_1) | instskip(NEXT) | instid1(VALU_DEP_1)
	v_sub_nc_u32_e32 v103, v100, v101
	v_cmp_lt_i32_e32 vcc_lo, 15, v103
	s_delay_alu instid0(VALU_DEP_3)
	v_add_co_ci_u32_e64 v112, null, 0, v10, vcc_lo
	v_cmpx_lt_i32_e32 15, v102
	s_cbranch_execz .LBB2_161
; %bb.126:                              ;   in Loop: Header=BB2_49 Depth=1
	s_trap 2
	ds_load_b64 v[10:11], v0
	v_add_nc_u64_e32 v[82:83], v[70:71], v[50:51]
	v_add_nc_u64_e32 v[86:87], v[80:81], v[50:51]
	s_bitcmp0_b64 s[12:13], 0
	s_mov_b32 s25, 0
	s_cselect_b32 s10, -1, 0
	s_wait_dscnt 0x0
	v_add_nc_u64_e32 v[84:85], v[10:11], v[50:51]
	s_branch .LBB2_128
.LBB2_127:                              ;   in Loop: Header=BB2_128 Depth=2
	s_or_b32 exec_lo, exec_lo, s26
	v_dual_lshrrev_b32 v14, 16, v14 :: v_dual_lshrrev_b32 v17, 16, v113
	v_dual_lshrrev_b32 v15, 16, v15 :: v_dual_lshrrev_b32 v16, 16, v16
	v_sub_nc_u32_e32 v102, v102, v52
	s_delay_alu instid0(VALU_DEP_3) | instskip(NEXT) | instid1(VALU_DEP_4)
	v_and_or_b32 v11, 0xffff0000, v11, v14
	v_and_or_b32 v10, 0xffff0000, v10, v17
	s_delay_alu instid0(VALU_DEP_4)
	v_and_or_b32 v12, 0xffff0000, v12, v15
	v_and_or_b32 v13, 0xffff0000, v13, v16
	v_add_nc_u64_e32 v[82:83], v[82:83], v[52:53]
	v_add_nc_u64_e32 v[84:85], v[84:85], v[52:53]
	v_cmp_gt_i32_e64 s11, 16, v102
	v_sub_nc_u32_e32 v112, v112, v48
	global_store_b128 v[86:87], v[10:13], off th:TH_STORE_NT
	s_wait_xcnt 0x0
	v_add_nc_u64_e32 v[86:87], v[86:87], v[52:53]
	s_or_b32 s25, s11, s25
	s_delay_alu instid0(SALU_CYCLE_1)
	s_and_not1_b32 exec_lo, exec_lo, s25
	s_cbranch_execz .LBB2_160
.LBB2_128:                              ;   Parent Loop BB2_49 Depth=1
                                        ; =>  This Inner Loop Header: Depth=2
	global_load_b128 v[14:17], v[84:85], off th:TH_LOAD_NT
	global_load_b128 v[10:13], v[82:83], off th:TH_LOAD_NT
	s_wait_loadcnt 0x1
	v_lshlrev_b32_e32 v113, 16, v14
	s_wait_loadcnt 0x0
	s_delay_alu instid0(VALU_DEP_1) | instskip(NEXT) | instid1(VALU_DEP_1)
	v_dual_max_num_f32 v113, v113, v113 :: v_dual_lshlrev_b32 v114, 16, v10
	v_max_num_f32_e32 v114, v114, v114
	s_delay_alu instid0(VALU_DEP_1) | instskip(NEXT) | instid1(VALU_DEP_1)
	v_dual_min_num_f32 v115, v114, v113 :: v_dual_max_num_f32 v113, v114, v113
	v_cndmask_b32_e64 v114, v113, v115, s10
	s_delay_alu instid0(VALU_DEP_1) | instskip(NEXT) | instid1(VALU_DEP_1)
	v_and_b32_e32 v113, 0x7f800000, v114
	v_cmp_ne_u32_e64 s11, 0x7f800000, v113
                                        ; implicit-def: $vgpr113
	s_wait_xcnt 0x0
	s_and_saveexec_b32 s26, s11
	s_delay_alu instid0(SALU_CYCLE_1)
	s_xor_b32 s11, exec_lo, s26
; %bb.129:                              ;   in Loop: Header=BB2_128 Depth=2
	v_bfe_u32 v113, v114, 16, 1
	s_delay_alu instid0(VALU_DEP_1)
	v_add3_u32 v113, v114, v113, 0x7fff
                                        ; implicit-def: $vgpr114
; %bb.130:                              ;   in Loop: Header=BB2_128 Depth=2
	s_and_not1_saveexec_b32 s26, s11
; %bb.131:                              ;   in Loop: Header=BB2_128 Depth=2
	v_and_b32_e32 v113, 0xffff, v114
	v_or_b32_e32 v115, 0x10000, v114
	s_delay_alu instid0(VALU_DEP_2) | instskip(NEXT) | instid1(VALU_DEP_1)
	v_cmp_eq_u32_e64 s11, 0, v113
	v_cndmask_b32_e64 v113, v115, v114, s11
; %bb.132:                              ;   in Loop: Header=BB2_128 Depth=2
	s_or_b32 exec_lo, exec_lo, s26
	v_and_b32_e32 v14, 0xffff0000, v14
	v_and_b32_e32 v10, 0xffff0000, v10
	s_delay_alu instid0(VALU_DEP_2) | instskip(NEXT) | instid1(VALU_DEP_2)
	v_max_num_f32_e32 v14, v14, v14
	v_max_num_f32_e32 v10, v10, v10
	s_delay_alu instid0(VALU_DEP_1) | instskip(NEXT) | instid1(VALU_DEP_1)
	v_dual_min_num_f32 v114, v10, v14 :: v_dual_max_num_f32 v10, v10, v14
	v_cndmask_b32_e64 v14, v10, v114, s10
	s_delay_alu instid0(VALU_DEP_1) | instskip(NEXT) | instid1(VALU_DEP_1)
	v_and_b32_e32 v10, 0x7f800000, v14
	v_cmp_ne_u32_e64 s11, 0x7f800000, v10
                                        ; implicit-def: $vgpr10
	s_and_saveexec_b32 s26, s11
	s_delay_alu instid0(SALU_CYCLE_1)
	s_xor_b32 s11, exec_lo, s26
; %bb.133:                              ;   in Loop: Header=BB2_128 Depth=2
	v_bfe_u32 v10, v14, 16, 1
	s_delay_alu instid0(VALU_DEP_1)
	v_add3_u32 v10, v14, v10, 0x7fff
                                        ; implicit-def: $vgpr14
; %bb.134:                              ;   in Loop: Header=BB2_128 Depth=2
	s_and_not1_saveexec_b32 s26, s11
; %bb.135:                              ;   in Loop: Header=BB2_128 Depth=2
	v_and_b32_e32 v10, 0xffff, v14
	v_or_b32_e32 v114, 0x10000, v14
	s_delay_alu instid0(VALU_DEP_2) | instskip(NEXT) | instid1(VALU_DEP_1)
	v_cmp_eq_u32_e64 s11, 0, v10
	v_cndmask_b32_e64 v10, v114, v14, s11
; %bb.136:                              ;   in Loop: Header=BB2_128 Depth=2
	s_or_b32 exec_lo, exec_lo, s26
	v_lshlrev_b32_e32 v114, 16, v11
	s_delay_alu instid0(VALU_DEP_1) | instskip(NEXT) | instid1(VALU_DEP_1)
	v_dual_lshlrev_b32 v14, 16, v15 :: v_dual_max_num_f32 v114, v114, v114
	v_max_num_f32_e32 v14, v14, v14
	s_delay_alu instid0(VALU_DEP_1) | instskip(NEXT) | instid1(VALU_DEP_1)
	v_dual_min_num_f32 v115, v114, v14 :: v_dual_max_num_f32 v14, v114, v14
	v_cndmask_b32_e64 v114, v14, v115, s10
	s_delay_alu instid0(VALU_DEP_1) | instskip(NEXT) | instid1(VALU_DEP_1)
	v_and_b32_e32 v14, 0x7f800000, v114
	v_cmp_ne_u32_e64 s11, 0x7f800000, v14
                                        ; implicit-def: $vgpr14
	s_and_saveexec_b32 s26, s11
	s_delay_alu instid0(SALU_CYCLE_1)
	s_xor_b32 s11, exec_lo, s26
; %bb.137:                              ;   in Loop: Header=BB2_128 Depth=2
	v_bfe_u32 v14, v114, 16, 1
	s_delay_alu instid0(VALU_DEP_1)
	v_add3_u32 v14, v114, v14, 0x7fff
                                        ; implicit-def: $vgpr114
; %bb.138:                              ;   in Loop: Header=BB2_128 Depth=2
	s_and_not1_saveexec_b32 s26, s11
; %bb.139:                              ;   in Loop: Header=BB2_128 Depth=2
	v_and_b32_e32 v14, 0xffff, v114
	v_or_b32_e32 v115, 0x10000, v114
	s_delay_alu instid0(VALU_DEP_2) | instskip(NEXT) | instid1(VALU_DEP_1)
	v_cmp_eq_u32_e64 s11, 0, v14
	v_cndmask_b32_e64 v14, v115, v114, s11
; %bb.140:                              ;   in Loop: Header=BB2_128 Depth=2
	s_or_b32 exec_lo, exec_lo, s26
	v_and_b32_e32 v15, 0xffff0000, v15
	v_and_b32_e32 v11, 0xffff0000, v11
	s_delay_alu instid0(VALU_DEP_2) | instskip(NEXT) | instid1(VALU_DEP_2)
	v_max_num_f32_e32 v15, v15, v15
	v_max_num_f32_e32 v11, v11, v11
	s_delay_alu instid0(VALU_DEP_1) | instskip(NEXT) | instid1(VALU_DEP_1)
	v_dual_min_num_f32 v114, v11, v15 :: v_dual_max_num_f32 v11, v11, v15
	v_cndmask_b32_e64 v15, v11, v114, s10
	s_delay_alu instid0(VALU_DEP_1) | instskip(NEXT) | instid1(VALU_DEP_1)
	v_and_b32_e32 v11, 0x7f800000, v15
	v_cmp_ne_u32_e64 s11, 0x7f800000, v11
                                        ; implicit-def: $vgpr11
	s_and_saveexec_b32 s26, s11
	s_delay_alu instid0(SALU_CYCLE_1)
	s_xor_b32 s11, exec_lo, s26
; %bb.141:                              ;   in Loop: Header=BB2_128 Depth=2
	v_bfe_u32 v11, v15, 16, 1
	s_delay_alu instid0(VALU_DEP_1)
	v_add3_u32 v11, v15, v11, 0x7fff
                                        ; implicit-def: $vgpr15
; %bb.142:                              ;   in Loop: Header=BB2_128 Depth=2
	s_and_not1_saveexec_b32 s26, s11
; %bb.143:                              ;   in Loop: Header=BB2_128 Depth=2
	v_and_b32_e32 v11, 0xffff, v15
	v_or_b32_e32 v114, 0x10000, v15
	s_delay_alu instid0(VALU_DEP_2) | instskip(NEXT) | instid1(VALU_DEP_1)
	v_cmp_eq_u32_e64 s11, 0, v11
	v_cndmask_b32_e64 v11, v114, v15, s11
; %bb.144:                              ;   in Loop: Header=BB2_128 Depth=2
	s_or_b32 exec_lo, exec_lo, s26
	v_lshlrev_b32_e32 v114, 16, v12
	s_delay_alu instid0(VALU_DEP_1) | instskip(NEXT) | instid1(VALU_DEP_1)
	v_dual_max_num_f32 v114, v114, v114 :: v_dual_lshlrev_b32 v15, 16, v16
	v_max_num_f32_e32 v15, v15, v15
	s_delay_alu instid0(VALU_DEP_1) | instskip(NEXT) | instid1(VALU_DEP_1)
	v_dual_min_num_f32 v115, v114, v15 :: v_dual_max_num_f32 v15, v114, v15
	v_cndmask_b32_e64 v114, v15, v115, s10
	s_delay_alu instid0(VALU_DEP_1) | instskip(NEXT) | instid1(VALU_DEP_1)
	v_and_b32_e32 v15, 0x7f800000, v114
	v_cmp_ne_u32_e64 s11, 0x7f800000, v15
                                        ; implicit-def: $vgpr15
	s_and_saveexec_b32 s26, s11
	s_delay_alu instid0(SALU_CYCLE_1)
	s_xor_b32 s11, exec_lo, s26
; %bb.145:                              ;   in Loop: Header=BB2_128 Depth=2
	v_bfe_u32 v15, v114, 16, 1
	s_delay_alu instid0(VALU_DEP_1)
	v_add3_u32 v15, v114, v15, 0x7fff
                                        ; implicit-def: $vgpr114
; %bb.146:                              ;   in Loop: Header=BB2_128 Depth=2
	s_and_not1_saveexec_b32 s26, s11
; %bb.147:                              ;   in Loop: Header=BB2_128 Depth=2
	v_and_b32_e32 v15, 0xffff, v114
	v_or_b32_e32 v115, 0x10000, v114
	s_delay_alu instid0(VALU_DEP_2) | instskip(NEXT) | instid1(VALU_DEP_1)
	v_cmp_eq_u32_e64 s11, 0, v15
	v_cndmask_b32_e64 v15, v115, v114, s11
; %bb.148:                              ;   in Loop: Header=BB2_128 Depth=2
	s_or_b32 exec_lo, exec_lo, s26
	v_and_b32_e32 v16, 0xffff0000, v16
	v_and_b32_e32 v12, 0xffff0000, v12
	s_delay_alu instid0(VALU_DEP_2) | instskip(NEXT) | instid1(VALU_DEP_2)
	v_max_num_f32_e32 v16, v16, v16
	v_max_num_f32_e32 v12, v12, v12
	s_delay_alu instid0(VALU_DEP_1) | instskip(NEXT) | instid1(VALU_DEP_1)
	v_dual_min_num_f32 v114, v12, v16 :: v_dual_max_num_f32 v12, v12, v16
	v_cndmask_b32_e64 v16, v12, v114, s10
	s_delay_alu instid0(VALU_DEP_1) | instskip(NEXT) | instid1(VALU_DEP_1)
	v_and_b32_e32 v12, 0x7f800000, v16
	v_cmp_ne_u32_e64 s11, 0x7f800000, v12
                                        ; implicit-def: $vgpr12
	s_and_saveexec_b32 s26, s11
	s_delay_alu instid0(SALU_CYCLE_1)
	s_xor_b32 s11, exec_lo, s26
; %bb.149:                              ;   in Loop: Header=BB2_128 Depth=2
	v_bfe_u32 v12, v16, 16, 1
	s_delay_alu instid0(VALU_DEP_1)
	v_add3_u32 v12, v16, v12, 0x7fff
                                        ; implicit-def: $vgpr16
; %bb.150:                              ;   in Loop: Header=BB2_128 Depth=2
	s_and_not1_saveexec_b32 s26, s11
; %bb.151:                              ;   in Loop: Header=BB2_128 Depth=2
	v_and_b32_e32 v12, 0xffff, v16
	v_or_b32_e32 v114, 0x10000, v16
	s_delay_alu instid0(VALU_DEP_2) | instskip(NEXT) | instid1(VALU_DEP_1)
	v_cmp_eq_u32_e64 s11, 0, v12
	v_cndmask_b32_e64 v12, v114, v16, s11
; %bb.152:                              ;   in Loop: Header=BB2_128 Depth=2
	s_or_b32 exec_lo, exec_lo, s26
	v_lshlrev_b32_e32 v114, 16, v13
	s_delay_alu instid0(VALU_DEP_1) | instskip(NEXT) | instid1(VALU_DEP_1)
	v_dual_lshlrev_b32 v16, 16, v17 :: v_dual_max_num_f32 v114, v114, v114
	v_max_num_f32_e32 v16, v16, v16
	s_delay_alu instid0(VALU_DEP_1) | instskip(NEXT) | instid1(VALU_DEP_1)
	v_dual_min_num_f32 v115, v114, v16 :: v_dual_max_num_f32 v16, v114, v16
	v_cndmask_b32_e64 v114, v16, v115, s10
	s_delay_alu instid0(VALU_DEP_1) | instskip(NEXT) | instid1(VALU_DEP_1)
	v_and_b32_e32 v16, 0x7f800000, v114
	v_cmp_ne_u32_e64 s11, 0x7f800000, v16
                                        ; implicit-def: $vgpr16
	s_and_saveexec_b32 s26, s11
	s_delay_alu instid0(SALU_CYCLE_1)
	s_xor_b32 s11, exec_lo, s26
; %bb.153:                              ;   in Loop: Header=BB2_128 Depth=2
	v_bfe_u32 v16, v114, 16, 1
	s_delay_alu instid0(VALU_DEP_1)
	v_add3_u32 v16, v114, v16, 0x7fff
                                        ; implicit-def: $vgpr114
; %bb.154:                              ;   in Loop: Header=BB2_128 Depth=2
	s_and_not1_saveexec_b32 s26, s11
; %bb.155:                              ;   in Loop: Header=BB2_128 Depth=2
	v_and_b32_e32 v16, 0xffff, v114
	v_or_b32_e32 v115, 0x10000, v114
	s_delay_alu instid0(VALU_DEP_2) | instskip(NEXT) | instid1(VALU_DEP_1)
	v_cmp_eq_u32_e64 s11, 0, v16
	v_cndmask_b32_e64 v16, v115, v114, s11
; %bb.156:                              ;   in Loop: Header=BB2_128 Depth=2
	s_or_b32 exec_lo, exec_lo, s26
	v_and_b32_e32 v17, 0xffff0000, v17
	v_and_b32_e32 v13, 0xffff0000, v13
	s_delay_alu instid0(VALU_DEP_2) | instskip(NEXT) | instid1(VALU_DEP_2)
	v_max_num_f32_e32 v17, v17, v17
	v_max_num_f32_e32 v13, v13, v13
	s_delay_alu instid0(VALU_DEP_1) | instskip(NEXT) | instid1(VALU_DEP_1)
	v_dual_min_num_f32 v114, v13, v17 :: v_dual_max_num_f32 v13, v13, v17
	v_cndmask_b32_e64 v17, v13, v114, s10
	s_delay_alu instid0(VALU_DEP_1) | instskip(NEXT) | instid1(VALU_DEP_1)
	v_and_b32_e32 v13, 0x7f800000, v17
	v_cmp_ne_u32_e64 s11, 0x7f800000, v13
                                        ; implicit-def: $vgpr13
	s_and_saveexec_b32 s26, s11
	s_delay_alu instid0(SALU_CYCLE_1)
	s_xor_b32 s11, exec_lo, s26
; %bb.157:                              ;   in Loop: Header=BB2_128 Depth=2
	v_bfe_u32 v13, v17, 16, 1
	s_delay_alu instid0(VALU_DEP_1)
	v_add3_u32 v13, v17, v13, 0x7fff
                                        ; implicit-def: $vgpr17
; %bb.158:                              ;   in Loop: Header=BB2_128 Depth=2
	s_and_not1_saveexec_b32 s26, s11
	s_cbranch_execz .LBB2_127
; %bb.159:                              ;   in Loop: Header=BB2_128 Depth=2
	v_and_b32_e32 v13, 0xffff, v17
	v_or_b32_e32 v114, 0x10000, v17
	s_delay_alu instid0(VALU_DEP_2) | instskip(NEXT) | instid1(VALU_DEP_1)
	v_cmp_eq_u32_e64 s11, 0, v13
	v_cndmask_b32_e64 v13, v114, v17, s11
	s_branch .LBB2_127
.LBB2_160:                              ;   in Loop: Header=BB2_49 Depth=1
	s_or_b32 exec_lo, exec_lo, s25
.LBB2_161:                              ;   in Loop: Header=BB2_49 Depth=1
	s_delay_alu instid0(SALU_CYCLE_1) | instskip(SKIP_3) | instid1(VALU_DEP_1)
	s_or_b32 exec_lo, exec_lo, s24
	v_dual_mov_b32 v16, 0 :: v_dual_bitop2_b32 v10, 14, v100 bitop3:0x40
	s_mov_b32 s25, 0
	s_mov_b32 s24, exec_lo
                                        ; implicit-def: $vgpr100
                                        ; implicit-def: $vgpr17
	v_cndmask_b32_e32 v102, v103, v10, vcc_lo
	s_delay_alu instid0(VALU_DEP_1)
	v_cmpx_ne_u32_e32 0, v102
	s_cbranch_execz .LBB2_199
; %bb.162:                              ;   in Loop: Header=BB2_49 Depth=1
	v_cmp_lt_i32_e64 s10, 0, v112
	s_mov_b32 s25, exec_lo
	v_dual_ashrrev_i32 v13, 31, v102 :: v_dual_cndmask_b32 v11, 0, v48, s10
	s_delay_alu instid0(VALU_DEP_1) | instskip(NEXT) | instid1(VALU_DEP_1)
	v_dual_lshrrev_b32 v13, 23, v13 :: v_dual_sub_nc_u32 v11, v11, v112
	v_add_nc_u32_e32 v13, v102, v13
	s_delay_alu instid0(VALU_DEP_2) | instskip(NEXT) | instid1(VALU_DEP_2)
	v_lshl_or_b32 v11, v11, 5, v97
	v_and_b32_e32 v113, 0xfffffe00, v13
	s_delay_alu instid0(VALU_DEP_2) | instskip(NEXT) | instid1(VALU_DEP_1)
	v_dual_ashrrev_i32 v13, 9, v13 :: v_dual_ashrrev_i32 v12, 31, v11
	v_dual_sub_nc_u32 v100, v102, v113 :: v_dual_lshrrev_b32 v12, 27, v12
	s_delay_alu instid0(VALU_DEP_1) | instskip(NEXT) | instid1(VALU_DEP_1)
	v_add_nc_u32_e32 v12, v11, v12
	v_and_b32_e32 v14, 0xffffffe0, v12
	s_delay_alu instid0(VALU_DEP_1) | instskip(NEXT) | instid1(VALU_DEP_1)
	v_dual_sub_nc_u32 v112, v11, v14 :: v_dual_ashrrev_i32 v11, 5, v12
	v_dual_sub_nc_u32 v14, v103, v10 :: v_dual_lshlrev_b32 v12, 4, v112
	s_delay_alu instid0(VALU_DEP_1) | instskip(NEXT) | instid1(VALU_DEP_2)
	v_lshl_add_u32 v10, v11, 9, v12
	v_cndmask_b32_e32 v12, 0, v14, vcc_lo
	v_cmp_lt_i32_e32 vcc_lo, 15, v100
	v_add_co_ci_u32_e64 v13, null, 0, v13, vcc_lo
	s_delay_alu instid0(VALU_DEP_1) | instskip(NEXT) | instid1(VALU_DEP_4)
	v_dual_sub_nc_u32 v103, v13, v11 :: v_dual_sub_nc_u32 v114, v102, v10
	v_add_nc_u32_e32 v101, v12, v101
	s_delay_alu instid0(VALU_DEP_2)
	v_cmpx_lt_i32_e32 15, v114
	s_cbranch_execz .LBB2_198
; %bb.163:                              ;   in Loop: Header=BB2_49 Depth=1
	s_trap 2
	ds_load_b64 v[12:13], v0
	v_add_nc_u32_e32 v10, v10, v101
	s_bitcmp0_b64 s[12:13], 0
	s_mov_b32 s26, 0
	s_cselect_b32 s10, -1, 0
	s_delay_alu instid0(VALU_DEP_1) | instskip(NEXT) | instid1(VALU_DEP_1)
	v_ashrrev_i32_e32 v11, 31, v10
	v_add_nc_u64_e32 v[82:83], v[10:11], v[70:71]
	v_add_nc_u64_e32 v[86:87], v[10:11], v[80:81]
	s_wait_dscnt 0x0
	v_add_nc_u64_e32 v[84:85], v[12:13], v[10:11]
	s_branch .LBB2_165
.LBB2_164:                              ;   in Loop: Header=BB2_165 Depth=2
	s_or_b32 exec_lo, exec_lo, s27
	v_dual_lshrrev_b32 v14, 16, v14 :: v_dual_lshrrev_b32 v17, 16, v115
	v_dual_lshrrev_b32 v15, 16, v15 :: v_dual_lshrrev_b32 v16, 16, v16
	v_sub_nc_u32_e32 v114, v114, v52
	s_delay_alu instid0(VALU_DEP_3) | instskip(NEXT) | instid1(VALU_DEP_4)
	v_and_or_b32 v11, 0xffff0000, v11, v14
	v_and_or_b32 v10, 0xffff0000, v10, v17
	s_delay_alu instid0(VALU_DEP_4)
	v_and_or_b32 v12, 0xffff0000, v12, v15
	v_and_or_b32 v13, 0xffff0000, v13, v16
	v_add_nc_u64_e32 v[82:83], v[82:83], v[52:53]
	v_add_nc_u64_e32 v[84:85], v[84:85], v[52:53]
	v_cmp_gt_i32_e64 s11, 16, v114
	v_sub_nc_u32_e32 v103, v103, v48
	global_store_b128 v[86:87], v[10:13], off th:TH_STORE_NT
	s_wait_xcnt 0x0
	v_add_nc_u64_e32 v[86:87], v[86:87], v[52:53]
	s_or_b32 s26, s11, s26
	s_delay_alu instid0(SALU_CYCLE_1)
	s_and_not1_b32 exec_lo, exec_lo, s26
	s_cbranch_execz .LBB2_197
.LBB2_165:                              ;   Parent Loop BB2_49 Depth=1
                                        ; =>  This Inner Loop Header: Depth=2
	global_load_b128 v[14:17], v[84:85], off th:TH_LOAD_NT
	global_load_b128 v[10:13], v[82:83], off th:TH_LOAD_NT
	s_wait_loadcnt 0x0
	v_lshlrev_b32_e32 v116, 16, v10
	s_delay_alu instid0(VALU_DEP_1) | instskip(NEXT) | instid1(VALU_DEP_1)
	v_dual_max_num_f32 v116, v116, v116 :: v_dual_lshlrev_b32 v115, 16, v14
	v_max_num_f32_e32 v115, v115, v115
	s_delay_alu instid0(VALU_DEP_1) | instskip(NEXT) | instid1(VALU_DEP_1)
	v_dual_min_num_f32 v117, v116, v115 :: v_dual_max_num_f32 v115, v116, v115
	v_cndmask_b32_e64 v116, v115, v117, s10
	s_delay_alu instid0(VALU_DEP_1) | instskip(NEXT) | instid1(VALU_DEP_1)
	v_and_b32_e32 v115, 0x7f800000, v116
	v_cmp_ne_u32_e64 s11, 0x7f800000, v115
                                        ; implicit-def: $vgpr115
	s_wait_xcnt 0x0
	s_and_saveexec_b32 s27, s11
	s_delay_alu instid0(SALU_CYCLE_1)
	s_xor_b32 s11, exec_lo, s27
; %bb.166:                              ;   in Loop: Header=BB2_165 Depth=2
	v_bfe_u32 v115, v116, 16, 1
	s_delay_alu instid0(VALU_DEP_1)
	v_add3_u32 v115, v116, v115, 0x7fff
                                        ; implicit-def: $vgpr116
; %bb.167:                              ;   in Loop: Header=BB2_165 Depth=2
	s_and_not1_saveexec_b32 s27, s11
; %bb.168:                              ;   in Loop: Header=BB2_165 Depth=2
	v_and_b32_e32 v115, 0xffff, v116
	v_or_b32_e32 v117, 0x10000, v116
	s_delay_alu instid0(VALU_DEP_2) | instskip(NEXT) | instid1(VALU_DEP_1)
	v_cmp_eq_u32_e64 s11, 0, v115
	v_cndmask_b32_e64 v115, v117, v116, s11
; %bb.169:                              ;   in Loop: Header=BB2_165 Depth=2
	s_or_b32 exec_lo, exec_lo, s27
	v_and_b32_e32 v14, 0xffff0000, v14
	v_and_b32_e32 v10, 0xffff0000, v10
	s_delay_alu instid0(VALU_DEP_2) | instskip(NEXT) | instid1(VALU_DEP_2)
	v_max_num_f32_e32 v14, v14, v14
	v_max_num_f32_e32 v10, v10, v10
	s_delay_alu instid0(VALU_DEP_1) | instskip(NEXT) | instid1(VALU_DEP_1)
	v_dual_min_num_f32 v116, v10, v14 :: v_dual_max_num_f32 v10, v10, v14
	v_cndmask_b32_e64 v14, v10, v116, s10
	s_delay_alu instid0(VALU_DEP_1) | instskip(NEXT) | instid1(VALU_DEP_1)
	v_and_b32_e32 v10, 0x7f800000, v14
	v_cmp_ne_u32_e64 s11, 0x7f800000, v10
                                        ; implicit-def: $vgpr10
	s_and_saveexec_b32 s27, s11
	s_delay_alu instid0(SALU_CYCLE_1)
	s_xor_b32 s11, exec_lo, s27
; %bb.170:                              ;   in Loop: Header=BB2_165 Depth=2
	v_bfe_u32 v10, v14, 16, 1
	s_delay_alu instid0(VALU_DEP_1)
	v_add3_u32 v10, v14, v10, 0x7fff
                                        ; implicit-def: $vgpr14
; %bb.171:                              ;   in Loop: Header=BB2_165 Depth=2
	s_and_not1_saveexec_b32 s27, s11
; %bb.172:                              ;   in Loop: Header=BB2_165 Depth=2
	v_and_b32_e32 v10, 0xffff, v14
	v_or_b32_e32 v116, 0x10000, v14
	s_delay_alu instid0(VALU_DEP_2) | instskip(NEXT) | instid1(VALU_DEP_1)
	v_cmp_eq_u32_e64 s11, 0, v10
	v_cndmask_b32_e64 v10, v116, v14, s11
; %bb.173:                              ;   in Loop: Header=BB2_165 Depth=2
	s_or_b32 exec_lo, exec_lo, s27
	v_lshlrev_b32_e32 v116, 16, v11
	s_delay_alu instid0(VALU_DEP_1) | instskip(NEXT) | instid1(VALU_DEP_1)
	v_dual_lshlrev_b32 v14, 16, v15 :: v_dual_max_num_f32 v116, v116, v116
	v_max_num_f32_e32 v14, v14, v14
	s_delay_alu instid0(VALU_DEP_1) | instskip(NEXT) | instid1(VALU_DEP_1)
	v_dual_min_num_f32 v117, v116, v14 :: v_dual_max_num_f32 v14, v116, v14
	v_cndmask_b32_e64 v116, v14, v117, s10
	s_delay_alu instid0(VALU_DEP_1) | instskip(NEXT) | instid1(VALU_DEP_1)
	v_and_b32_e32 v14, 0x7f800000, v116
	v_cmp_ne_u32_e64 s11, 0x7f800000, v14
                                        ; implicit-def: $vgpr14
	s_and_saveexec_b32 s27, s11
	s_delay_alu instid0(SALU_CYCLE_1)
	s_xor_b32 s11, exec_lo, s27
; %bb.174:                              ;   in Loop: Header=BB2_165 Depth=2
	v_bfe_u32 v14, v116, 16, 1
	s_delay_alu instid0(VALU_DEP_1)
	v_add3_u32 v14, v116, v14, 0x7fff
                                        ; implicit-def: $vgpr116
; %bb.175:                              ;   in Loop: Header=BB2_165 Depth=2
	s_and_not1_saveexec_b32 s27, s11
; %bb.176:                              ;   in Loop: Header=BB2_165 Depth=2
	v_and_b32_e32 v14, 0xffff, v116
	v_or_b32_e32 v117, 0x10000, v116
	s_delay_alu instid0(VALU_DEP_2) | instskip(NEXT) | instid1(VALU_DEP_1)
	v_cmp_eq_u32_e64 s11, 0, v14
	v_cndmask_b32_e64 v14, v117, v116, s11
; %bb.177:                              ;   in Loop: Header=BB2_165 Depth=2
	s_or_b32 exec_lo, exec_lo, s27
	v_and_b32_e32 v15, 0xffff0000, v15
	v_and_b32_e32 v11, 0xffff0000, v11
	s_delay_alu instid0(VALU_DEP_2) | instskip(NEXT) | instid1(VALU_DEP_2)
	v_max_num_f32_e32 v15, v15, v15
	v_max_num_f32_e32 v11, v11, v11
	s_delay_alu instid0(VALU_DEP_1) | instskip(NEXT) | instid1(VALU_DEP_1)
	v_dual_min_num_f32 v116, v11, v15 :: v_dual_max_num_f32 v11, v11, v15
	v_cndmask_b32_e64 v15, v11, v116, s10
	s_delay_alu instid0(VALU_DEP_1) | instskip(NEXT) | instid1(VALU_DEP_1)
	v_and_b32_e32 v11, 0x7f800000, v15
	v_cmp_ne_u32_e64 s11, 0x7f800000, v11
                                        ; implicit-def: $vgpr11
	s_and_saveexec_b32 s27, s11
	s_delay_alu instid0(SALU_CYCLE_1)
	s_xor_b32 s11, exec_lo, s27
; %bb.178:                              ;   in Loop: Header=BB2_165 Depth=2
	v_bfe_u32 v11, v15, 16, 1
	s_delay_alu instid0(VALU_DEP_1)
	v_add3_u32 v11, v15, v11, 0x7fff
                                        ; implicit-def: $vgpr15
; %bb.179:                              ;   in Loop: Header=BB2_165 Depth=2
	s_and_not1_saveexec_b32 s27, s11
; %bb.180:                              ;   in Loop: Header=BB2_165 Depth=2
	v_and_b32_e32 v11, 0xffff, v15
	v_or_b32_e32 v116, 0x10000, v15
	s_delay_alu instid0(VALU_DEP_2) | instskip(NEXT) | instid1(VALU_DEP_1)
	v_cmp_eq_u32_e64 s11, 0, v11
	v_cndmask_b32_e64 v11, v116, v15, s11
; %bb.181:                              ;   in Loop: Header=BB2_165 Depth=2
	s_or_b32 exec_lo, exec_lo, s27
	v_lshlrev_b32_e32 v15, 16, v16
	s_delay_alu instid0(VALU_DEP_1) | instskip(NEXT) | instid1(VALU_DEP_1)
	v_dual_max_num_f32 v15, v15, v15 :: v_dual_lshlrev_b32 v116, 16, v12
	v_max_num_f32_e32 v116, v116, v116
	s_delay_alu instid0(VALU_DEP_1) | instskip(NEXT) | instid1(VALU_DEP_1)
	v_dual_min_num_f32 v117, v116, v15 :: v_dual_max_num_f32 v15, v116, v15
	v_cndmask_b32_e64 v116, v15, v117, s10
	s_delay_alu instid0(VALU_DEP_1) | instskip(NEXT) | instid1(VALU_DEP_1)
	v_and_b32_e32 v15, 0x7f800000, v116
	v_cmp_ne_u32_e64 s11, 0x7f800000, v15
                                        ; implicit-def: $vgpr15
	s_and_saveexec_b32 s27, s11
	s_delay_alu instid0(SALU_CYCLE_1)
	s_xor_b32 s11, exec_lo, s27
; %bb.182:                              ;   in Loop: Header=BB2_165 Depth=2
	v_bfe_u32 v15, v116, 16, 1
	s_delay_alu instid0(VALU_DEP_1)
	v_add3_u32 v15, v116, v15, 0x7fff
                                        ; implicit-def: $vgpr116
; %bb.183:                              ;   in Loop: Header=BB2_165 Depth=2
	s_and_not1_saveexec_b32 s27, s11
; %bb.184:                              ;   in Loop: Header=BB2_165 Depth=2
	v_and_b32_e32 v15, 0xffff, v116
	v_or_b32_e32 v117, 0x10000, v116
	s_delay_alu instid0(VALU_DEP_2) | instskip(NEXT) | instid1(VALU_DEP_1)
	v_cmp_eq_u32_e64 s11, 0, v15
	v_cndmask_b32_e64 v15, v117, v116, s11
; %bb.185:                              ;   in Loop: Header=BB2_165 Depth=2
	s_or_b32 exec_lo, exec_lo, s27
	v_and_b32_e32 v16, 0xffff0000, v16
	v_and_b32_e32 v12, 0xffff0000, v12
	s_delay_alu instid0(VALU_DEP_2) | instskip(NEXT) | instid1(VALU_DEP_2)
	v_max_num_f32_e32 v16, v16, v16
	v_max_num_f32_e32 v12, v12, v12
	s_delay_alu instid0(VALU_DEP_1) | instskip(NEXT) | instid1(VALU_DEP_1)
	v_dual_min_num_f32 v116, v12, v16 :: v_dual_max_num_f32 v12, v12, v16
	v_cndmask_b32_e64 v16, v12, v116, s10
	s_delay_alu instid0(VALU_DEP_1) | instskip(NEXT) | instid1(VALU_DEP_1)
	v_and_b32_e32 v12, 0x7f800000, v16
	v_cmp_ne_u32_e64 s11, 0x7f800000, v12
                                        ; implicit-def: $vgpr12
	s_and_saveexec_b32 s27, s11
	s_delay_alu instid0(SALU_CYCLE_1)
	s_xor_b32 s11, exec_lo, s27
; %bb.186:                              ;   in Loop: Header=BB2_165 Depth=2
	v_bfe_u32 v12, v16, 16, 1
	s_delay_alu instid0(VALU_DEP_1)
	v_add3_u32 v12, v16, v12, 0x7fff
                                        ; implicit-def: $vgpr16
; %bb.187:                              ;   in Loop: Header=BB2_165 Depth=2
	s_and_not1_saveexec_b32 s27, s11
; %bb.188:                              ;   in Loop: Header=BB2_165 Depth=2
	v_and_b32_e32 v12, 0xffff, v16
	v_or_b32_e32 v116, 0x10000, v16
	s_delay_alu instid0(VALU_DEP_2) | instskip(NEXT) | instid1(VALU_DEP_1)
	v_cmp_eq_u32_e64 s11, 0, v12
	v_cndmask_b32_e64 v12, v116, v16, s11
; %bb.189:                              ;   in Loop: Header=BB2_165 Depth=2
	s_or_b32 exec_lo, exec_lo, s27
	v_lshlrev_b32_e32 v116, 16, v13
	s_delay_alu instid0(VALU_DEP_1) | instskip(NEXT) | instid1(VALU_DEP_1)
	v_dual_lshlrev_b32 v16, 16, v17 :: v_dual_max_num_f32 v116, v116, v116
	v_max_num_f32_e32 v16, v16, v16
	s_delay_alu instid0(VALU_DEP_1) | instskip(NEXT) | instid1(VALU_DEP_1)
	v_dual_min_num_f32 v117, v116, v16 :: v_dual_max_num_f32 v16, v116, v16
	v_cndmask_b32_e64 v116, v16, v117, s10
	s_delay_alu instid0(VALU_DEP_1) | instskip(NEXT) | instid1(VALU_DEP_1)
	v_and_b32_e32 v16, 0x7f800000, v116
	v_cmp_ne_u32_e64 s11, 0x7f800000, v16
                                        ; implicit-def: $vgpr16
	s_and_saveexec_b32 s27, s11
	s_delay_alu instid0(SALU_CYCLE_1)
	s_xor_b32 s11, exec_lo, s27
; %bb.190:                              ;   in Loop: Header=BB2_165 Depth=2
	v_bfe_u32 v16, v116, 16, 1
	s_delay_alu instid0(VALU_DEP_1)
	v_add3_u32 v16, v116, v16, 0x7fff
                                        ; implicit-def: $vgpr116
; %bb.191:                              ;   in Loop: Header=BB2_165 Depth=2
	s_and_not1_saveexec_b32 s27, s11
; %bb.192:                              ;   in Loop: Header=BB2_165 Depth=2
	v_and_b32_e32 v16, 0xffff, v116
	v_or_b32_e32 v117, 0x10000, v116
	s_delay_alu instid0(VALU_DEP_2) | instskip(NEXT) | instid1(VALU_DEP_1)
	v_cmp_eq_u32_e64 s11, 0, v16
	v_cndmask_b32_e64 v16, v117, v116, s11
; %bb.193:                              ;   in Loop: Header=BB2_165 Depth=2
	s_or_b32 exec_lo, exec_lo, s27
	v_and_b32_e32 v17, 0xffff0000, v17
	v_and_b32_e32 v13, 0xffff0000, v13
	s_delay_alu instid0(VALU_DEP_2) | instskip(NEXT) | instid1(VALU_DEP_2)
	v_max_num_f32_e32 v17, v17, v17
	v_max_num_f32_e32 v13, v13, v13
	s_delay_alu instid0(VALU_DEP_1) | instskip(NEXT) | instid1(VALU_DEP_1)
	v_dual_min_num_f32 v116, v13, v17 :: v_dual_max_num_f32 v13, v13, v17
	v_cndmask_b32_e64 v17, v13, v116, s10
	s_delay_alu instid0(VALU_DEP_1) | instskip(NEXT) | instid1(VALU_DEP_1)
	v_and_b32_e32 v13, 0x7f800000, v17
	v_cmp_ne_u32_e64 s11, 0x7f800000, v13
                                        ; implicit-def: $vgpr13
	s_and_saveexec_b32 s27, s11
	s_delay_alu instid0(SALU_CYCLE_1)
	s_xor_b32 s11, exec_lo, s27
; %bb.194:                              ;   in Loop: Header=BB2_165 Depth=2
	v_bfe_u32 v13, v17, 16, 1
	s_delay_alu instid0(VALU_DEP_1)
	v_add3_u32 v13, v17, v13, 0x7fff
                                        ; implicit-def: $vgpr17
; %bb.195:                              ;   in Loop: Header=BB2_165 Depth=2
	s_and_not1_saveexec_b32 s27, s11
	s_cbranch_execz .LBB2_164
; %bb.196:                              ;   in Loop: Header=BB2_165 Depth=2
	v_and_b32_e32 v13, 0xffff, v17
	v_or_b32_e32 v116, 0x10000, v17
	s_delay_alu instid0(VALU_DEP_2) | instskip(NEXT) | instid1(VALU_DEP_1)
	v_cmp_eq_u32_e64 s11, 0, v13
	v_cndmask_b32_e64 v13, v116, v17, s11
	s_branch .LBB2_164
.LBB2_197:                              ;   in Loop: Header=BB2_49 Depth=1
	s_or_b32 exec_lo, exec_lo, s26
.LBB2_198:                              ;   in Loop: Header=BB2_49 Depth=1
	s_delay_alu instid0(SALU_CYCLE_1) | instskip(SKIP_1) | instid1(VALU_DEP_1)
	s_or_b32 exec_lo, exec_lo, s25
	v_cmp_lt_i32_e64 s10, 0, v103
	v_dual_cndmask_b32 v12, 0, v48, s10 :: v_dual_bitop2_b32 v10, 14, v102 bitop3:0x40
	s_delay_alu instid0(VALU_DEP_1) | instskip(NEXT) | instid1(VALU_DEP_1)
	v_dual_cndmask_b32 v100, v100, v10 :: v_dual_sub_nc_u32 v11, v100, v10
	v_cndmask_b32_e32 v10, 0, v11, vcc_lo
	s_delay_alu instid0(VALU_DEP_3) | instskip(NEXT) | instid1(VALU_DEP_3)
	v_sub_nc_u32_e32 v11, v12, v103
	v_cmp_ne_u32_e32 vcc_lo, 0, v100
	s_delay_alu instid0(VALU_DEP_3) | instskip(NEXT) | instid1(VALU_DEP_3)
	v_add3_u32 v16, v113, v101, v10
	v_lshl_add_u32 v17, v11, 5, v112
	s_and_b32 s25, vcc_lo, exec_lo
.LBB2_199:                              ;   in Loop: Header=BB2_49 Depth=1
	s_or_b32 exec_lo, exec_lo, s24
	s_and_saveexec_b32 s11, s25
	s_cbranch_execz .LBB2_228
.LBB2_200:                              ;   in Loop: Header=BB2_49 Depth=1
	s_delay_alu instid0(VALU_DEP_1) | instskip(SKIP_1) | instid1(VALU_DEP_1)
	v_dual_ashrrev_i32 v10, 31, v17 :: v_dual_ashrrev_i32 v11, 31, v100
	s_mov_b32 s24, exec_lo
	v_dual_lshrrev_b32 v10, 27, v10 :: v_dual_lshrrev_b32 v11, 24, v11
	s_delay_alu instid0(VALU_DEP_1) | instskip(NEXT) | instid1(VALU_DEP_1)
	v_dual_add_nc_u32 v10, v17, v10 :: v_dual_add_nc_u32 v11, v100, v11
	v_dual_ashrrev_i32 v82, 5, v10 :: v_dual_ashrrev_i32 v84, 8, v11
	s_delay_alu instid0(VALU_DEP_1) | instskip(NEXT) | instid1(VALU_DEP_1)
	v_sub_nc_u32_e32 v83, v84, v82
	v_cmpx_lt_i32_e32 0, v83
	s_cbranch_execz .LBB2_220
; %bb.201:                              ;   in Loop: Header=BB2_49 Depth=1
	v_and_b32_e32 v10, 0x7fffffe0, v10
	s_trap 2
	ds_load_b64 v[12:13], v0
	v_lshlrev_b32_e32 v11, 8, v82
	s_bitcmp0_b64 s[12:13], 0
	v_sub_nc_u32_e32 v10, v17, v10
	s_mov_b32 s25, 0
	s_cselect_b32 vcc_lo, -1, 0
	s_delay_alu instid0(VALU_DEP_1) | instskip(NEXT) | instid1(VALU_DEP_1)
	v_lshlrev_b32_e32 v10, 1, v10
	v_add3_u32 v14, v10, v16, v11
	s_delay_alu instid0(VALU_DEP_1) | instskip(NEXT) | instid1(VALU_DEP_1)
	v_ashrrev_i32_e32 v15, 31, v14
	v_add_nc_u64_e32 v[10:11], v[14:15], v[70:71]
	s_wait_dscnt 0x0
	v_add_nc_u64_e32 v[12:13], v[12:13], v[14:15]
	v_add_nc_u64_e32 v[14:15], v[14:15], v[80:81]
	s_branch .LBB2_203
.LBB2_202:                              ;   in Loop: Header=BB2_203 Depth=2
	s_or_b32 exec_lo, exec_lo, s26
	v_sub_nc_u32_e32 v83, v83, v48
	s_clause 0x3
	flat_store_d16_hi_b16 v[14:15], v85 th:TH_STORE_NT
	flat_store_d16_hi_b16 v[14:15], v101 offset:64 th:TH_STORE_NT
	flat_store_d16_hi_b16 v[14:15], v102 offset:128 th:TH_STORE_NT
	;; [unrolled: 1-line block ×3, first 2 shown]
	v_add_nc_u64_e32 v[10:11], v[10:11], v[54:55]
	v_add_nc_u64_e32 v[12:13], v[12:13], v[54:55]
	s_wait_xcnt 0x0
	v_add_nc_u64_e32 v[14:15], v[14:15], v[54:55]
	v_cmp_gt_i32_e64 s10, 1, v83
	s_or_b32 s25, s10, s25
	s_delay_alu instid0(SALU_CYCLE_1)
	s_and_not1_b32 exec_lo, exec_lo, s25
	s_cbranch_execz .LBB2_219
.LBB2_203:                              ;   Parent Loop BB2_49 Depth=1
                                        ; =>  This Inner Loop Header: Depth=2
	flat_load_u16 v85, v[12:13] th:TH_LOAD_NT
	s_clause 0x3
	flat_load_u16 v113, v[10:11] th:TH_LOAD_NT
	flat_load_u16 v102, v[10:11] offset:128 th:TH_LOAD_NT
	flat_load_u16 v86, v[10:11] offset:192 th:TH_LOAD_NT
	;; [unrolled: 1-line block ×3, first 2 shown]
	s_clause 0x2
	flat_load_u16 v103, v[12:13] offset:128 th:TH_LOAD_NT
	flat_load_u16 v87, v[12:13] offset:192 th:TH_LOAD_NT
	;; [unrolled: 1-line block ×3, first 2 shown]
	s_wait_loadcnt_dscnt 0x707
	v_lshlrev_b32_e32 v85, 16, v85
	s_wait_loadcnt_dscnt 0x606
	v_lshlrev_b32_e32 v113, 16, v113
	s_delay_alu instid0(VALU_DEP_2) | instskip(NEXT) | instid1(VALU_DEP_2)
	v_max_num_f32_e32 v85, v85, v85
	v_max_num_f32_e32 v113, v113, v113
	s_delay_alu instid0(VALU_DEP_1) | instskip(NEXT) | instid1(VALU_DEP_1)
	v_dual_min_num_f32 v114, v113, v85 :: v_dual_max_num_f32 v85, v113, v85
	v_cndmask_b32_e32 v113, v85, v114, vcc_lo
	s_delay_alu instid0(VALU_DEP_1) | instskip(NEXT) | instid1(VALU_DEP_1)
	v_and_b32_e32 v85, 0x7f800000, v113
	v_cmp_ne_u32_e64 s10, 0x7f800000, v85
                                        ; implicit-def: $vgpr85
	s_wait_xcnt 0x0
	s_and_saveexec_b32 s26, s10
	s_delay_alu instid0(SALU_CYCLE_1)
	s_xor_b32 s10, exec_lo, s26
; %bb.204:                              ;   in Loop: Header=BB2_203 Depth=2
	v_bfe_u32 v85, v113, 16, 1
	s_delay_alu instid0(VALU_DEP_1)
	v_add3_u32 v85, v113, v85, 0x7fff
                                        ; implicit-def: $vgpr113
; %bb.205:                              ;   in Loop: Header=BB2_203 Depth=2
	s_and_not1_saveexec_b32 s26, s10
; %bb.206:                              ;   in Loop: Header=BB2_203 Depth=2
	v_and_b32_e32 v85, 0xffff, v113
	v_or_b32_e32 v114, 0x10000, v113
	s_delay_alu instid0(VALU_DEP_2) | instskip(NEXT) | instid1(VALU_DEP_1)
	v_cmp_eq_u32_e64 s10, 0, v85
	v_cndmask_b32_e64 v85, v114, v113, s10
; %bb.207:                              ;   in Loop: Header=BB2_203 Depth=2
	s_or_b32 exec_lo, exec_lo, s26
	s_wait_loadcnt_dscnt 0x0
	v_dual_lshlrev_b32 v112, 16, v112 :: v_dual_lshlrev_b32 v101, 16, v101
	s_delay_alu instid0(VALU_DEP_1) | instskip(NEXT) | instid1(VALU_DEP_1)
	v_dual_max_num_f32 v112, v112, v112 :: v_dual_max_num_f32 v101, v101, v101
	v_dual_min_num_f32 v113, v101, v112 :: v_dual_max_num_f32 v101, v101, v112
	s_delay_alu instid0(VALU_DEP_1) | instskip(NEXT) | instid1(VALU_DEP_1)
	v_cndmask_b32_e32 v112, v101, v113, vcc_lo
	v_and_b32_e32 v101, 0x7f800000, v112
	s_delay_alu instid0(VALU_DEP_1) | instskip(SKIP_1) | instid1(SALU_CYCLE_1)
	v_cmp_ne_u32_e64 s10, 0x7f800000, v101
                                        ; implicit-def: $vgpr101
	s_and_saveexec_b32 s26, s10
	s_xor_b32 s10, exec_lo, s26
; %bb.208:                              ;   in Loop: Header=BB2_203 Depth=2
	v_bfe_u32 v101, v112, 16, 1
	s_delay_alu instid0(VALU_DEP_1)
	v_add3_u32 v101, v112, v101, 0x7fff
                                        ; implicit-def: $vgpr112
; %bb.209:                              ;   in Loop: Header=BB2_203 Depth=2
	s_and_not1_saveexec_b32 s26, s10
; %bb.210:                              ;   in Loop: Header=BB2_203 Depth=2
	v_and_b32_e32 v101, 0xffff, v112
	v_or_b32_e32 v113, 0x10000, v112
	s_delay_alu instid0(VALU_DEP_2) | instskip(NEXT) | instid1(VALU_DEP_1)
	v_cmp_eq_u32_e64 s10, 0, v101
	v_cndmask_b32_e64 v101, v113, v112, s10
; %bb.211:                              ;   in Loop: Header=BB2_203 Depth=2
	s_or_b32 exec_lo, exec_lo, s26
	v_dual_lshlrev_b32 v103, 16, v103 :: v_dual_lshlrev_b32 v102, 16, v102
	s_delay_alu instid0(VALU_DEP_1) | instskip(NEXT) | instid1(VALU_DEP_1)
	v_dual_max_num_f32 v103, v103, v103 :: v_dual_max_num_f32 v102, v102, v102
	v_dual_min_num_f32 v112, v102, v103 :: v_dual_max_num_f32 v102, v102, v103
	s_delay_alu instid0(VALU_DEP_1) | instskip(NEXT) | instid1(VALU_DEP_1)
	v_cndmask_b32_e32 v103, v102, v112, vcc_lo
	v_and_b32_e32 v102, 0x7f800000, v103
	s_delay_alu instid0(VALU_DEP_1) | instskip(SKIP_1) | instid1(SALU_CYCLE_1)
	v_cmp_ne_u32_e64 s10, 0x7f800000, v102
                                        ; implicit-def: $vgpr102
	s_and_saveexec_b32 s26, s10
	s_xor_b32 s10, exec_lo, s26
; %bb.212:                              ;   in Loop: Header=BB2_203 Depth=2
	v_bfe_u32 v102, v103, 16, 1
	s_delay_alu instid0(VALU_DEP_1)
	v_add3_u32 v102, v103, v102, 0x7fff
                                        ; implicit-def: $vgpr103
; %bb.213:                              ;   in Loop: Header=BB2_203 Depth=2
	s_and_not1_saveexec_b32 s26, s10
; %bb.214:                              ;   in Loop: Header=BB2_203 Depth=2
	v_and_b32_e32 v102, 0xffff, v103
	v_or_b32_e32 v112, 0x10000, v103
	s_delay_alu instid0(VALU_DEP_2) | instskip(NEXT) | instid1(VALU_DEP_1)
	v_cmp_eq_u32_e64 s10, 0, v102
	v_cndmask_b32_e64 v102, v112, v103, s10
; %bb.215:                              ;   in Loop: Header=BB2_203 Depth=2
	s_or_b32 exec_lo, exec_lo, s26
	v_dual_lshlrev_b32 v87, 16, v87 :: v_dual_lshlrev_b32 v86, 16, v86
	s_delay_alu instid0(VALU_DEP_1) | instskip(NEXT) | instid1(VALU_DEP_1)
	v_dual_max_num_f32 v87, v87, v87 :: v_dual_max_num_f32 v86, v86, v86
	v_dual_min_num_f32 v103, v86, v87 :: v_dual_max_num_f32 v86, v86, v87
	s_delay_alu instid0(VALU_DEP_1) | instskip(NEXT) | instid1(VALU_DEP_1)
	v_cndmask_b32_e32 v87, v86, v103, vcc_lo
	v_and_b32_e32 v86, 0x7f800000, v87
	s_delay_alu instid0(VALU_DEP_1) | instskip(SKIP_1) | instid1(SALU_CYCLE_1)
	v_cmp_ne_u32_e64 s10, 0x7f800000, v86
                                        ; implicit-def: $vgpr86
	s_and_saveexec_b32 s26, s10
	s_xor_b32 s10, exec_lo, s26
; %bb.216:                              ;   in Loop: Header=BB2_203 Depth=2
	v_bfe_u32 v86, v87, 16, 1
	s_delay_alu instid0(VALU_DEP_1)
	v_add3_u32 v86, v87, v86, 0x7fff
                                        ; implicit-def: $vgpr87
; %bb.217:                              ;   in Loop: Header=BB2_203 Depth=2
	s_and_not1_saveexec_b32 s26, s10
	s_cbranch_execz .LBB2_202
; %bb.218:                              ;   in Loop: Header=BB2_203 Depth=2
	v_and_b32_e32 v86, 0xffff, v87
	v_or_b32_e32 v103, 0x10000, v87
	s_delay_alu instid0(VALU_DEP_2) | instskip(NEXT) | instid1(VALU_DEP_1)
	v_cmp_eq_u32_e64 s10, 0, v86
	v_cndmask_b32_e64 v86, v103, v87, s10
	s_branch .LBB2_202
.LBB2_219:                              ;   in Loop: Header=BB2_49 Depth=1
	s_or_b32 exec_lo, exec_lo, s25
.LBB2_220:                              ;   in Loop: Header=BB2_49 Depth=1
	s_delay_alu instid0(SALU_CYCLE_1) | instskip(SKIP_1) | instid1(VALU_DEP_1)
	s_or_b32 exec_lo, exec_lo, s24
	v_lshlrev_b32_e32 v10, 8, v84
	v_cmp_ne_u32_e32 vcc_lo, v100, v10
	s_and_b32 exec_lo, exec_lo, vcc_lo
	s_cbranch_execz .LBB2_228
; %bb.221:                              ;   in Loop: Header=BB2_49 Depth=1
	v_dual_lshlrev_b32 v11, 5, v82 :: v_dual_lshlrev_b32 v12, 5, v83
	s_delay_alu instid0(VALU_DEP_1) | instskip(NEXT) | instid1(VALU_DEP_1)
	v_sub_nc_u32_e32 v11, v17, v11
	v_sub_nc_u32_e32 v11, v11, v12
	s_delay_alu instid0(VALU_DEP_1) | instskip(NEXT) | instid1(VALU_DEP_1)
	v_ashrrev_i32_e32 v12, 31, v11
	v_lshrrev_b32_e32 v12, 27, v12
	s_delay_alu instid0(VALU_DEP_1) | instskip(NEXT) | instid1(VALU_DEP_1)
	v_add_nc_u32_e32 v12, v11, v12
	v_and_b32_e32 v13, 0x7fffffe0, v12
	s_delay_alu instid0(VALU_DEP_1) | instskip(NEXT) | instid1(VALU_DEP_1)
	v_dual_lshlrev_b32 v12, 1, v12 :: v_dual_sub_nc_u32 v11, v11, v13
	v_and_b32_e32 v12, 0xffffffc0, v12
	s_delay_alu instid0(VALU_DEP_2) | instskip(NEXT) | instid1(VALU_DEP_1)
	v_lshlrev_b32_e32 v11, 1, v11
	v_add3_u32 v10, v12, v11, v10
	s_delay_alu instid0(VALU_DEP_1) | instskip(NEXT) | instid1(VALU_DEP_1)
	v_sub_nc_u32_e32 v17, v100, v10
	v_cmp_lt_i32_e32 vcc_lo, 1, v17
	s_and_b32 exec_lo, exec_lo, vcc_lo
	s_cbranch_execz .LBB2_228
; %bb.222:                              ;   in Loop: Header=BB2_49 Depth=1
	s_trap 2
	ds_load_b64 v[12:13], v0
	v_add_nc_u32_e32 v14, v10, v16
	s_bitcmp0_b64 s[12:13], 0
	s_mov_b32 s12, 0
	s_cselect_b32 vcc_lo, -1, 0
	s_delay_alu instid0(VALU_DEP_1) | instskip(NEXT) | instid1(VALU_DEP_1)
	v_ashrrev_i32_e32 v15, 31, v14
	v_add_nc_u64_e32 v[10:11], v[14:15], v[70:71]
	s_wait_dscnt 0x0
	v_add_nc_u64_e32 v[12:13], v[12:13], v[14:15]
	v_add_nc_u64_e32 v[14:15], v[14:15], v[80:81]
	s_branch .LBB2_224
.LBB2_223:                              ;   in Loop: Header=BB2_224 Depth=2
	s_or_b32 exec_lo, exec_lo, s13
	v_sub_nc_u32_e32 v17, v17, v64
	flat_store_d16_hi_b16 v[14:15], v16 th:TH_STORE_NT
	v_add_nc_u64_e32 v[10:11], v[10:11], v[64:65]
	v_add_nc_u64_e32 v[12:13], v[12:13], v[64:65]
	s_wait_xcnt 0x0
	v_add_nc_u64_e32 v[14:15], v[14:15], v[64:65]
	v_cmp_gt_i32_e64 s10, 2, v17
	s_or_b32 s12, s10, s12
	s_delay_alu instid0(SALU_CYCLE_1)
	s_and_not1_b32 exec_lo, exec_lo, s12
	s_cbranch_execz .LBB2_228
.LBB2_224:                              ;   Parent Loop BB2_49 Depth=1
                                        ; =>  This Inner Loop Header: Depth=2
	flat_load_u16 v16, v[12:13] th:TH_LOAD_NT
	flat_load_u16 v70, v[10:11] th:TH_LOAD_NT
	s_wait_loadcnt_dscnt 0x0
	v_dual_lshlrev_b32 v16, 16, v16 :: v_dual_lshlrev_b32 v70, 16, v70
	s_delay_alu instid0(VALU_DEP_1) | instskip(NEXT) | instid1(VALU_DEP_1)
	v_dual_max_num_f32 v16, v16, v16 :: v_dual_max_num_f32 v70, v70, v70
	v_dual_min_num_f32 v71, v70, v16 :: v_dual_max_num_f32 v16, v70, v16
	s_delay_alu instid0(VALU_DEP_1) | instskip(NEXT) | instid1(VALU_DEP_1)
	v_cndmask_b32_e32 v70, v16, v71, vcc_lo
	v_and_b32_e32 v16, 0x7f800000, v70
	s_delay_alu instid0(VALU_DEP_1) | instskip(SKIP_2) | instid1(SALU_CYCLE_1)
	v_cmp_ne_u32_e64 s10, 0x7f800000, v16
                                        ; implicit-def: $vgpr16
	s_wait_xcnt 0x0
	s_and_saveexec_b32 s13, s10
	s_xor_b32 s10, exec_lo, s13
; %bb.225:                              ;   in Loop: Header=BB2_224 Depth=2
	v_bfe_u32 v16, v70, 16, 1
	s_delay_alu instid0(VALU_DEP_1)
	v_add3_u32 v16, v70, v16, 0x7fff
                                        ; implicit-def: $vgpr70
; %bb.226:                              ;   in Loop: Header=BB2_224 Depth=2
	s_and_not1_saveexec_b32 s13, s10
	s_cbranch_execz .LBB2_223
; %bb.227:                              ;   in Loop: Header=BB2_224 Depth=2
	v_and_b32_e32 v16, 0xffff, v70
	v_or_b32_e32 v71, 0x10000, v70
	s_delay_alu instid0(VALU_DEP_2) | instskip(NEXT) | instid1(VALU_DEP_1)
	v_cmp_eq_u32_e64 s10, 0, v16
	v_cndmask_b32_e64 v16, v71, v70, s10
	s_branch .LBB2_223
.LBB2_228:                              ;   in Loop: Header=BB2_49 Depth=1
	s_or_b32 exec_lo, exec_lo, s11
	v_cmp_ne_u32_e64 s10, 0, v38
	s_and_saveexec_b32 s11, s2
	s_cbranch_execz .LBB2_247
.LBB2_229:                              ;   in Loop: Header=BB2_49 Depth=1
	s_and_saveexec_b32 s12, s3
	s_delay_alu instid0(SALU_CYCLE_1)
	s_xor_b32 s12, exec_lo, s12
	s_cbranch_execz .LBB2_244
; %bb.230:                              ;   in Loop: Header=BB2_49 Depth=1
	s_and_saveexec_b32 s13, s4
	s_cbranch_execz .LBB2_243
; %bb.231:                              ;   in Loop: Header=BB2_49 Depth=1
	s_mov_b32 s25, exec_lo
	s_mov_b32 s24, exec_lo
	v_mbcnt_lo_u32_b32 v10, s25, 0
	global_wb scope:SCOPE_DEV
	s_wait_storecnt 0x0
	s_wait_loadcnt_dscnt 0x0
	global_inv scope:SCOPE_DEV
	v_cmpx_eq_u32_e32 0, v10
	s_cbranch_execz .LBB2_233
; %bb.232:                              ;   in Loop: Header=BB2_49 Depth=1
	s_bcnt1_i32_b32 s25, s25
	s_delay_alu instid0(SALU_CYCLE_1)
	v_mov_b32_e32 v38, s25
	s_wait_loadcnt 0x0
	ds_add_u64 v0, v[38:39]
	s_trap 2
.LBB2_233:                              ;   in Loop: Header=BB2_49 Depth=1
	s_or_b32 exec_lo, exec_lo, s24
	s_trap 2
	ds_load_b64 v[10:11], v0
	s_wait_dscnt 0x0
	v_add_nc_u64_e32 v[28:29], v[28:29], v[48:49]
	s_mov_b32 s24, exec_lo
	s_delay_alu instid0(VALU_DEP_1)
	v_cmpx_lt_u64_e64 v[10:11], v[28:29]
	s_cbranch_execz .LBB2_242
; %bb.234:                              ;   in Loop: Header=BB2_49 Depth=1
	s_mov_b32 s25, 0
	s_mov_b32 s28, 0
                                        ; implicit-def: $sgpr26
                                        ; implicit-def: $sgpr27
	s_branch .LBB2_236
.LBB2_235:                              ;   in Loop: Header=BB2_236 Depth=2
	s_or_b32 exec_lo, exec_lo, s40
	s_delay_alu instid0(SALU_CYCLE_1) | instskip(NEXT) | instid1(SALU_CYCLE_1)
	s_and_b32 s29, exec_lo, s41
	s_or_b32 s25, s29, s25
	s_and_not1_b32 s26, s26, exec_lo
	s_and_b32 s29, s27, exec_lo
	s_delay_alu instid0(SALU_CYCLE_1)
	s_or_b32 s26, s26, s29
	s_and_not1_b32 exec_lo, exec_lo, s25
	s_cbranch_execz .LBB2_240
.LBB2_236:                              ;   Parent Loop BB2_49 Depth=1
                                        ; =>  This Inner Loop Header: Depth=2
	s_add_co_i32 s28, s28, 1
	s_delay_alu instid0(SALU_CYCLE_1) | instskip(SKIP_1) | instid1(SALU_CYCLE_1)
	s_cmp_lg_u32 s28, 0x2710
	s_cselect_b32 s29, -1, 0
	s_and_b32 vcc_lo, exec_lo, s29
	s_cbranch_vccz .LBB2_238
; %bb.237:                              ;   in Loop: Header=BB2_236 Depth=2
	s_mov_b32 s41, -1
	s_or_b32 s27, s27, exec_lo
	s_and_saveexec_b32 s40, s29
	s_cbranch_execz .LBB2_235
	s_branch .LBB2_239
.LBB2_238:                              ;   in Loop: Header=BB2_236 Depth=2
	s_trap 2
	ds_load_b64 v[10:11], v0
	s_and_not1_b32 s29, s29, exec_lo
	s_mov_b32 s28, 0
	s_wait_loadcnt_dscnt 0x0
	flat_load_b32 v10, v[10:11] scope:SCOPE_SYS
	s_wait_loadcnt_dscnt 0x0
	global_inv scope:SCOPE_SYS
	v_cmp_eq_u32_e32 vcc_lo, 0, v10
	s_and_b32 s40, vcc_lo, exec_lo
	s_delay_alu instid0(SALU_CYCLE_1)
	s_or_b32 s29, s29, s40
	s_mov_b32 s41, -1
	s_or_b32 s27, s27, exec_lo
	s_and_saveexec_b32 s40, s29
	s_cbranch_execz .LBB2_235
.LBB2_239:                              ;   in Loop: Header=BB2_236 Depth=2
	s_sleep 1
	s_trap 2
	ds_load_b64 v[10:11], v0
	s_wait_dscnt 0x0
	s_and_not1_b32 s27, s27, exec_lo
	v_cmp_ge_u64_e32 vcc_lo, v[10:11], v[28:29]
	s_or_not1_b32 s41, vcc_lo, exec_lo
	s_branch .LBB2_235
.LBB2_240:                              ;   in Loop: Header=BB2_49 Depth=1
	s_or_b32 exec_lo, exec_lo, s25
	s_and_saveexec_b32 s25, s26
	s_delay_alu instid0(SALU_CYCLE_1)
	s_xor_b32 s25, exec_lo, s25
	s_cbranch_execz .LBB2_242
; %bb.241:                              ;   in Loop: Header=BB2_49 Depth=1
	ds_store_b32 v0, v98
	s_trap 2
.LBB2_242:                              ;   in Loop: Header=BB2_49 Depth=1
	s_or_b32 exec_lo, exec_lo, s24
	;;#ASMSTART
	s_wakeup
	;;#ASMEND
.LBB2_243:                              ;   in Loop: Header=BB2_49 Depth=1
	s_or_b32 exec_lo, exec_lo, s13
.LBB2_244:                              ;   in Loop: Header=BB2_49 Depth=1
	s_and_not1_saveexec_b32 s12, s12
	s_cbranch_execz .LBB2_246
; %bb.245:                              ;   in Loop: Header=BB2_49 Depth=1
	global_wb scope:SCOPE_DEV
	s_wait_storecnt 0x0
	s_wait_loadcnt_dscnt 0x0
	global_inv scope:SCOPE_DEV
	s_barrier_signal -1
	s_barrier_wait -1
.LBB2_246:                              ;   in Loop: Header=BB2_49 Depth=1
	s_or_b32 exec_lo, exec_lo, s12
.LBB2_247:                              ;   in Loop: Header=BB2_49 Depth=1
	s_delay_alu instid0(SALU_CYCLE_1) | instskip(SKIP_1) | instid1(VALU_DEP_1)
	s_or_b32 exec_lo, exec_lo, s11
	v_and_b32_e32 v10, 16, v30
	v_cmp_ne_u32_e32 vcc_lo, 0, v10
	s_and_b32 s11, vcc_lo, s10
	s_delay_alu instid0(SALU_CYCLE_1)
	s_and_saveexec_b32 s10, s11
	s_cbranch_execz .LBB2_249
; %bb.248:                              ;   in Loop: Header=BB2_49 Depth=1
	global_wb scope:SCOPE_SYS
	s_wait_storecnt 0x0
	s_wait_loadcnt_dscnt 0x0
	global_inv scope:SCOPE_SYS
.LBB2_249:                              ;   in Loop: Header=BB2_49 Depth=1
	s_or_b32 exec_lo, exec_lo, s10
	v_cmp_ne_u32_e32 vcc_lo, 0, v10
	s_xor_b32 s10, s7, -1
	s_delay_alu instid0(SALU_CYCLE_1) | instskip(NEXT) | instid1(SALU_CYCLE_1)
	s_and_b32 s11, vcc_lo, s10
	s_and_saveexec_b32 s10, s11
	s_cbranch_execz .LBB2_251
; %bb.250:                              ;   in Loop: Header=BB2_49 Depth=1
	global_wb scope:SCOPE_SYS
	s_wait_storecnt 0x0
	s_wait_loadcnt_dscnt 0x0
	flat_store_b32 v[36:37], v98 scope:SCOPE_SYS
.LBB2_251:                              ;   in Loop: Header=BB2_49 Depth=1
	s_wait_xcnt 0x0
	s_or_b32 exec_lo, exec_lo, s10
	v_and_b32_e32 v10, 48, v30
	s_mov_b32 s10, exec_lo
	s_delay_alu instid0(VALU_DEP_1)
	v_cmpx_ne_u32_e32 0, v10
	s_cbranch_execz .LBB2_253
; %bb.252:                              ;   in Loop: Header=BB2_49 Depth=1
	v_add_nc_u64_e32 v[8:9], 1, v[8:9]
	global_wb scope:SCOPE_SYS
	s_wait_storecnt 0x0
	s_wait_loadcnt_dscnt 0x0
	flat_store_b64 v[22:23], v[8:9] scope:SCOPE_SYS
.LBB2_253:                              ;   in Loop: Header=BB2_49 Depth=1
	s_wait_xcnt 0x0
	s_or_b32 exec_lo, exec_lo, s10
	v_mov_b32_e32 v10, v69
.LBB2_254:                              ;   in Loop: Header=BB2_49 Depth=1
	s_or_b32 exec_lo, exec_lo, s23
	s_and_saveexec_b32 s11, s22
	s_cbranch_execz .LBB2_48
; %bb.255:                              ;   in Loop: Header=BB2_49 Depth=1
	s_delay_alu instid0(VALU_DEP_1) | instskip(SKIP_2) | instid1(VALU_DEP_2)
	v_sub_nc_u32_e32 v10, v68, v10
	v_and_b32_e32 v11, 12, v30
	s_mov_b32 s12, exec_lo
	v_min_i32_e32 v10, v69, v10
	s_delay_alu instid0(VALU_DEP_2)
	v_cmpx_ne_u32_e32 0, v11
	s_cbranch_execz .LBB2_281
; %bb.256:                              ;   in Loop: Header=BB2_49 Depth=1
	s_wait_dscnt 0x0
	v_and_b32_e32 v38, 8, v30
	v_add_nc_u64_e32 v[12:13], 1, v[8:9]
	s_mov_b32 s13, exec_lo
	s_wait_loadcnt 0x0
	s_delay_alu instid0(VALU_DEP_2) | instskip(NEXT) | instid1(VALU_DEP_1)
	v_add_nc_u64_e32 v[14:15], v[32:33], v[38:39]
	v_cmpx_lt_u64_e64 v[14:15], v[12:13]
	s_cbranch_execz .LBB2_268
; %bb.257:                              ;   in Loop: Header=BB2_49 Depth=1
	v_and_b32_e32 v9, 64, v30
	s_mov_b32 s22, 0
	s_mov_b32 s26, 0
                                        ; implicit-def: $sgpr23
                                        ; implicit-def: $sgpr24
                                        ; implicit-def: $sgpr25
	s_delay_alu instid0(VALU_DEP_1)
	v_cmp_eq_u32_e32 vcc_lo, 0, v9
	s_branch .LBB2_261
.LBB2_258:                              ;   in Loop: Header=BB2_261 Depth=2
	s_wait_loadcnt_dscnt 0x0
	v_add_nc_u64_e32 v[14:15], v[32:33], v[38:39]
	s_or_b32 s29, s29, exec_lo
	s_delay_alu instid0(VALU_DEP_1)
	v_cmp_ge_u64_e64 s10, v[14:15], v[12:13]
	s_or_not1_b32 s28, s10, exec_lo
.LBB2_259:                              ;   in Loop: Header=BB2_261 Depth=2
	s_or_b32 exec_lo, exec_lo, s41
	s_delay_alu instid0(SALU_CYCLE_1)
	s_and_not1_b32 s10, s25, exec_lo
	s_and_b32 s25, s29, exec_lo
	s_and_not1_b32 s24, s24, exec_lo
	s_and_b32 s28, s28, exec_lo
	s_or_b32 s25, s10, s25
	s_or_b32 s24, s24, s28
.LBB2_260:                              ;   in Loop: Header=BB2_261 Depth=2
	s_or_b32 exec_lo, exec_lo, s27
	s_delay_alu instid0(SALU_CYCLE_1) | instskip(NEXT) | instid1(SALU_CYCLE_1)
	s_and_b32 s10, exec_lo, s24
	s_or_b32 s22, s10, s22
	s_and_not1_b32 s10, s23, exec_lo
	s_and_b32 s23, s25, exec_lo
	s_delay_alu instid0(SALU_CYCLE_1)
	s_or_b32 s23, s10, s23
	s_and_not1_b32 exec_lo, exec_lo, s22
	s_cbranch_execz .LBB2_265
.LBB2_261:                              ;   Parent Loop BB2_49 Depth=1
                                        ; =>  This Inner Loop Header: Depth=2
	s_sleep 1
	s_wait_loadcnt_dscnt 0x0
	flat_load_b64 v[32:33], v[22:23] scope:SCOPE_SYS
	s_or_b32 s25, s25, exec_lo
	s_or_b32 s24, s24, exec_lo
                                        ; implicit-def: $vgpr9
	s_wait_xcnt 0x0
	s_and_saveexec_b32 s27, vcc_lo
	s_cbranch_execz .LBB2_260
; %bb.262:                              ;   in Loop: Header=BB2_261 Depth=2
	s_cmp_lt_i32 s26, 0x270f
	s_mov_b32 s28, -1
	s_cselect_b32 s40, -1, 0
	s_cmp_gt_i32 s26, 0x270e
	s_cbranch_scc0 .LBB2_264
; %bb.263:                              ;   in Loop: Header=BB2_261 Depth=2
	s_trap 2
	ds_load_b64 v[14:15], v0
	s_and_not1_b32 s26, s40, exec_lo
	s_mov_b32 s29, 0
	s_wait_storecnt 0x0
	s_wait_loadcnt_dscnt 0x0
	flat_load_b32 v9, v[14:15] scope:SCOPE_SYS
	s_wait_loadcnt_dscnt 0x0
	global_inv scope:SCOPE_SYS
	v_cmp_eq_u32_e64 s10, 0, v9
	s_and_b32 s10, s10, exec_lo
	s_delay_alu instid0(SALU_CYCLE_1)
	s_or_b32 s40, s26, s10
	s_mov_b32 s26, 0
	s_and_saveexec_b32 s41, s40
	s_cbranch_execz .LBB2_259
	s_branch .LBB2_258
.LBB2_264:                              ;   in Loop: Header=BB2_261 Depth=2
	s_add_co_i32 s26, s26, 1
	s_mov_b32 s29, -1
                                        ; implicit-def: $vgpr9
	s_and_saveexec_b32 s41, s40
	s_cbranch_execz .LBB2_259
	s_branch .LBB2_258
.LBB2_265:                              ;   in Loop: Header=BB2_49 Depth=1
	s_or_b32 exec_lo, exec_lo, s22
	s_xor_b32 s10, s23, -1
	s_delay_alu instid0(SALU_CYCLE_1) | instskip(NEXT) | instid1(SALU_CYCLE_1)
	s_and_saveexec_b32 s22, s10
	s_xor_b32 s10, exec_lo, s22
	s_cbranch_execz .LBB2_267
; %bb.266:                              ;   in Loop: Header=BB2_49 Depth=1
	v_or_b32_e32 v30, 64, v30
	s_wait_storecnt 0x0
	s_wait_loadcnt_dscnt 0x0
	ds_store_b32 v0, v9
	s_trap 2
.LBB2_267:                              ;   in Loop: Header=BB2_49 Depth=1
	s_or_b32 exec_lo, exec_lo, s10
.LBB2_268:                              ;   in Loop: Header=BB2_49 Depth=1
	s_delay_alu instid0(SALU_CYCLE_1) | instskip(SKIP_2) | instid1(VALU_DEP_1)
	s_or_b32 exec_lo, exec_lo, s13
	v_and_b32_e32 v9, 0x108, v30
	;;#ASMSTART
	s_wakeup
	;;#ASMEND
	v_cmp_ne_u32_e32 vcc_lo, 0x108, v9
	v_and_b32_e32 v8, 7, v8
	s_and_saveexec_b32 s10, vcc_lo
	s_delay_alu instid0(SALU_CYCLE_1)
	s_xor_b32 s10, exec_lo, s10
; %bb.269:                              ;   in Loop: Header=BB2_49 Depth=1
	v_mov_b32_e32 v9, v39
; %bb.270:                              ;   in Loop: Header=BB2_49 Depth=1
	s_and_not1_saveexec_b32 s10, s10
	s_cbranch_execz .LBB2_272
; %bb.271:                              ;   in Loop: Header=BB2_49 Depth=1
	v_dual_ashrrev_i32 v11, 31, v10 :: v_dual_mov_b32 v9, v39
	v_mad_nc_u64_u32 v[14:15], v8, 24, v[6:7]
	s_delay_alu instid0(VALU_DEP_2)
	v_lshlrev_b64_e32 v[16:17], 1, v[10:11]
	flat_store_b64 v[14:15], v[16:17] offset:8
.LBB2_272:                              ;   in Loop: Header=BB2_49 Depth=1
	s_wait_xcnt 0x0
	s_or_b32 exec_lo, exec_lo, s10
	v_and_b32_e32 v11, 0x100, v30
	s_mov_b32 s10, -1
	s_mov_b32 s13, exec_lo
                                        ; implicit-def: $vgpr14_vgpr15
	s_delay_alu instid0(VALU_DEP_1)
	v_cmpx_ne_u32_e32 0, v11
	s_cbranch_execz .LBB2_276
; %bb.273:                              ;   in Loop: Header=BB2_49 Depth=1
	v_mad_nc_u64_u32 v[16:17], v8, 24, v[6:7]
	s_mov_b32 s22, exec_lo
                                        ; implicit-def: $vgpr14_vgpr15
	s_delay_alu instid0(VALU_DEP_1)
	v_mad_u32 v17, v9, 24, v17
	flat_load_b32 v11, v[16:17]
	s_wait_loadcnt_dscnt 0x0
	v_cmp_ne_u32_e32 vcc_lo, 1, v11
	s_wait_xcnt 0x0
	v_cmpx_eq_u32_e32 1, v11
	s_cbranch_execz .LBB2_275
; %bb.274:                              ;   in Loop: Header=BB2_49 Depth=1
	flat_load_b32 v14, v[16:17] offset:4 scope:SCOPE_SYS
	s_wait_loadcnt_dscnt 0x0
	v_ashrrev_i32_e32 v15, 31, v14
	s_delay_alu instid0(VALU_DEP_1)
	v_lshrrev_b64 v[14:15], 1, v[14:15]
.LBB2_275:                              ;   in Loop: Header=BB2_49 Depth=1
	s_wait_xcnt 0x0
	s_or_b32 exec_lo, exec_lo, s22
	s_delay_alu instid0(SALU_CYCLE_1)
	s_or_not1_b32 s10, vcc_lo, exec_lo
.LBB2_276:                              ;   in Loop: Header=BB2_49 Depth=1
	s_or_b32 exec_lo, exec_lo, s13
	s_and_saveexec_b32 s13, s10
; %bb.277:                              ;   in Loop: Header=BB2_49 Depth=1
	v_mul_u64_e32 v[14:15], v[8:9], v[24:25]
; %bb.278:                              ;   in Loop: Header=BB2_49 Depth=1
	s_or_b32 exec_lo, exec_lo, s13
	v_cmp_eq_u32_e32 vcc_lo, 0, v38
	v_and_b32_e32 v16, 0x2000, v30
	s_delay_alu instid0(VALU_DEP_3) | instskip(SKIP_2) | instid1(VALU_DEP_1)
	v_lshl_add_u64 v[8:9], v[14:15], 1, v[26:27]
	s_mov_b32 s10, exec_lo
	v_cndmask_b32_e32 v11, 0xc8, v99, vcc_lo
	v_add_nc_u32_e32 v11, v0, v11
	ds_store_b64 v11, v[8:9] offset:584
	v_cmpx_ne_u32_e32 0, v16
	s_cbranch_execz .LBB2_280
; %bb.279:                              ;   in Loop: Header=BB2_49 Depth=1
	ds_load_b64 v[8:9], v0 offset:872
	s_wait_dscnt 0x0
	v_add_nc_u64_e32 v[8:9], 1, v[8:9]
	ds_store_b64 v0, v[8:9] offset:872
.LBB2_280:                              ;   in Loop: Header=BB2_49 Depth=1
	s_or_b32 exec_lo, exec_lo, s10
	v_mov_b64_e32 v[8:9], v[12:13]
.LBB2_281:                              ;   in Loop: Header=BB2_49 Depth=1
	s_or_b32 exec_lo, exec_lo, s12
	s_and_saveexec_b32 s10, s2
	s_cbranch_execz .LBB2_300
; %bb.282:                              ;   in Loop: Header=BB2_49 Depth=1
	s_and_saveexec_b32 s12, s3
	s_delay_alu instid0(SALU_CYCLE_1)
	s_xor_b32 s12, exec_lo, s12
	s_cbranch_execz .LBB2_297
; %bb.283:                              ;   in Loop: Header=BB2_49 Depth=1
	s_and_saveexec_b32 s13, s4
	s_cbranch_execz .LBB2_296
; %bb.284:                              ;   in Loop: Header=BB2_49 Depth=1
	s_mov_b32 s23, exec_lo
	s_mov_b32 s22, exec_lo
	v_mbcnt_lo_u32_b32 v11, s23, 0
	global_wb scope:SCOPE_DEV
	s_wait_storecnt 0x0
	s_wait_loadcnt_dscnt 0x0
	global_inv scope:SCOPE_DEV
	v_cmpx_eq_u32_e32 0, v11
	s_cbranch_execz .LBB2_286
; %bb.285:                              ;   in Loop: Header=BB2_49 Depth=1
	s_bcnt1_i32_b32 s23, s23
	s_delay_alu instid0(SALU_CYCLE_1)
	v_mov_b32_e32 v38, s23
	s_wait_loadcnt 0x0
	ds_add_u64 v0, v[38:39]
	s_trap 2
.LBB2_286:                              ;   in Loop: Header=BB2_49 Depth=1
	s_or_b32 exec_lo, exec_lo, s22
	s_trap 2
	ds_load_b64 v[12:13], v0
	s_wait_dscnt 0x0
	v_add_nc_u64_e32 v[28:29], v[28:29], v[48:49]
	s_mov_b32 s22, exec_lo
	s_delay_alu instid0(VALU_DEP_1)
	v_cmpx_lt_u64_e64 v[12:13], v[28:29]
	s_cbranch_execz .LBB2_295
; %bb.287:                              ;   in Loop: Header=BB2_49 Depth=1
	s_mov_b32 s23, 0
	s_mov_b32 s26, 0
                                        ; implicit-def: $sgpr24
                                        ; implicit-def: $sgpr25
	s_branch .LBB2_289
.LBB2_288:                              ;   in Loop: Header=BB2_289 Depth=2
	s_or_b32 exec_lo, exec_lo, s28
	s_delay_alu instid0(SALU_CYCLE_1) | instskip(NEXT) | instid1(SALU_CYCLE_1)
	s_and_b32 s27, exec_lo, s29
	s_or_b32 s23, s27, s23
	s_and_not1_b32 s24, s24, exec_lo
	s_and_b32 s27, s25, exec_lo
	s_delay_alu instid0(SALU_CYCLE_1)
	s_or_b32 s24, s24, s27
	s_and_not1_b32 exec_lo, exec_lo, s23
	s_cbranch_execz .LBB2_293
.LBB2_289:                              ;   Parent Loop BB2_49 Depth=1
                                        ; =>  This Inner Loop Header: Depth=2
	s_add_co_i32 s26, s26, 1
	s_delay_alu instid0(SALU_CYCLE_1) | instskip(SKIP_1) | instid1(SALU_CYCLE_1)
	s_cmp_lg_u32 s26, 0x2710
	s_cselect_b32 s27, -1, 0
	s_and_b32 vcc_lo, exec_lo, s27
	s_cbranch_vccz .LBB2_291
; %bb.290:                              ;   in Loop: Header=BB2_289 Depth=2
	s_mov_b32 s29, -1
	s_or_b32 s25, s25, exec_lo
	s_and_saveexec_b32 s28, s27
	s_cbranch_execz .LBB2_288
	s_branch .LBB2_292
.LBB2_291:                              ;   in Loop: Header=BB2_289 Depth=2
	s_trap 2
	ds_load_b64 v[12:13], v0
	s_and_not1_b32 s27, s27, exec_lo
	s_mov_b32 s26, 0
	s_wait_loadcnt_dscnt 0x0
	flat_load_b32 v11, v[12:13] scope:SCOPE_SYS
	s_wait_loadcnt_dscnt 0x0
	global_inv scope:SCOPE_SYS
	v_cmp_eq_u32_e32 vcc_lo, 0, v11
	s_and_b32 s28, vcc_lo, exec_lo
	s_delay_alu instid0(SALU_CYCLE_1)
	s_or_b32 s27, s27, s28
	s_mov_b32 s29, -1
	s_or_b32 s25, s25, exec_lo
	s_and_saveexec_b32 s28, s27
	s_cbranch_execz .LBB2_288
.LBB2_292:                              ;   in Loop: Header=BB2_289 Depth=2
	s_sleep 1
	s_trap 2
	ds_load_b64 v[12:13], v0
	s_wait_dscnt 0x0
	s_and_not1_b32 s25, s25, exec_lo
	v_cmp_ge_u64_e32 vcc_lo, v[12:13], v[28:29]
	s_or_not1_b32 s29, vcc_lo, exec_lo
	s_branch .LBB2_288
.LBB2_293:                              ;   in Loop: Header=BB2_49 Depth=1
	s_or_b32 exec_lo, exec_lo, s23
	s_and_saveexec_b32 s23, s24
	s_delay_alu instid0(SALU_CYCLE_1)
	s_xor_b32 s23, exec_lo, s23
	s_cbranch_execz .LBB2_295
; %bb.294:                              ;   in Loop: Header=BB2_49 Depth=1
	ds_store_b32 v0, v98
	s_trap 2
.LBB2_295:                              ;   in Loop: Header=BB2_49 Depth=1
	s_or_b32 exec_lo, exec_lo, s22
	;;#ASMSTART
	s_wakeup
	;;#ASMEND
.LBB2_296:                              ;   in Loop: Header=BB2_49 Depth=1
	s_or_b32 exec_lo, exec_lo, s13
.LBB2_297:                              ;   in Loop: Header=BB2_49 Depth=1
	s_and_not1_saveexec_b32 s12, s12
	s_cbranch_execz .LBB2_299
; %bb.298:                              ;   in Loop: Header=BB2_49 Depth=1
	global_wb scope:SCOPE_DEV
	s_wait_storecnt 0x0
	s_wait_loadcnt_dscnt 0x0
	global_inv scope:SCOPE_DEV
	s_barrier_signal -1
	s_barrier_wait -1
.LBB2_299:                              ;   in Loop: Header=BB2_49 Depth=1
	s_or_b32 exec_lo, exec_lo, s12
.LBB2_300:                              ;   in Loop: Header=BB2_49 Depth=1
	s_delay_alu instid0(SALU_CYCLE_1)
	s_or_b32 exec_lo, exec_lo, s10
	s_trap 2
	ds_load_b32 v11, v0
	v_cmp_lt_i32_e32 vcc_lo, 0, v10
	s_wait_dscnt 0x0
	v_readfirstlane_b32 s10, v11
	v_and_b32_e32 v11, 16, v30
	s_cmp_eq_u32 s10, 0
	s_delay_alu instid0(VALU_DEP_1) | instskip(SKIP_1) | instid1(SALU_CYCLE_1)
	v_cmp_ne_u32_e64 s10, 0, v11
	s_cselect_b32 s12, -1, 0
	s_and_b32 s12, vcc_lo, s12
	s_delay_alu instid0(SALU_CYCLE_1) | instskip(NEXT) | instid1(SALU_CYCLE_1)
	s_and_b32 s12, s10, s12
	s_and_saveexec_b32 s10, s12
	s_cbranch_execz .LBB2_302
; %bb.301:                              ;   in Loop: Header=BB2_49 Depth=1
	global_wb scope:SCOPE_SYS
	s_wait_loadcnt 0x0
	s_wait_storecnt 0x0
	global_inv scope:SCOPE_SYS
.LBB2_302:                              ;   in Loop: Header=BB2_49 Depth=1
	s_or_b32 exec_lo, exec_lo, s10
	v_cmp_ne_u32_e32 vcc_lo, 0, v11
	s_xor_b32 s10, s7, -1
	s_delay_alu instid0(SALU_CYCLE_1) | instskip(NEXT) | instid1(SALU_CYCLE_1)
	s_and_b32 s12, vcc_lo, s10
	s_and_saveexec_b32 s10, s12
	s_cbranch_execz .LBB2_304
; %bb.303:                              ;   in Loop: Header=BB2_49 Depth=1
	global_wb scope:SCOPE_SYS
	s_wait_loadcnt 0x0
	s_wait_storecnt 0x0
	flat_store_b32 v[36:37], v98 scope:SCOPE_SYS
.LBB2_304:                              ;   in Loop: Header=BB2_49 Depth=1
	s_wait_xcnt 0x0
	s_or_b32 exec_lo, exec_lo, s10
	v_and_b32_e32 v10, 48, v30
	s_mov_b32 s10, exec_lo
	s_delay_alu instid0(VALU_DEP_1)
	v_cmpx_ne_u32_e32 0, v10
	s_cbranch_execz .LBB2_47
; %bb.305:                              ;   in Loop: Header=BB2_49 Depth=1
	v_add_nc_u64_e32 v[8:9], 1, v[8:9]
	global_wb scope:SCOPE_SYS
	s_wait_storecnt 0x0
	s_wait_loadcnt_dscnt 0x0
	flat_store_b64 v[22:23], v[8:9] scope:SCOPE_SYS
	s_branch .LBB2_47
.LBB2_306:
	s_or_b32 exec_lo, exec_lo, s19
.LBB2_307:
	s_delay_alu instid0(SALU_CYCLE_1)
	s_or_b32 exec_lo, exec_lo, s18
                                        ; implicit-def: $vgpr18_vgpr19
                                        ; implicit-def: $vgpr4_vgpr5
                                        ; implicit-def: $vgpr24
                                        ; implicit-def: $vgpr32_vgpr33
                                        ; implicit-def: $vgpr26_vgpr27
                                        ; implicit-def: $vgpr22_vgpr23
                                        ; implicit-def: $vgpr0
                                        ; implicit-def: $vgpr15
                                        ; implicit-def: $vgpr34_vgpr35
.LBB2_308:
	s_and_not1_saveexec_b32 s11, s17
	s_cbranch_execz .LBB2_560
; %bb.309:
	v_mov_b64_e32 v[28:29], 0
	s_mov_b32 s17, exec_lo
	v_cmpx_ne_u64_e32 0, v[4:5]
	s_cbranch_execz .LBB2_559
; %bb.310:
	v_dual_ashrrev_i32 v25, 31, v24 :: v_dual_bitop2_b32 v10, 31, v31 bitop3:0x40
	s_wait_dscnt 0x1
	v_dual_mov_b32 v37, 0 :: v_dual_bitop2_b32 v86, 31, v0 bitop3:0x40
	s_wait_dscnt 0x0
	v_lshrrev_b32_e32 v38, 5, v1
	s_lshr_b32 s2, s15, 27
	v_cmp_eq_u32_e64 s4, 0, v10
	v_dual_mov_b32 v49, v37 :: v_dual_lshlrev_b32 v10, 1, v1
	v_cmp_eq_u32_e32 vcc_lo, 32, v1
	v_mov_b64_e32 v[64:65], 0
	v_mov_b64_e32 v[28:29], 0
	v_cmp_ge_u32_e64 s1, v0, v1
	s_add_co_i32 s7, s15, s2
	v_cmp_ne_u32_e64 s2, 32, v1
	v_cmp_ne_u32_e64 s3, v1, v96
	v_mov_b32_e32 v39, v37
	v_cmp_le_u32_e64 s5, v86, v15
	v_cmp_eq_u32_e64 s6, 0, v86
	v_dual_lshrrev_b32 v87, 5, v0 :: v_dual_lshlrev_b32 v48, 4, v0
	v_dual_mov_b32 v51, v37 :: v_dual_lshlrev_b32 v50, 9, v38
	v_dual_mov_b32 v53, v37 :: v_dual_lshlrev_b32 v52, 8, v38
	v_and_b32_e32 v54, 0x3fc0, v10
	v_dual_mov_b32 v55, v37 :: v_dual_mov_b32 v97, 1
	s_ashr_i32 s19, s7, 5
	s_mov_b32 s18, 0
	s_xor_b32 s20, vcc_lo, -1
	s_trap 2
	s_branch .LBB2_313
.LBB2_311:                              ;   in Loop: Header=BB2_313 Depth=1
	s_wait_xcnt 0x0
	s_or_b32 exec_lo, exec_lo, s7
.LBB2_312:                              ;   in Loop: Header=BB2_313 Depth=1
	s_delay_alu instid0(SALU_CYCLE_1) | instskip(SKIP_1) | instid1(VALU_DEP_1)
	s_or_b32 exec_lo, exec_lo, s10
	v_add_nc_u64_e32 v[64:65], v[64:65], v[34:35]
	v_cmp_ge_u64_e32 vcc_lo, v[64:65], v[4:5]
	s_or_b32 s18, vcc_lo, s18
	s_delay_alu instid0(SALU_CYCLE_1)
	s_and_not1_b32 exec_lo, exec_lo, s18
	s_cbranch_execz .LBB2_558
.LBB2_313:                              ; =>This Loop Header: Depth=1
                                        ;     Child Loop BB2_322 Depth 2
                                        ;     Child Loop BB2_346 Depth 2
	;; [unrolled: 1-line block ×10, first 2 shown]
	v_sub_nc_u64_e32 v[10:11], v[4:5], v[64:65]
	v_mov_b32_e32 v14, 0
	s_delay_alu instid0(VALU_DEP_2) | instskip(NEXT) | instid1(VALU_DEP_1)
	v_min_u64 v[66:67], v[34:35], v[10:11]
	v_add_nc_u32_e32 v10, 15, v66
	s_delay_alu instid0(VALU_DEP_2) | instskip(NEXT) | instid1(VALU_DEP_2)
	v_cmp_eq_u64_e32 vcc_lo, 0, v[66:67]
	v_and_b32_e32 v10, 0x3ffffff0, v10
	s_or_b32 s21, s1, vcc_lo
	s_delay_alu instid0(SALU_CYCLE_1) | instskip(NEXT) | instid1(VALU_DEP_1)
	s_xor_b32 s7, s21, -1
	v_max_i32_e32 v67, s19, v10
	s_and_saveexec_b32 s22, s7
	s_cbranch_execz .LBB2_512
; %bb.314:                              ;   in Loop: Header=BB2_313 Depth=1
	s_and_saveexec_b32 s7, s0
	s_cbranch_execz .LBB2_316
; %bb.315:                              ;   in Loop: Header=BB2_313 Depth=1
	s_trap 2
	ds_load_b64 v[14:15], v0
	ds_load_2addr_b64 v[10:13], v0 offset1:1
	v_add_nc_u64_e32 v[16:17], v[64:65], v[18:19]
	s_delay_alu instid0(VALU_DEP_1) | instskip(SKIP_1) | instid1(VALU_DEP_1)
	v_lshlrev_b64_e32 v[16:17], 1, v[16:17]
	s_wait_dscnt 0x1
	v_add_nc_u64_e32 v[68:69], v[14:15], v[16:17]
	v_cmp_ne_u64_e32 vcc_lo, 0, v[14:15]
	s_wait_dscnt 0x0
	v_add_nc_u64_e32 v[10:11], v[10:11], v[16:17]
	v_add_nc_u64_e32 v[12:13], v[12:13], v[16:17]
	s_delay_alu instid0(VALU_DEP_4)
	v_dual_cndmask_b32 v15, 0, v69 :: v_dual_cndmask_b32 v14, 0, v68
	ds_store_b64 v0, v[10:11]
	ds_store_b64 v0, v[12:13]
	;; [unrolled: 1-line block ×3, first 2 shown]
.LBB2_316:                              ;   in Loop: Header=BB2_313 Depth=1
	s_or_b32 exec_lo, exec_lo, s7
	v_and_b32_e32 v10, 4, v30
	s_mov_b32 s10, exec_lo
	s_delay_alu instid0(VALU_DEP_1)
	v_cmpx_ne_u32_e32 0, v10
	s_cbranch_execz .LBB2_338
; %bb.317:                              ;   in Loop: Header=BB2_313 Depth=1
	v_add_nc_u64_e32 v[10:11], 1, v[8:9]
	s_mov_b32 s12, exec_lo
	s_wait_loadcnt 0x0
	s_delay_alu instid0(VALU_DEP_1)
	v_cmpx_lt_u64_e64 v[32:33], v[10:11]
	s_cbranch_execz .LBB2_329
; %bb.318:                              ;   in Loop: Header=BB2_313 Depth=1
	v_and_b32_e32 v9, 64, v30
	s_mov_b32 s13, 0
	s_mov_b32 s26, 0
                                        ; implicit-def: $sgpr23
                                        ; implicit-def: $sgpr24
                                        ; implicit-def: $sgpr25
	s_delay_alu instid0(VALU_DEP_1)
	v_cmp_eq_u32_e32 vcc_lo, 0, v9
	s_branch .LBB2_322
.LBB2_319:                              ;   in Loop: Header=BB2_322 Depth=2
	s_wait_loadcnt_dscnt 0x0
	v_cmp_ge_u64_e64 s7, v[32:33], v[10:11]
	s_or_b32 s29, s29, exec_lo
	s_or_not1_b32 s28, s7, exec_lo
.LBB2_320:                              ;   in Loop: Header=BB2_322 Depth=2
	s_or_b32 exec_lo, exec_lo, s41
	s_delay_alu instid0(SALU_CYCLE_1)
	s_and_not1_b32 s7, s25, exec_lo
	s_and_b32 s25, s29, exec_lo
	s_and_not1_b32 s24, s24, exec_lo
	s_and_b32 s28, s28, exec_lo
	s_or_b32 s25, s7, s25
	s_or_b32 s24, s24, s28
.LBB2_321:                              ;   in Loop: Header=BB2_322 Depth=2
	s_or_b32 exec_lo, exec_lo, s27
	s_delay_alu instid0(SALU_CYCLE_1) | instskip(NEXT) | instid1(SALU_CYCLE_1)
	s_and_b32 s7, exec_lo, s24
	s_or_b32 s13, s7, s13
	s_and_not1_b32 s7, s23, exec_lo
	s_and_b32 s23, s25, exec_lo
	s_delay_alu instid0(SALU_CYCLE_1)
	s_or_b32 s23, s7, s23
	s_and_not1_b32 exec_lo, exec_lo, s13
	s_cbranch_execz .LBB2_326
.LBB2_322:                              ;   Parent Loop BB2_313 Depth=1
                                        ; =>  This Inner Loop Header: Depth=2
	s_sleep 1
	s_wait_loadcnt_dscnt 0x0
	flat_load_b64 v[32:33], v[22:23] scope:SCOPE_SYS
	s_or_b32 s25, s25, exec_lo
	s_or_b32 s24, s24, exec_lo
                                        ; implicit-def: $vgpr9
	s_wait_xcnt 0x0
	s_and_saveexec_b32 s27, vcc_lo
	s_cbranch_execz .LBB2_321
; %bb.323:                              ;   in Loop: Header=BB2_322 Depth=2
	s_cmp_lt_i32 s26, 0x270f
	s_mov_b32 s28, -1
	s_cselect_b32 s40, -1, 0
	s_cmp_gt_i32 s26, 0x270e
	s_cbranch_scc0 .LBB2_325
; %bb.324:                              ;   in Loop: Header=BB2_322 Depth=2
	s_trap 2
	ds_load_b64 v[12:13], v0
	s_and_not1_b32 s26, s40, exec_lo
	s_mov_b32 s29, 0
	s_wait_storecnt 0x0
	s_wait_loadcnt_dscnt 0x0
	flat_load_b32 v9, v[12:13] scope:SCOPE_SYS
	s_wait_loadcnt_dscnt 0x0
	global_inv scope:SCOPE_SYS
	v_cmp_eq_u32_e64 s7, 0, v9
	s_and_b32 s7, s7, exec_lo
	s_delay_alu instid0(SALU_CYCLE_1)
	s_or_b32 s40, s26, s7
	s_mov_b32 s26, 0
	s_and_saveexec_b32 s41, s40
	s_cbranch_execz .LBB2_320
	s_branch .LBB2_319
.LBB2_325:                              ;   in Loop: Header=BB2_322 Depth=2
	s_add_co_i32 s26, s26, 1
	s_mov_b32 s29, -1
                                        ; implicit-def: $vgpr9
	s_and_saveexec_b32 s41, s40
	s_cbranch_execz .LBB2_320
	s_branch .LBB2_319
.LBB2_326:                              ;   in Loop: Header=BB2_313 Depth=1
	s_or_b32 exec_lo, exec_lo, s13
	s_xor_b32 s7, s23, -1
	s_delay_alu instid0(SALU_CYCLE_1) | instskip(NEXT) | instid1(SALU_CYCLE_1)
	s_and_saveexec_b32 s13, s7
	s_xor_b32 s7, exec_lo, s13
	s_cbranch_execz .LBB2_328
; %bb.327:                              ;   in Loop: Header=BB2_313 Depth=1
	v_or_b32_e32 v30, 64, v30
	s_wait_storecnt 0x0
	s_wait_loadcnt_dscnt 0x0
	ds_store_b32 v0, v9
	s_trap 2
.LBB2_328:                              ;   in Loop: Header=BB2_313 Depth=1
	s_or_b32 exec_lo, exec_lo, s7
.LBB2_329:                              ;   in Loop: Header=BB2_313 Depth=1
	s_delay_alu instid0(SALU_CYCLE_1) | instskip(SKIP_4) | instid1(VALU_DEP_2)
	s_or_b32 exec_lo, exec_lo, s12
	v_and_b32_e32 v9, 0x100, v30
	v_and_b32_e32 v36, 7, v8
	s_mov_b32 s7, -1
	;;#ASMSTART
	s_wakeup
	;;#ASMEND
	v_cmp_ne_u32_e32 vcc_lo, 0, v9
                                        ; implicit-def: $vgpr8_vgpr9
	s_and_saveexec_b32 s12, vcc_lo
	s_cbranch_execz .LBB2_333
; %bb.330:                              ;   in Loop: Header=BB2_313 Depth=1
	v_mad_nc_u64_u32 v[12:13], v36, 24, v[6:7]
	flat_load_b32 v8, v[12:13]
	s_wait_loadcnt_dscnt 0x0
	v_cmp_eq_u32_e64 s7, 1, v8
	v_cmp_ne_u32_e32 vcc_lo, 1, v8
                                        ; implicit-def: $vgpr8_vgpr9
	s_wait_xcnt 0x0
	s_and_saveexec_b32 s13, s7
	s_cbranch_execz .LBB2_332
; %bb.331:                              ;   in Loop: Header=BB2_313 Depth=1
	flat_load_b32 v8, v[12:13] offset:4 scope:SCOPE_SYS
	s_wait_loadcnt_dscnt 0x0
	v_ashrrev_i32_e32 v9, 31, v8
	s_delay_alu instid0(VALU_DEP_1)
	v_lshrrev_b64 v[8:9], 1, v[8:9]
.LBB2_332:                              ;   in Loop: Header=BB2_313 Depth=1
	s_wait_xcnt 0x0
	s_or_b32 exec_lo, exec_lo, s13
	s_delay_alu instid0(SALU_CYCLE_1)
	s_or_not1_b32 s7, vcc_lo, exec_lo
.LBB2_333:                              ;   in Loop: Header=BB2_313 Depth=1
	s_or_b32 exec_lo, exec_lo, s12
	s_and_saveexec_b32 s12, s7
; %bb.334:                              ;   in Loop: Header=BB2_313 Depth=1
	v_mul_u64_e32 v[8:9], v[36:37], v[24:25]
; %bb.335:                              ;   in Loop: Header=BB2_313 Depth=1
	s_or_b32 exec_lo, exec_lo, s12
	v_and_b32_e32 v12, 0x2000, v30
	s_delay_alu instid0(VALU_DEP_2)
	v_lshl_add_u64 v[8:9], v[8:9], 1, v[26:27]
	s_mov_b32 s7, exec_lo
	ds_store_b64 v0, v[8:9] offset:728
	v_cmpx_ne_u32_e32 0, v12
	s_cbranch_execz .LBB2_337
; %bb.336:                              ;   in Loop: Header=BB2_313 Depth=1
	ds_load_b64 v[8:9], v0 offset:872
	s_wait_dscnt 0x0
	v_add_nc_u64_e32 v[8:9], 1, v[8:9]
	ds_store_b64 v0, v[8:9] offset:872
.LBB2_337:                              ;   in Loop: Header=BB2_313 Depth=1
	s_or_b32 exec_lo, exec_lo, s7
	v_mov_b64_e32 v[8:9], v[10:11]
.LBB2_338:                              ;   in Loop: Header=BB2_313 Depth=1
	s_or_b32 exec_lo, exec_lo, s10
	s_and_saveexec_b32 s7, s2
	s_cbranch_execz .LBB2_357
; %bb.339:                              ;   in Loop: Header=BB2_313 Depth=1
	s_and_saveexec_b32 s10, s3
	s_delay_alu instid0(SALU_CYCLE_1)
	s_xor_b32 s10, exec_lo, s10
	s_cbranch_execz .LBB2_354
; %bb.340:                              ;   in Loop: Header=BB2_313 Depth=1
	s_and_saveexec_b32 s12, s4
	s_cbranch_execz .LBB2_353
; %bb.341:                              ;   in Loop: Header=BB2_313 Depth=1
	s_mov_b32 s23, exec_lo
	s_mov_b32 s13, exec_lo
	v_mbcnt_lo_u32_b32 v10, s23, 0
	global_wb scope:SCOPE_DEV
	s_wait_storecnt 0x0
	s_wait_loadcnt_dscnt 0x0
	global_inv scope:SCOPE_DEV
	v_cmpx_eq_u32_e32 0, v10
	s_cbranch_execz .LBB2_343
; %bb.342:                              ;   in Loop: Header=BB2_313 Depth=1
	s_bcnt1_i32_b32 s23, s23
	s_delay_alu instid0(SALU_CYCLE_1)
	v_mov_b32_e32 v36, s23
	s_wait_loadcnt 0x0
	ds_add_u64 v0, v[36:37]
	s_trap 2
.LBB2_343:                              ;   in Loop: Header=BB2_313 Depth=1
	s_or_b32 exec_lo, exec_lo, s13
	s_trap 2
	ds_load_b64 v[10:11], v0
	s_wait_dscnt 0x0
	v_add_nc_u64_e32 v[28:29], v[28:29], v[38:39]
	s_mov_b32 s13, exec_lo
	s_delay_alu instid0(VALU_DEP_1)
	v_cmpx_lt_u64_e64 v[10:11], v[28:29]
	s_cbranch_execz .LBB2_352
; %bb.344:                              ;   in Loop: Header=BB2_313 Depth=1
	s_mov_b32 s23, 0
	s_mov_b32 s26, 0
                                        ; implicit-def: $sgpr24
                                        ; implicit-def: $sgpr25
	s_branch .LBB2_346
.LBB2_345:                              ;   in Loop: Header=BB2_346 Depth=2
	s_or_b32 exec_lo, exec_lo, s28
	s_delay_alu instid0(SALU_CYCLE_1) | instskip(NEXT) | instid1(SALU_CYCLE_1)
	s_and_b32 s27, exec_lo, s29
	s_or_b32 s23, s27, s23
	s_and_not1_b32 s24, s24, exec_lo
	s_and_b32 s27, s25, exec_lo
	s_delay_alu instid0(SALU_CYCLE_1)
	s_or_b32 s24, s24, s27
	s_and_not1_b32 exec_lo, exec_lo, s23
	s_cbranch_execz .LBB2_350
.LBB2_346:                              ;   Parent Loop BB2_313 Depth=1
                                        ; =>  This Inner Loop Header: Depth=2
	s_add_co_i32 s26, s26, 1
	s_delay_alu instid0(SALU_CYCLE_1) | instskip(SKIP_1) | instid1(SALU_CYCLE_1)
	s_cmp_lg_u32 s26, 0x2710
	s_cselect_b32 s27, -1, 0
	s_and_b32 vcc_lo, exec_lo, s27
	s_cbranch_vccz .LBB2_348
; %bb.347:                              ;   in Loop: Header=BB2_346 Depth=2
	s_mov_b32 s29, -1
	s_or_b32 s25, s25, exec_lo
	s_and_saveexec_b32 s28, s27
	s_cbranch_execz .LBB2_345
	s_branch .LBB2_349
.LBB2_348:                              ;   in Loop: Header=BB2_346 Depth=2
	s_trap 2
	ds_load_b64 v[10:11], v0
	s_and_not1_b32 s27, s27, exec_lo
	s_mov_b32 s26, 0
	s_wait_loadcnt_dscnt 0x0
	flat_load_b32 v10, v[10:11] scope:SCOPE_SYS
	s_wait_loadcnt_dscnt 0x0
	global_inv scope:SCOPE_SYS
	v_cmp_eq_u32_e32 vcc_lo, 0, v10
	s_and_b32 s28, vcc_lo, exec_lo
	s_delay_alu instid0(SALU_CYCLE_1)
	s_or_b32 s27, s27, s28
	s_mov_b32 s29, -1
	s_or_b32 s25, s25, exec_lo
	s_and_saveexec_b32 s28, s27
	s_cbranch_execz .LBB2_345
.LBB2_349:                              ;   in Loop: Header=BB2_346 Depth=2
	s_sleep 1
	s_trap 2
	ds_load_b64 v[10:11], v0
	s_wait_dscnt 0x0
	s_and_not1_b32 s25, s25, exec_lo
	v_cmp_ge_u64_e32 vcc_lo, v[10:11], v[28:29]
	s_or_not1_b32 s29, vcc_lo, exec_lo
	s_branch .LBB2_345
.LBB2_350:                              ;   in Loop: Header=BB2_313 Depth=1
	s_or_b32 exec_lo, exec_lo, s23
	s_and_saveexec_b32 s23, s24
	s_delay_alu instid0(SALU_CYCLE_1)
	s_xor_b32 s23, exec_lo, s23
	s_cbranch_execz .LBB2_352
; %bb.351:                              ;   in Loop: Header=BB2_313 Depth=1
	ds_store_b32 v0, v97
	s_trap 2
.LBB2_352:                              ;   in Loop: Header=BB2_313 Depth=1
	s_or_b32 exec_lo, exec_lo, s13
	;;#ASMSTART
	s_wakeup
	;;#ASMEND
.LBB2_353:                              ;   in Loop: Header=BB2_313 Depth=1
	s_or_b32 exec_lo, exec_lo, s12
.LBB2_354:                              ;   in Loop: Header=BB2_313 Depth=1
	s_and_not1_saveexec_b32 s10, s10
	s_cbranch_execz .LBB2_356
; %bb.355:                              ;   in Loop: Header=BB2_313 Depth=1
	global_wb scope:SCOPE_DEV
	s_wait_storecnt 0x0
	s_wait_loadcnt_dscnt 0x0
	global_inv scope:SCOPE_DEV
	s_barrier_signal -1
	s_barrier_wait -1
.LBB2_356:                              ;   in Loop: Header=BB2_313 Depth=1
	s_or_b32 exec_lo, exec_lo, s10
.LBB2_357:                              ;   in Loop: Header=BB2_313 Depth=1
	s_delay_alu instid0(SALU_CYCLE_1) | instskip(SKIP_3) | instid1(VALU_DEP_1)
	s_or_b32 exec_lo, exec_lo, s7
	s_trap 2
	ds_load_b32 v10, v0
	v_and_b32_e32 v11, 0x4000, v30
	v_cmp_ne_u32_e32 vcc_lo, 0, v11
	s_and_b32 s10, s20, vcc_lo
	s_delay_alu instid0(SALU_CYCLE_1)
	s_and_saveexec_b32 s7, s10
	s_cbranch_execz .LBB2_376
; %bb.358:                              ;   in Loop: Header=BB2_313 Depth=1
	s_and_saveexec_b32 s10, s3
	s_delay_alu instid0(SALU_CYCLE_1)
	s_xor_b32 s10, exec_lo, s10
	s_cbranch_execz .LBB2_373
; %bb.359:                              ;   in Loop: Header=BB2_313 Depth=1
	s_and_saveexec_b32 s12, s4
	s_cbranch_execz .LBB2_372
; %bb.360:                              ;   in Loop: Header=BB2_313 Depth=1
	s_mov_b32 s23, exec_lo
	s_mov_b32 s13, exec_lo
	v_mbcnt_lo_u32_b32 v11, s23, 0
	global_wb scope:SCOPE_DEV
	s_wait_storecnt 0x0
	s_wait_loadcnt_dscnt 0x0
	global_inv scope:SCOPE_DEV
	v_cmpx_eq_u32_e32 0, v11
	s_cbranch_execz .LBB2_362
; %bb.361:                              ;   in Loop: Header=BB2_313 Depth=1
	s_bcnt1_i32_b32 s23, s23
	s_delay_alu instid0(SALU_CYCLE_1)
	v_mov_b32_e32 v36, s23
	s_wait_loadcnt 0x0
	ds_add_u64 v0, v[36:37]
	s_trap 2
.LBB2_362:                              ;   in Loop: Header=BB2_313 Depth=1
	s_or_b32 exec_lo, exec_lo, s13
	s_trap 2
	ds_load_b64 v[12:13], v0
	s_wait_dscnt 0x0
	v_add_nc_u64_e32 v[28:29], v[28:29], v[38:39]
	s_mov_b32 s13, exec_lo
	s_delay_alu instid0(VALU_DEP_1)
	v_cmpx_lt_u64_e64 v[12:13], v[28:29]
	s_cbranch_execz .LBB2_371
; %bb.363:                              ;   in Loop: Header=BB2_313 Depth=1
	s_mov_b32 s23, 0
	s_mov_b32 s26, 0
                                        ; implicit-def: $sgpr24
                                        ; implicit-def: $sgpr25
	s_branch .LBB2_365
.LBB2_364:                              ;   in Loop: Header=BB2_365 Depth=2
	s_or_b32 exec_lo, exec_lo, s28
	s_delay_alu instid0(SALU_CYCLE_1) | instskip(NEXT) | instid1(SALU_CYCLE_1)
	s_and_b32 s27, exec_lo, s29
	s_or_b32 s23, s27, s23
	s_and_not1_b32 s24, s24, exec_lo
	s_and_b32 s27, s25, exec_lo
	s_delay_alu instid0(SALU_CYCLE_1)
	s_or_b32 s24, s24, s27
	s_and_not1_b32 exec_lo, exec_lo, s23
	s_cbranch_execz .LBB2_369
.LBB2_365:                              ;   Parent Loop BB2_313 Depth=1
                                        ; =>  This Inner Loop Header: Depth=2
	s_add_co_i32 s26, s26, 1
	s_delay_alu instid0(SALU_CYCLE_1) | instskip(SKIP_1) | instid1(SALU_CYCLE_1)
	s_cmp_lg_u32 s26, 0x2710
	s_cselect_b32 s27, -1, 0
	s_and_b32 vcc_lo, exec_lo, s27
	s_cbranch_vccz .LBB2_367
; %bb.366:                              ;   in Loop: Header=BB2_365 Depth=2
	s_mov_b32 s29, -1
	s_or_b32 s25, s25, exec_lo
	s_and_saveexec_b32 s28, s27
	s_cbranch_execz .LBB2_364
	s_branch .LBB2_368
.LBB2_367:                              ;   in Loop: Header=BB2_365 Depth=2
	s_trap 2
	ds_load_b64 v[12:13], v0
	s_and_not1_b32 s27, s27, exec_lo
	s_mov_b32 s26, 0
	s_wait_loadcnt_dscnt 0x0
	flat_load_b32 v11, v[12:13] scope:SCOPE_SYS
	s_wait_loadcnt_dscnt 0x0
	global_inv scope:SCOPE_SYS
	v_cmp_eq_u32_e32 vcc_lo, 0, v11
	s_and_b32 s28, vcc_lo, exec_lo
	s_delay_alu instid0(SALU_CYCLE_1)
	s_or_b32 s27, s27, s28
	s_mov_b32 s29, -1
	s_or_b32 s25, s25, exec_lo
	s_and_saveexec_b32 s28, s27
	s_cbranch_execz .LBB2_364
.LBB2_368:                              ;   in Loop: Header=BB2_365 Depth=2
	s_sleep 1
	s_trap 2
	ds_load_b64 v[12:13], v0
	s_wait_dscnt 0x0
	s_and_not1_b32 s25, s25, exec_lo
	v_cmp_ge_u64_e32 vcc_lo, v[12:13], v[28:29]
	s_or_not1_b32 s29, vcc_lo, exec_lo
	s_branch .LBB2_364
.LBB2_369:                              ;   in Loop: Header=BB2_313 Depth=1
	s_or_b32 exec_lo, exec_lo, s23
	s_and_saveexec_b32 s23, s24
	s_delay_alu instid0(SALU_CYCLE_1)
	s_xor_b32 s23, exec_lo, s23
	s_cbranch_execz .LBB2_371
; %bb.370:                              ;   in Loop: Header=BB2_313 Depth=1
	ds_store_b32 v0, v97
	s_trap 2
.LBB2_371:                              ;   in Loop: Header=BB2_313 Depth=1
	s_or_b32 exec_lo, exec_lo, s13
	;;#ASMSTART
	s_wakeup
	;;#ASMEND
.LBB2_372:                              ;   in Loop: Header=BB2_313 Depth=1
	s_or_b32 exec_lo, exec_lo, s12
.LBB2_373:                              ;   in Loop: Header=BB2_313 Depth=1
	s_and_not1_saveexec_b32 s10, s10
	s_cbranch_execz .LBB2_375
; %bb.374:                              ;   in Loop: Header=BB2_313 Depth=1
	global_wb scope:SCOPE_DEV
	s_wait_storecnt 0x0
	s_wait_loadcnt_dscnt 0x0
	global_inv scope:SCOPE_DEV
	s_barrier_signal -1
	s_barrier_wait -1
.LBB2_375:                              ;   in Loop: Header=BB2_313 Depth=1
	s_or_b32 exec_lo, exec_lo, s10
.LBB2_376:                              ;   in Loop: Header=BB2_313 Depth=1
	s_delay_alu instid0(SALU_CYCLE_1)
	s_or_b32 exec_lo, exec_lo, s7
	s_trap 2
	ds_load_b64 v[68:69], v0
	v_min_u32_e32 v67, v67, v66
	s_wait_dscnt 0x0
	v_cmp_eq_u64_e32 vcc_lo, 0, v[68:69]
	s_cbranch_vccnz .LBB2_384
; %bb.377:                              ;   in Loop: Header=BB2_313 Depth=1
	s_trap 2
	ds_load_b64 v[70:71], v0
	s_wait_dscnt 0x0
	v_cmp_eq_u64_e32 vcc_lo, 0, v[70:71]
	s_cbranch_vccnz .LBB2_384
; %bb.378:                              ;   in Loop: Header=BB2_313 Depth=1
	s_trap 2
	ds_load_b64 v[12:13], v0
	s_mov_b32 s7, -1
	s_wait_dscnt 0x0
	v_readfirstlane_b32 s12, v12
	v_readfirstlane_b32 s13, v13
	s_and_saveexec_b32 s10, s5
	s_cbranch_execz .LBB2_380
; %bb.379:                              ;   in Loop: Header=BB2_313 Depth=1
	ds_load_b32 v11, v0 offset:720
	s_wait_dscnt 0x0
	v_and_b32_e32 v11, 15, v11
	s_delay_alu instid0(VALU_DEP_1)
	v_cmp_eq_u32_e32 vcc_lo, 0, v11
	s_or_not1_b32 s7, vcc_lo, exec_lo
.LBB2_380:                              ;   in Loop: Header=BB2_313 Depth=1
	s_or_b32 exec_lo, exec_lo, s10
	s_and_saveexec_b32 s10, s6
	s_cbranch_execz .LBB2_382
; %bb.381:                              ;   in Loop: Header=BB2_313 Depth=1
	ds_load_b32 v11, v0 offset:784
	s_wait_dscnt 0x0
	v_and_b32_e32 v11, 15, v11
	s_delay_alu instid0(VALU_DEP_1) | instskip(SKIP_3) | instid1(SALU_CYCLE_1)
	v_cmp_eq_u32_e32 vcc_lo, 0, v11
	s_and_b32 s23, s7, vcc_lo
	s_and_not1_b32 s7, s7, exec_lo
	s_and_b32 s23, s23, exec_lo
	s_or_b32 s7, s7, s23
.LBB2_382:                              ;   in Loop: Header=BB2_313 Depth=1
	s_or_b32 exec_lo, exec_lo, s10
	v_cmp_eq_u32_e32 vcc_lo, 0, v10
	s_xor_b32 s7, s7, -1
	s_mov_b32 s24, -1
	v_cndmask_b32_e64 v11, 0, 1, s7
	v_dual_mov_b32 v16, 0 :: v_dual_cndmask_b32 v36, 0, v67, vcc_lo
	s_delay_alu instid0(VALU_DEP_2) | instskip(NEXT) | instid1(VALU_DEP_2)
	v_cmp_ne_u32_e32 vcc_lo, 0, v11
	v_lshlrev_b32_e32 v98, 1, v36
	s_cbranch_vccz .LBB2_385
; %bb.383:                              ;   in Loop: Header=BB2_313 Depth=1
	v_mov_b32_e32 v17, v0
	s_and_saveexec_b32 s10, s24
	s_cbranch_execnz .LBB2_460
	s_branch .LBB2_488
.LBB2_384:                              ;   in Loop: Header=BB2_313 Depth=1
	s_mov_b32 s7, 0
	s_and_saveexec_b32 s10, s2
	s_cbranch_execnz .LBB2_489
	s_branch .LBB2_507
.LBB2_385:                              ;   in Loop: Header=BB2_313 Depth=1
	v_lshrrev_b32_e32 v10, 8, v36
	s_delay_alu instid0(VALU_DEP_2) | instskip(SKIP_1) | instid1(VALU_DEP_2)
	v_sub_nc_u32_e32 v100, v98, v48
	s_mov_b32 s23, exec_lo
	v_lshlrev_b32_e32 v99, 9, v10
	s_delay_alu instid0(VALU_DEP_1) | instskip(SKIP_1) | instid1(VALU_DEP_2)
	v_sub_nc_u32_e32 v101, v98, v99
	v_sub_nc_u32_e32 v10, v10, v87
	v_cmp_lt_i32_e32 vcc_lo, 15, v101
	s_delay_alu instid0(VALU_DEP_2)
	v_add_co_ci_u32_e64 v102, null, 0, v10, vcc_lo
	v_cmpx_lt_i32_e32 15, v100
	s_cbranch_execz .LBB2_421
; %bb.386:                              ;   in Loop: Header=BB2_313 Depth=1
	s_trap 2
	ds_load_b64 v[10:11], v0
	v_add_nc_u64_e32 v[80:81], v[68:69], v[48:49]
	v_add_nc_u64_e32 v[84:85], v[70:71], v[48:49]
	s_bitcmp0_b64 s[12:13], 0
	s_mov_b32 s24, 0
	s_cselect_b32 s7, -1, 0
	s_wait_dscnt 0x0
	v_add_nc_u64_e32 v[82:83], v[10:11], v[48:49]
	s_branch .LBB2_388
.LBB2_387:                              ;   in Loop: Header=BB2_388 Depth=2
	s_or_b32 exec_lo, exec_lo, s25
	v_dual_lshrrev_b32 v14, 16, v14 :: v_dual_lshrrev_b32 v17, 16, v103
	v_dual_lshrrev_b32 v15, 16, v15 :: v_dual_lshrrev_b32 v16, 16, v16
	v_sub_nc_u32_e32 v100, v100, v50
	s_delay_alu instid0(VALU_DEP_3) | instskip(NEXT) | instid1(VALU_DEP_4)
	v_and_or_b32 v11, 0xffff0000, v11, v14
	v_and_or_b32 v10, 0xffff0000, v10, v17
	s_delay_alu instid0(VALU_DEP_4)
	v_and_or_b32 v12, 0xffff0000, v12, v15
	v_and_or_b32 v13, 0xffff0000, v13, v16
	v_add_nc_u64_e32 v[80:81], v[80:81], v[50:51]
	v_add_nc_u64_e32 v[82:83], v[82:83], v[50:51]
	v_cmp_gt_i32_e64 s10, 16, v100
	v_sub_nc_u32_e32 v102, v102, v38
	global_store_b128 v[84:85], v[10:13], off th:TH_STORE_NT
	s_wait_xcnt 0x0
	v_add_nc_u64_e32 v[84:85], v[84:85], v[50:51]
	s_or_b32 s24, s10, s24
	s_delay_alu instid0(SALU_CYCLE_1)
	s_and_not1_b32 exec_lo, exec_lo, s24
	s_cbranch_execz .LBB2_420
.LBB2_388:                              ;   Parent Loop BB2_313 Depth=1
                                        ; =>  This Inner Loop Header: Depth=2
	global_load_b128 v[14:17], v[82:83], off th:TH_LOAD_NT
	global_load_b128 v[10:13], v[80:81], off th:TH_LOAD_NT
	s_wait_loadcnt 0x0
	v_lshlrev_b32_e32 v112, 16, v10
	s_delay_alu instid0(VALU_DEP_1) | instskip(NEXT) | instid1(VALU_DEP_1)
	v_dual_max_num_f32 v112, v112, v112 :: v_dual_lshlrev_b32 v103, 16, v14
	v_max_num_f32_e32 v103, v103, v103
	s_delay_alu instid0(VALU_DEP_1) | instskip(NEXT) | instid1(VALU_DEP_1)
	v_dual_min_num_f32 v113, v112, v103 :: v_dual_max_num_f32 v103, v112, v103
	v_cndmask_b32_e64 v112, v103, v113, s7
	s_delay_alu instid0(VALU_DEP_1) | instskip(NEXT) | instid1(VALU_DEP_1)
	v_and_b32_e32 v103, 0x7f800000, v112
	v_cmp_ne_u32_e64 s10, 0x7f800000, v103
                                        ; implicit-def: $vgpr103
	s_wait_xcnt 0x0
	s_and_saveexec_b32 s25, s10
	s_delay_alu instid0(SALU_CYCLE_1)
	s_xor_b32 s10, exec_lo, s25
; %bb.389:                              ;   in Loop: Header=BB2_388 Depth=2
	v_bfe_u32 v103, v112, 16, 1
	s_delay_alu instid0(VALU_DEP_1)
	v_add3_u32 v103, v112, v103, 0x7fff
                                        ; implicit-def: $vgpr112
; %bb.390:                              ;   in Loop: Header=BB2_388 Depth=2
	s_and_not1_saveexec_b32 s25, s10
; %bb.391:                              ;   in Loop: Header=BB2_388 Depth=2
	v_and_b32_e32 v103, 0xffff, v112
	v_or_b32_e32 v113, 0x10000, v112
	s_delay_alu instid0(VALU_DEP_2) | instskip(NEXT) | instid1(VALU_DEP_1)
	v_cmp_eq_u32_e64 s10, 0, v103
	v_cndmask_b32_e64 v103, v113, v112, s10
; %bb.392:                              ;   in Loop: Header=BB2_388 Depth=2
	s_or_b32 exec_lo, exec_lo, s25
	v_and_b32_e32 v14, 0xffff0000, v14
	v_and_b32_e32 v10, 0xffff0000, v10
	s_delay_alu instid0(VALU_DEP_2) | instskip(NEXT) | instid1(VALU_DEP_2)
	v_max_num_f32_e32 v14, v14, v14
	v_max_num_f32_e32 v10, v10, v10
	s_delay_alu instid0(VALU_DEP_1) | instskip(NEXT) | instid1(VALU_DEP_1)
	v_dual_min_num_f32 v112, v10, v14 :: v_dual_max_num_f32 v10, v10, v14
	v_cndmask_b32_e64 v14, v10, v112, s7
	s_delay_alu instid0(VALU_DEP_1) | instskip(NEXT) | instid1(VALU_DEP_1)
	v_and_b32_e32 v10, 0x7f800000, v14
	v_cmp_ne_u32_e64 s10, 0x7f800000, v10
                                        ; implicit-def: $vgpr10
	s_and_saveexec_b32 s25, s10
	s_delay_alu instid0(SALU_CYCLE_1)
	s_xor_b32 s10, exec_lo, s25
; %bb.393:                              ;   in Loop: Header=BB2_388 Depth=2
	v_bfe_u32 v10, v14, 16, 1
	s_delay_alu instid0(VALU_DEP_1)
	v_add3_u32 v10, v14, v10, 0x7fff
                                        ; implicit-def: $vgpr14
; %bb.394:                              ;   in Loop: Header=BB2_388 Depth=2
	s_and_not1_saveexec_b32 s25, s10
; %bb.395:                              ;   in Loop: Header=BB2_388 Depth=2
	v_and_b32_e32 v10, 0xffff, v14
	v_or_b32_e32 v112, 0x10000, v14
	s_delay_alu instid0(VALU_DEP_2) | instskip(NEXT) | instid1(VALU_DEP_1)
	v_cmp_eq_u32_e64 s10, 0, v10
	v_cndmask_b32_e64 v10, v112, v14, s10
; %bb.396:                              ;   in Loop: Header=BB2_388 Depth=2
	s_or_b32 exec_lo, exec_lo, s25
	v_lshlrev_b32_e32 v112, 16, v11
	s_delay_alu instid0(VALU_DEP_1) | instskip(NEXT) | instid1(VALU_DEP_1)
	v_dual_lshlrev_b32 v14, 16, v15 :: v_dual_max_num_f32 v112, v112, v112
	v_max_num_f32_e32 v14, v14, v14
	s_delay_alu instid0(VALU_DEP_1) | instskip(NEXT) | instid1(VALU_DEP_1)
	v_dual_min_num_f32 v113, v112, v14 :: v_dual_max_num_f32 v14, v112, v14
	v_cndmask_b32_e64 v112, v14, v113, s7
	s_delay_alu instid0(VALU_DEP_1) | instskip(NEXT) | instid1(VALU_DEP_1)
	v_and_b32_e32 v14, 0x7f800000, v112
	v_cmp_ne_u32_e64 s10, 0x7f800000, v14
                                        ; implicit-def: $vgpr14
	s_and_saveexec_b32 s25, s10
	s_delay_alu instid0(SALU_CYCLE_1)
	s_xor_b32 s10, exec_lo, s25
; %bb.397:                              ;   in Loop: Header=BB2_388 Depth=2
	v_bfe_u32 v14, v112, 16, 1
	s_delay_alu instid0(VALU_DEP_1)
	v_add3_u32 v14, v112, v14, 0x7fff
                                        ; implicit-def: $vgpr112
; %bb.398:                              ;   in Loop: Header=BB2_388 Depth=2
	s_and_not1_saveexec_b32 s25, s10
; %bb.399:                              ;   in Loop: Header=BB2_388 Depth=2
	v_and_b32_e32 v14, 0xffff, v112
	v_or_b32_e32 v113, 0x10000, v112
	s_delay_alu instid0(VALU_DEP_2) | instskip(NEXT) | instid1(VALU_DEP_1)
	v_cmp_eq_u32_e64 s10, 0, v14
	v_cndmask_b32_e64 v14, v113, v112, s10
; %bb.400:                              ;   in Loop: Header=BB2_388 Depth=2
	s_or_b32 exec_lo, exec_lo, s25
	v_and_b32_e32 v15, 0xffff0000, v15
	v_and_b32_e32 v11, 0xffff0000, v11
	s_delay_alu instid0(VALU_DEP_2) | instskip(NEXT) | instid1(VALU_DEP_2)
	v_max_num_f32_e32 v15, v15, v15
	v_max_num_f32_e32 v11, v11, v11
	s_delay_alu instid0(VALU_DEP_1) | instskip(NEXT) | instid1(VALU_DEP_1)
	v_dual_min_num_f32 v112, v11, v15 :: v_dual_max_num_f32 v11, v11, v15
	v_cndmask_b32_e64 v15, v11, v112, s7
	s_delay_alu instid0(VALU_DEP_1) | instskip(NEXT) | instid1(VALU_DEP_1)
	v_and_b32_e32 v11, 0x7f800000, v15
	v_cmp_ne_u32_e64 s10, 0x7f800000, v11
                                        ; implicit-def: $vgpr11
	s_and_saveexec_b32 s25, s10
	s_delay_alu instid0(SALU_CYCLE_1)
	s_xor_b32 s10, exec_lo, s25
; %bb.401:                              ;   in Loop: Header=BB2_388 Depth=2
	v_bfe_u32 v11, v15, 16, 1
	s_delay_alu instid0(VALU_DEP_1)
	v_add3_u32 v11, v15, v11, 0x7fff
                                        ; implicit-def: $vgpr15
; %bb.402:                              ;   in Loop: Header=BB2_388 Depth=2
	s_and_not1_saveexec_b32 s25, s10
; %bb.403:                              ;   in Loop: Header=BB2_388 Depth=2
	v_and_b32_e32 v11, 0xffff, v15
	v_or_b32_e32 v112, 0x10000, v15
	s_delay_alu instid0(VALU_DEP_2) | instskip(NEXT) | instid1(VALU_DEP_1)
	v_cmp_eq_u32_e64 s10, 0, v11
	v_cndmask_b32_e64 v11, v112, v15, s10
; %bb.404:                              ;   in Loop: Header=BB2_388 Depth=2
	s_or_b32 exec_lo, exec_lo, s25
	v_lshlrev_b32_e32 v15, 16, v16
	s_delay_alu instid0(VALU_DEP_1) | instskip(NEXT) | instid1(VALU_DEP_1)
	v_dual_max_num_f32 v15, v15, v15 :: v_dual_lshlrev_b32 v112, 16, v12
	v_max_num_f32_e32 v112, v112, v112
	s_delay_alu instid0(VALU_DEP_1) | instskip(NEXT) | instid1(VALU_DEP_1)
	v_dual_min_num_f32 v113, v112, v15 :: v_dual_max_num_f32 v15, v112, v15
	v_cndmask_b32_e64 v112, v15, v113, s7
	s_delay_alu instid0(VALU_DEP_1) | instskip(NEXT) | instid1(VALU_DEP_1)
	v_and_b32_e32 v15, 0x7f800000, v112
	v_cmp_ne_u32_e64 s10, 0x7f800000, v15
                                        ; implicit-def: $vgpr15
	s_and_saveexec_b32 s25, s10
	s_delay_alu instid0(SALU_CYCLE_1)
	s_xor_b32 s10, exec_lo, s25
; %bb.405:                              ;   in Loop: Header=BB2_388 Depth=2
	v_bfe_u32 v15, v112, 16, 1
	s_delay_alu instid0(VALU_DEP_1)
	v_add3_u32 v15, v112, v15, 0x7fff
                                        ; implicit-def: $vgpr112
; %bb.406:                              ;   in Loop: Header=BB2_388 Depth=2
	s_and_not1_saveexec_b32 s25, s10
; %bb.407:                              ;   in Loop: Header=BB2_388 Depth=2
	v_and_b32_e32 v15, 0xffff, v112
	v_or_b32_e32 v113, 0x10000, v112
	s_delay_alu instid0(VALU_DEP_2) | instskip(NEXT) | instid1(VALU_DEP_1)
	v_cmp_eq_u32_e64 s10, 0, v15
	v_cndmask_b32_e64 v15, v113, v112, s10
; %bb.408:                              ;   in Loop: Header=BB2_388 Depth=2
	s_or_b32 exec_lo, exec_lo, s25
	v_and_b32_e32 v16, 0xffff0000, v16
	v_and_b32_e32 v12, 0xffff0000, v12
	s_delay_alu instid0(VALU_DEP_2) | instskip(NEXT) | instid1(VALU_DEP_2)
	v_max_num_f32_e32 v16, v16, v16
	v_max_num_f32_e32 v12, v12, v12
	s_delay_alu instid0(VALU_DEP_1) | instskip(NEXT) | instid1(VALU_DEP_1)
	v_dual_min_num_f32 v112, v12, v16 :: v_dual_max_num_f32 v12, v12, v16
	v_cndmask_b32_e64 v16, v12, v112, s7
	s_delay_alu instid0(VALU_DEP_1) | instskip(NEXT) | instid1(VALU_DEP_1)
	v_and_b32_e32 v12, 0x7f800000, v16
	v_cmp_ne_u32_e64 s10, 0x7f800000, v12
                                        ; implicit-def: $vgpr12
	s_and_saveexec_b32 s25, s10
	s_delay_alu instid0(SALU_CYCLE_1)
	s_xor_b32 s10, exec_lo, s25
; %bb.409:                              ;   in Loop: Header=BB2_388 Depth=2
	v_bfe_u32 v12, v16, 16, 1
	s_delay_alu instid0(VALU_DEP_1)
	v_add3_u32 v12, v16, v12, 0x7fff
                                        ; implicit-def: $vgpr16
; %bb.410:                              ;   in Loop: Header=BB2_388 Depth=2
	s_and_not1_saveexec_b32 s25, s10
; %bb.411:                              ;   in Loop: Header=BB2_388 Depth=2
	v_and_b32_e32 v12, 0xffff, v16
	v_or_b32_e32 v112, 0x10000, v16
	s_delay_alu instid0(VALU_DEP_2) | instskip(NEXT) | instid1(VALU_DEP_1)
	v_cmp_eq_u32_e64 s10, 0, v12
	v_cndmask_b32_e64 v12, v112, v16, s10
; %bb.412:                              ;   in Loop: Header=BB2_388 Depth=2
	s_or_b32 exec_lo, exec_lo, s25
	v_lshlrev_b32_e32 v112, 16, v13
	s_delay_alu instid0(VALU_DEP_1) | instskip(NEXT) | instid1(VALU_DEP_1)
	v_dual_lshlrev_b32 v16, 16, v17 :: v_dual_max_num_f32 v112, v112, v112
	v_max_num_f32_e32 v16, v16, v16
	s_delay_alu instid0(VALU_DEP_1) | instskip(NEXT) | instid1(VALU_DEP_1)
	v_dual_min_num_f32 v113, v112, v16 :: v_dual_max_num_f32 v16, v112, v16
	v_cndmask_b32_e64 v112, v16, v113, s7
	s_delay_alu instid0(VALU_DEP_1) | instskip(NEXT) | instid1(VALU_DEP_1)
	v_and_b32_e32 v16, 0x7f800000, v112
	v_cmp_ne_u32_e64 s10, 0x7f800000, v16
                                        ; implicit-def: $vgpr16
	s_and_saveexec_b32 s25, s10
	s_delay_alu instid0(SALU_CYCLE_1)
	s_xor_b32 s10, exec_lo, s25
; %bb.413:                              ;   in Loop: Header=BB2_388 Depth=2
	v_bfe_u32 v16, v112, 16, 1
	s_delay_alu instid0(VALU_DEP_1)
	v_add3_u32 v16, v112, v16, 0x7fff
                                        ; implicit-def: $vgpr112
; %bb.414:                              ;   in Loop: Header=BB2_388 Depth=2
	s_and_not1_saveexec_b32 s25, s10
; %bb.415:                              ;   in Loop: Header=BB2_388 Depth=2
	v_and_b32_e32 v16, 0xffff, v112
	v_or_b32_e32 v113, 0x10000, v112
	s_delay_alu instid0(VALU_DEP_2) | instskip(NEXT) | instid1(VALU_DEP_1)
	v_cmp_eq_u32_e64 s10, 0, v16
	v_cndmask_b32_e64 v16, v113, v112, s10
; %bb.416:                              ;   in Loop: Header=BB2_388 Depth=2
	s_or_b32 exec_lo, exec_lo, s25
	v_and_b32_e32 v17, 0xffff0000, v17
	v_and_b32_e32 v13, 0xffff0000, v13
	s_delay_alu instid0(VALU_DEP_2) | instskip(NEXT) | instid1(VALU_DEP_2)
	v_max_num_f32_e32 v17, v17, v17
	v_max_num_f32_e32 v13, v13, v13
	s_delay_alu instid0(VALU_DEP_1) | instskip(NEXT) | instid1(VALU_DEP_1)
	v_dual_min_num_f32 v112, v13, v17 :: v_dual_max_num_f32 v13, v13, v17
	v_cndmask_b32_e64 v17, v13, v112, s7
	s_delay_alu instid0(VALU_DEP_1) | instskip(NEXT) | instid1(VALU_DEP_1)
	v_and_b32_e32 v13, 0x7f800000, v17
	v_cmp_ne_u32_e64 s10, 0x7f800000, v13
                                        ; implicit-def: $vgpr13
	s_and_saveexec_b32 s25, s10
	s_delay_alu instid0(SALU_CYCLE_1)
	s_xor_b32 s10, exec_lo, s25
; %bb.417:                              ;   in Loop: Header=BB2_388 Depth=2
	v_bfe_u32 v13, v17, 16, 1
	s_delay_alu instid0(VALU_DEP_1)
	v_add3_u32 v13, v17, v13, 0x7fff
                                        ; implicit-def: $vgpr17
; %bb.418:                              ;   in Loop: Header=BB2_388 Depth=2
	s_and_not1_saveexec_b32 s25, s10
	s_cbranch_execz .LBB2_387
; %bb.419:                              ;   in Loop: Header=BB2_388 Depth=2
	v_and_b32_e32 v13, 0xffff, v17
	v_or_b32_e32 v112, 0x10000, v17
	s_delay_alu instid0(VALU_DEP_2) | instskip(NEXT) | instid1(VALU_DEP_1)
	v_cmp_eq_u32_e64 s10, 0, v13
	v_cndmask_b32_e64 v13, v112, v17, s10
	s_branch .LBB2_387
.LBB2_420:                              ;   in Loop: Header=BB2_313 Depth=1
	s_or_b32 exec_lo, exec_lo, s24
.LBB2_421:                              ;   in Loop: Header=BB2_313 Depth=1
	s_delay_alu instid0(SALU_CYCLE_1) | instskip(SKIP_3) | instid1(VALU_DEP_1)
	s_or_b32 exec_lo, exec_lo, s23
	v_dual_mov_b32 v16, 0 :: v_dual_bitop2_b32 v10, 14, v98 bitop3:0x40
	s_mov_b32 s24, 0
	s_mov_b32 s23, exec_lo
                                        ; implicit-def: $vgpr98
                                        ; implicit-def: $vgpr17
	v_cndmask_b32_e32 v100, v101, v10, vcc_lo
	s_delay_alu instid0(VALU_DEP_1)
	v_cmpx_ne_u32_e32 0, v100
	s_cbranch_execz .LBB2_459
; %bb.422:                              ;   in Loop: Header=BB2_313 Depth=1
	v_cmp_lt_i32_e64 s7, 0, v102
	s_mov_b32 s24, exec_lo
	v_dual_ashrrev_i32 v13, 31, v100 :: v_dual_cndmask_b32 v11, 0, v38, s7
	s_delay_alu instid0(VALU_DEP_1) | instskip(NEXT) | instid1(VALU_DEP_1)
	v_dual_lshrrev_b32 v13, 23, v13 :: v_dual_sub_nc_u32 v11, v11, v102
	v_add_nc_u32_e32 v13, v100, v13
	s_delay_alu instid0(VALU_DEP_2) | instskip(NEXT) | instid1(VALU_DEP_2)
	v_lshl_or_b32 v11, v11, 5, v86
	v_and_b32_e32 v103, 0xfffffe00, v13
	s_delay_alu instid0(VALU_DEP_2) | instskip(NEXT) | instid1(VALU_DEP_1)
	v_dual_ashrrev_i32 v13, 9, v13 :: v_dual_ashrrev_i32 v12, 31, v11
	v_dual_sub_nc_u32 v98, v100, v103 :: v_dual_lshrrev_b32 v12, 27, v12
	s_delay_alu instid0(VALU_DEP_1) | instskip(NEXT) | instid1(VALU_DEP_1)
	v_add_nc_u32_e32 v12, v11, v12
	v_and_b32_e32 v14, 0xffffffe0, v12
	s_delay_alu instid0(VALU_DEP_1) | instskip(SKIP_1) | instid1(VALU_DEP_2)
	v_dual_sub_nc_u32 v102, v11, v14 :: v_dual_ashrrev_i32 v11, 5, v12
	v_sub_nc_u32_e32 v14, v101, v10
	v_lshlrev_b32_e32 v12, 4, v102
	s_delay_alu instid0(VALU_DEP_1) | instskip(NEXT) | instid1(VALU_DEP_3)
	v_lshl_add_u32 v10, v11, 9, v12
	v_cndmask_b32_e32 v12, 0, v14, vcc_lo
	v_cmp_lt_i32_e32 vcc_lo, 15, v98
	s_delay_alu instid0(VALU_DEP_3) | instskip(SKIP_1) | instid1(VALU_DEP_1)
	v_sub_nc_u32_e32 v112, v100, v10
	v_add_co_ci_u32_e64 v13, null, 0, v13, vcc_lo
	v_sub_nc_u32_e32 v101, v13, v11
	v_add_nc_u32_e32 v99, v12, v99
	s_delay_alu instid0(VALU_DEP_4)
	v_cmpx_lt_i32_e32 15, v112
	s_cbranch_execz .LBB2_458
; %bb.423:                              ;   in Loop: Header=BB2_313 Depth=1
	s_trap 2
	ds_load_b64 v[12:13], v0
	v_add_nc_u32_e32 v10, v10, v99
	s_bitcmp0_b64 s[12:13], 0
	s_mov_b32 s25, 0
	s_cselect_b32 s7, -1, 0
	s_delay_alu instid0(VALU_DEP_1) | instskip(NEXT) | instid1(VALU_DEP_1)
	v_ashrrev_i32_e32 v11, 31, v10
	v_add_nc_u64_e32 v[80:81], v[10:11], v[68:69]
	v_add_nc_u64_e32 v[84:85], v[10:11], v[70:71]
	s_wait_dscnt 0x0
	v_add_nc_u64_e32 v[82:83], v[12:13], v[10:11]
	s_branch .LBB2_425
.LBB2_424:                              ;   in Loop: Header=BB2_425 Depth=2
	s_or_b32 exec_lo, exec_lo, s26
	v_dual_lshrrev_b32 v14, 16, v14 :: v_dual_lshrrev_b32 v17, 16, v113
	v_dual_lshrrev_b32 v15, 16, v15 :: v_dual_lshrrev_b32 v16, 16, v16
	v_sub_nc_u32_e32 v112, v112, v50
	s_delay_alu instid0(VALU_DEP_3) | instskip(NEXT) | instid1(VALU_DEP_4)
	v_and_or_b32 v11, 0xffff0000, v11, v14
	v_and_or_b32 v10, 0xffff0000, v10, v17
	s_delay_alu instid0(VALU_DEP_4)
	v_and_or_b32 v12, 0xffff0000, v12, v15
	v_and_or_b32 v13, 0xffff0000, v13, v16
	v_add_nc_u64_e32 v[80:81], v[80:81], v[50:51]
	v_add_nc_u64_e32 v[82:83], v[82:83], v[50:51]
	v_cmp_gt_i32_e64 s10, 16, v112
	v_sub_nc_u32_e32 v101, v101, v38
	global_store_b128 v[84:85], v[10:13], off th:TH_STORE_NT
	s_wait_xcnt 0x0
	v_add_nc_u64_e32 v[84:85], v[84:85], v[50:51]
	s_or_b32 s25, s10, s25
	s_delay_alu instid0(SALU_CYCLE_1)
	s_and_not1_b32 exec_lo, exec_lo, s25
	s_cbranch_execz .LBB2_457
.LBB2_425:                              ;   Parent Loop BB2_313 Depth=1
                                        ; =>  This Inner Loop Header: Depth=2
	global_load_b128 v[14:17], v[82:83], off th:TH_LOAD_NT
	global_load_b128 v[10:13], v[80:81], off th:TH_LOAD_NT
	s_wait_loadcnt 0x1
	v_lshlrev_b32_e32 v113, 16, v14
	s_wait_loadcnt 0x0
	s_delay_alu instid0(VALU_DEP_1) | instskip(NEXT) | instid1(VALU_DEP_1)
	v_dual_max_num_f32 v113, v113, v113 :: v_dual_lshlrev_b32 v114, 16, v10
	v_max_num_f32_e32 v114, v114, v114
	s_delay_alu instid0(VALU_DEP_1) | instskip(NEXT) | instid1(VALU_DEP_1)
	v_dual_min_num_f32 v115, v114, v113 :: v_dual_max_num_f32 v113, v114, v113
	v_cndmask_b32_e64 v114, v113, v115, s7
	s_delay_alu instid0(VALU_DEP_1) | instskip(NEXT) | instid1(VALU_DEP_1)
	v_and_b32_e32 v113, 0x7f800000, v114
	v_cmp_ne_u32_e64 s10, 0x7f800000, v113
                                        ; implicit-def: $vgpr113
	s_wait_xcnt 0x0
	s_and_saveexec_b32 s26, s10
	s_delay_alu instid0(SALU_CYCLE_1)
	s_xor_b32 s10, exec_lo, s26
; %bb.426:                              ;   in Loop: Header=BB2_425 Depth=2
	v_bfe_u32 v113, v114, 16, 1
	s_delay_alu instid0(VALU_DEP_1)
	v_add3_u32 v113, v114, v113, 0x7fff
                                        ; implicit-def: $vgpr114
; %bb.427:                              ;   in Loop: Header=BB2_425 Depth=2
	s_and_not1_saveexec_b32 s26, s10
; %bb.428:                              ;   in Loop: Header=BB2_425 Depth=2
	v_and_b32_e32 v113, 0xffff, v114
	v_or_b32_e32 v115, 0x10000, v114
	s_delay_alu instid0(VALU_DEP_2) | instskip(NEXT) | instid1(VALU_DEP_1)
	v_cmp_eq_u32_e64 s10, 0, v113
	v_cndmask_b32_e64 v113, v115, v114, s10
; %bb.429:                              ;   in Loop: Header=BB2_425 Depth=2
	s_or_b32 exec_lo, exec_lo, s26
	v_and_b32_e32 v14, 0xffff0000, v14
	v_and_b32_e32 v10, 0xffff0000, v10
	s_delay_alu instid0(VALU_DEP_2) | instskip(NEXT) | instid1(VALU_DEP_2)
	v_max_num_f32_e32 v14, v14, v14
	v_max_num_f32_e32 v10, v10, v10
	s_delay_alu instid0(VALU_DEP_1) | instskip(NEXT) | instid1(VALU_DEP_1)
	v_dual_min_num_f32 v114, v10, v14 :: v_dual_max_num_f32 v10, v10, v14
	v_cndmask_b32_e64 v14, v10, v114, s7
	s_delay_alu instid0(VALU_DEP_1) | instskip(NEXT) | instid1(VALU_DEP_1)
	v_and_b32_e32 v10, 0x7f800000, v14
	v_cmp_ne_u32_e64 s10, 0x7f800000, v10
                                        ; implicit-def: $vgpr10
	s_and_saveexec_b32 s26, s10
	s_delay_alu instid0(SALU_CYCLE_1)
	s_xor_b32 s10, exec_lo, s26
; %bb.430:                              ;   in Loop: Header=BB2_425 Depth=2
	v_bfe_u32 v10, v14, 16, 1
	s_delay_alu instid0(VALU_DEP_1)
	v_add3_u32 v10, v14, v10, 0x7fff
                                        ; implicit-def: $vgpr14
; %bb.431:                              ;   in Loop: Header=BB2_425 Depth=2
	s_and_not1_saveexec_b32 s26, s10
; %bb.432:                              ;   in Loop: Header=BB2_425 Depth=2
	v_and_b32_e32 v10, 0xffff, v14
	v_or_b32_e32 v114, 0x10000, v14
	s_delay_alu instid0(VALU_DEP_2) | instskip(NEXT) | instid1(VALU_DEP_1)
	v_cmp_eq_u32_e64 s10, 0, v10
	v_cndmask_b32_e64 v10, v114, v14, s10
; %bb.433:                              ;   in Loop: Header=BB2_425 Depth=2
	s_or_b32 exec_lo, exec_lo, s26
	v_lshlrev_b32_e32 v114, 16, v11
	s_delay_alu instid0(VALU_DEP_1) | instskip(NEXT) | instid1(VALU_DEP_1)
	v_dual_lshlrev_b32 v14, 16, v15 :: v_dual_max_num_f32 v114, v114, v114
	v_max_num_f32_e32 v14, v14, v14
	s_delay_alu instid0(VALU_DEP_1) | instskip(NEXT) | instid1(VALU_DEP_1)
	v_dual_min_num_f32 v115, v114, v14 :: v_dual_max_num_f32 v14, v114, v14
	v_cndmask_b32_e64 v114, v14, v115, s7
	s_delay_alu instid0(VALU_DEP_1) | instskip(NEXT) | instid1(VALU_DEP_1)
	v_and_b32_e32 v14, 0x7f800000, v114
	v_cmp_ne_u32_e64 s10, 0x7f800000, v14
                                        ; implicit-def: $vgpr14
	s_and_saveexec_b32 s26, s10
	s_delay_alu instid0(SALU_CYCLE_1)
	s_xor_b32 s10, exec_lo, s26
; %bb.434:                              ;   in Loop: Header=BB2_425 Depth=2
	v_bfe_u32 v14, v114, 16, 1
	s_delay_alu instid0(VALU_DEP_1)
	v_add3_u32 v14, v114, v14, 0x7fff
                                        ; implicit-def: $vgpr114
; %bb.435:                              ;   in Loop: Header=BB2_425 Depth=2
	s_and_not1_saveexec_b32 s26, s10
; %bb.436:                              ;   in Loop: Header=BB2_425 Depth=2
	v_and_b32_e32 v14, 0xffff, v114
	v_or_b32_e32 v115, 0x10000, v114
	s_delay_alu instid0(VALU_DEP_2) | instskip(NEXT) | instid1(VALU_DEP_1)
	v_cmp_eq_u32_e64 s10, 0, v14
	v_cndmask_b32_e64 v14, v115, v114, s10
; %bb.437:                              ;   in Loop: Header=BB2_425 Depth=2
	s_or_b32 exec_lo, exec_lo, s26
	v_and_b32_e32 v15, 0xffff0000, v15
	v_and_b32_e32 v11, 0xffff0000, v11
	s_delay_alu instid0(VALU_DEP_2) | instskip(NEXT) | instid1(VALU_DEP_2)
	v_max_num_f32_e32 v15, v15, v15
	v_max_num_f32_e32 v11, v11, v11
	s_delay_alu instid0(VALU_DEP_1) | instskip(NEXT) | instid1(VALU_DEP_1)
	v_dual_min_num_f32 v114, v11, v15 :: v_dual_max_num_f32 v11, v11, v15
	v_cndmask_b32_e64 v15, v11, v114, s7
	s_delay_alu instid0(VALU_DEP_1) | instskip(NEXT) | instid1(VALU_DEP_1)
	v_and_b32_e32 v11, 0x7f800000, v15
	v_cmp_ne_u32_e64 s10, 0x7f800000, v11
                                        ; implicit-def: $vgpr11
	s_and_saveexec_b32 s26, s10
	s_delay_alu instid0(SALU_CYCLE_1)
	s_xor_b32 s10, exec_lo, s26
; %bb.438:                              ;   in Loop: Header=BB2_425 Depth=2
	v_bfe_u32 v11, v15, 16, 1
	s_delay_alu instid0(VALU_DEP_1)
	v_add3_u32 v11, v15, v11, 0x7fff
                                        ; implicit-def: $vgpr15
; %bb.439:                              ;   in Loop: Header=BB2_425 Depth=2
	s_and_not1_saveexec_b32 s26, s10
; %bb.440:                              ;   in Loop: Header=BB2_425 Depth=2
	v_and_b32_e32 v11, 0xffff, v15
	v_or_b32_e32 v114, 0x10000, v15
	s_delay_alu instid0(VALU_DEP_2) | instskip(NEXT) | instid1(VALU_DEP_1)
	v_cmp_eq_u32_e64 s10, 0, v11
	v_cndmask_b32_e64 v11, v114, v15, s10
; %bb.441:                              ;   in Loop: Header=BB2_425 Depth=2
	s_or_b32 exec_lo, exec_lo, s26
	v_lshlrev_b32_e32 v114, 16, v12
	s_delay_alu instid0(VALU_DEP_1) | instskip(NEXT) | instid1(VALU_DEP_1)
	v_dual_max_num_f32 v114, v114, v114 :: v_dual_lshlrev_b32 v15, 16, v16
	v_max_num_f32_e32 v15, v15, v15
	s_delay_alu instid0(VALU_DEP_1) | instskip(NEXT) | instid1(VALU_DEP_1)
	v_dual_min_num_f32 v115, v114, v15 :: v_dual_max_num_f32 v15, v114, v15
	v_cndmask_b32_e64 v114, v15, v115, s7
	s_delay_alu instid0(VALU_DEP_1) | instskip(NEXT) | instid1(VALU_DEP_1)
	v_and_b32_e32 v15, 0x7f800000, v114
	v_cmp_ne_u32_e64 s10, 0x7f800000, v15
                                        ; implicit-def: $vgpr15
	s_and_saveexec_b32 s26, s10
	s_delay_alu instid0(SALU_CYCLE_1)
	s_xor_b32 s10, exec_lo, s26
; %bb.442:                              ;   in Loop: Header=BB2_425 Depth=2
	v_bfe_u32 v15, v114, 16, 1
	s_delay_alu instid0(VALU_DEP_1)
	v_add3_u32 v15, v114, v15, 0x7fff
                                        ; implicit-def: $vgpr114
; %bb.443:                              ;   in Loop: Header=BB2_425 Depth=2
	s_and_not1_saveexec_b32 s26, s10
; %bb.444:                              ;   in Loop: Header=BB2_425 Depth=2
	v_and_b32_e32 v15, 0xffff, v114
	v_or_b32_e32 v115, 0x10000, v114
	s_delay_alu instid0(VALU_DEP_2) | instskip(NEXT) | instid1(VALU_DEP_1)
	v_cmp_eq_u32_e64 s10, 0, v15
	v_cndmask_b32_e64 v15, v115, v114, s10
; %bb.445:                              ;   in Loop: Header=BB2_425 Depth=2
	s_or_b32 exec_lo, exec_lo, s26
	v_and_b32_e32 v16, 0xffff0000, v16
	v_and_b32_e32 v12, 0xffff0000, v12
	s_delay_alu instid0(VALU_DEP_2) | instskip(NEXT) | instid1(VALU_DEP_2)
	v_max_num_f32_e32 v16, v16, v16
	v_max_num_f32_e32 v12, v12, v12
	s_delay_alu instid0(VALU_DEP_1) | instskip(NEXT) | instid1(VALU_DEP_1)
	v_dual_min_num_f32 v114, v12, v16 :: v_dual_max_num_f32 v12, v12, v16
	v_cndmask_b32_e64 v16, v12, v114, s7
	s_delay_alu instid0(VALU_DEP_1) | instskip(NEXT) | instid1(VALU_DEP_1)
	v_and_b32_e32 v12, 0x7f800000, v16
	v_cmp_ne_u32_e64 s10, 0x7f800000, v12
                                        ; implicit-def: $vgpr12
	s_and_saveexec_b32 s26, s10
	s_delay_alu instid0(SALU_CYCLE_1)
	s_xor_b32 s10, exec_lo, s26
; %bb.446:                              ;   in Loop: Header=BB2_425 Depth=2
	v_bfe_u32 v12, v16, 16, 1
	s_delay_alu instid0(VALU_DEP_1)
	v_add3_u32 v12, v16, v12, 0x7fff
                                        ; implicit-def: $vgpr16
; %bb.447:                              ;   in Loop: Header=BB2_425 Depth=2
	s_and_not1_saveexec_b32 s26, s10
; %bb.448:                              ;   in Loop: Header=BB2_425 Depth=2
	v_and_b32_e32 v12, 0xffff, v16
	v_or_b32_e32 v114, 0x10000, v16
	s_delay_alu instid0(VALU_DEP_2) | instskip(NEXT) | instid1(VALU_DEP_1)
	v_cmp_eq_u32_e64 s10, 0, v12
	v_cndmask_b32_e64 v12, v114, v16, s10
; %bb.449:                              ;   in Loop: Header=BB2_425 Depth=2
	s_or_b32 exec_lo, exec_lo, s26
	v_lshlrev_b32_e32 v114, 16, v13
	s_delay_alu instid0(VALU_DEP_1) | instskip(NEXT) | instid1(VALU_DEP_1)
	v_dual_lshlrev_b32 v16, 16, v17 :: v_dual_max_num_f32 v114, v114, v114
	v_max_num_f32_e32 v16, v16, v16
	s_delay_alu instid0(VALU_DEP_1) | instskip(NEXT) | instid1(VALU_DEP_1)
	v_dual_min_num_f32 v115, v114, v16 :: v_dual_max_num_f32 v16, v114, v16
	v_cndmask_b32_e64 v114, v16, v115, s7
	s_delay_alu instid0(VALU_DEP_1) | instskip(NEXT) | instid1(VALU_DEP_1)
	v_and_b32_e32 v16, 0x7f800000, v114
	v_cmp_ne_u32_e64 s10, 0x7f800000, v16
                                        ; implicit-def: $vgpr16
	s_and_saveexec_b32 s26, s10
	s_delay_alu instid0(SALU_CYCLE_1)
	s_xor_b32 s10, exec_lo, s26
; %bb.450:                              ;   in Loop: Header=BB2_425 Depth=2
	v_bfe_u32 v16, v114, 16, 1
	s_delay_alu instid0(VALU_DEP_1)
	v_add3_u32 v16, v114, v16, 0x7fff
                                        ; implicit-def: $vgpr114
; %bb.451:                              ;   in Loop: Header=BB2_425 Depth=2
	s_and_not1_saveexec_b32 s26, s10
; %bb.452:                              ;   in Loop: Header=BB2_425 Depth=2
	v_and_b32_e32 v16, 0xffff, v114
	v_or_b32_e32 v115, 0x10000, v114
	s_delay_alu instid0(VALU_DEP_2) | instskip(NEXT) | instid1(VALU_DEP_1)
	v_cmp_eq_u32_e64 s10, 0, v16
	v_cndmask_b32_e64 v16, v115, v114, s10
; %bb.453:                              ;   in Loop: Header=BB2_425 Depth=2
	s_or_b32 exec_lo, exec_lo, s26
	v_and_b32_e32 v17, 0xffff0000, v17
	v_and_b32_e32 v13, 0xffff0000, v13
	s_delay_alu instid0(VALU_DEP_2) | instskip(NEXT) | instid1(VALU_DEP_2)
	v_max_num_f32_e32 v17, v17, v17
	v_max_num_f32_e32 v13, v13, v13
	s_delay_alu instid0(VALU_DEP_1) | instskip(NEXT) | instid1(VALU_DEP_1)
	v_dual_min_num_f32 v114, v13, v17 :: v_dual_max_num_f32 v13, v13, v17
	v_cndmask_b32_e64 v17, v13, v114, s7
	s_delay_alu instid0(VALU_DEP_1) | instskip(NEXT) | instid1(VALU_DEP_1)
	v_and_b32_e32 v13, 0x7f800000, v17
	v_cmp_ne_u32_e64 s10, 0x7f800000, v13
                                        ; implicit-def: $vgpr13
	s_and_saveexec_b32 s26, s10
	s_delay_alu instid0(SALU_CYCLE_1)
	s_xor_b32 s10, exec_lo, s26
; %bb.454:                              ;   in Loop: Header=BB2_425 Depth=2
	v_bfe_u32 v13, v17, 16, 1
	s_delay_alu instid0(VALU_DEP_1)
	v_add3_u32 v13, v17, v13, 0x7fff
                                        ; implicit-def: $vgpr17
; %bb.455:                              ;   in Loop: Header=BB2_425 Depth=2
	s_and_not1_saveexec_b32 s26, s10
	s_cbranch_execz .LBB2_424
; %bb.456:                              ;   in Loop: Header=BB2_425 Depth=2
	v_and_b32_e32 v13, 0xffff, v17
	v_or_b32_e32 v114, 0x10000, v17
	s_delay_alu instid0(VALU_DEP_2) | instskip(NEXT) | instid1(VALU_DEP_1)
	v_cmp_eq_u32_e64 s10, 0, v13
	v_cndmask_b32_e64 v13, v114, v17, s10
	s_branch .LBB2_424
.LBB2_457:                              ;   in Loop: Header=BB2_313 Depth=1
	s_or_b32 exec_lo, exec_lo, s25
.LBB2_458:                              ;   in Loop: Header=BB2_313 Depth=1
	s_delay_alu instid0(SALU_CYCLE_1) | instskip(SKIP_1) | instid1(VALU_DEP_1)
	s_or_b32 exec_lo, exec_lo, s24
	v_cmp_lt_i32_e64 s7, 0, v101
	v_dual_cndmask_b32 v12, 0, v38, s7 :: v_dual_bitop2_b32 v10, 14, v100 bitop3:0x40
	s_delay_alu instid0(VALU_DEP_1) | instskip(NEXT) | instid1(VALU_DEP_1)
	v_dual_cndmask_b32 v98, v98, v10 :: v_dual_sub_nc_u32 v11, v98, v10
	v_dual_cndmask_b32 v10, 0, v11 :: v_dual_sub_nc_u32 v11, v12, v101
	s_delay_alu instid0(VALU_DEP_2) | instskip(NEXT) | instid1(VALU_DEP_2)
	v_cmp_ne_u32_e32 vcc_lo, 0, v98
	v_add3_u32 v16, v103, v99, v10
	s_delay_alu instid0(VALU_DEP_3)
	v_lshl_add_u32 v17, v11, 5, v102
	s_and_b32 s24, vcc_lo, exec_lo
.LBB2_459:                              ;   in Loop: Header=BB2_313 Depth=1
	s_or_b32 exec_lo, exec_lo, s23
	s_and_saveexec_b32 s10, s24
	s_cbranch_execz .LBB2_488
.LBB2_460:                              ;   in Loop: Header=BB2_313 Depth=1
	s_delay_alu instid0(VALU_DEP_1) | instskip(SKIP_1) | instid1(VALU_DEP_1)
	v_dual_ashrrev_i32 v10, 31, v17 :: v_dual_ashrrev_i32 v11, 31, v98
	s_mov_b32 s23, exec_lo
	v_dual_lshrrev_b32 v10, 27, v10 :: v_dual_lshrrev_b32 v11, 24, v11
	s_delay_alu instid0(VALU_DEP_1) | instskip(NEXT) | instid1(VALU_DEP_1)
	v_dual_add_nc_u32 v10, v17, v10 :: v_dual_add_nc_u32 v11, v98, v11
	v_dual_ashrrev_i32 v80, 5, v10 :: v_dual_ashrrev_i32 v82, 8, v11
	s_delay_alu instid0(VALU_DEP_1) | instskip(NEXT) | instid1(VALU_DEP_1)
	v_sub_nc_u32_e32 v81, v82, v80
	v_cmpx_lt_i32_e32 0, v81
	s_cbranch_execz .LBB2_480
; %bb.461:                              ;   in Loop: Header=BB2_313 Depth=1
	v_and_b32_e32 v10, 0x7fffffe0, v10
	s_trap 2
	ds_load_b64 v[12:13], v0
	s_bitcmp0_b64 s[12:13], 0
	s_mov_b32 s24, 0
	v_dual_sub_nc_u32 v10, v17, v10 :: v_dual_lshlrev_b32 v11, 8, v80
	s_cselect_b32 vcc_lo, -1, 0
	s_delay_alu instid0(VALU_DEP_1) | instskip(NEXT) | instid1(VALU_DEP_1)
	v_lshlrev_b32_e32 v10, 1, v10
	v_add3_u32 v14, v10, v16, v11
	s_delay_alu instid0(VALU_DEP_1) | instskip(NEXT) | instid1(VALU_DEP_1)
	v_ashrrev_i32_e32 v15, 31, v14
	v_add_nc_u64_e32 v[10:11], v[14:15], v[68:69]
	s_wait_dscnt 0x0
	v_add_nc_u64_e32 v[12:13], v[12:13], v[14:15]
	v_add_nc_u64_e32 v[14:15], v[14:15], v[70:71]
	s_branch .LBB2_463
.LBB2_462:                              ;   in Loop: Header=BB2_463 Depth=2
	s_or_b32 exec_lo, exec_lo, s25
	v_sub_nc_u32_e32 v81, v81, v38
	s_clause 0x3
	flat_store_d16_hi_b16 v[14:15], v83 th:TH_STORE_NT
	flat_store_d16_hi_b16 v[14:15], v99 offset:64 th:TH_STORE_NT
	flat_store_d16_hi_b16 v[14:15], v100 offset:128 th:TH_STORE_NT
	;; [unrolled: 1-line block ×3, first 2 shown]
	v_add_nc_u64_e32 v[10:11], v[10:11], v[52:53]
	v_add_nc_u64_e32 v[12:13], v[12:13], v[52:53]
	s_wait_xcnt 0x0
	v_add_nc_u64_e32 v[14:15], v[14:15], v[52:53]
	v_cmp_gt_i32_e64 s7, 1, v81
	s_or_b32 s24, s7, s24
	s_delay_alu instid0(SALU_CYCLE_1)
	s_and_not1_b32 exec_lo, exec_lo, s24
	s_cbranch_execz .LBB2_479
.LBB2_463:                              ;   Parent Loop BB2_313 Depth=1
                                        ; =>  This Inner Loop Header: Depth=2
	s_clause 0x2
	flat_load_u16 v100, v[12:13] offset:128 th:TH_LOAD_NT
	flat_load_u16 v84, v[12:13] offset:192 th:TH_LOAD_NT
	flat_load_u16 v83, v[12:13] th:TH_LOAD_NT
	s_clause 0x3
	flat_load_u16 v101, v[10:11] offset:128 th:TH_LOAD_NT
	flat_load_u16 v85, v[10:11] offset:192 th:TH_LOAD_NT
	flat_load_u16 v103, v[10:11] th:TH_LOAD_NT
	flat_load_u16 v99, v[10:11] offset:64 th:TH_LOAD_NT
	flat_load_u16 v102, v[12:13] offset:64 th:TH_LOAD_NT
	s_wait_loadcnt_dscnt 0x505
	v_lshlrev_b32_e32 v83, 16, v83
	s_wait_loadcnt_dscnt 0x202
	v_lshlrev_b32_e32 v103, 16, v103
	s_delay_alu instid0(VALU_DEP_2) | instskip(NEXT) | instid1(VALU_DEP_2)
	v_max_num_f32_e32 v83, v83, v83
	v_max_num_f32_e32 v103, v103, v103
	s_delay_alu instid0(VALU_DEP_1) | instskip(NEXT) | instid1(VALU_DEP_1)
	v_dual_min_num_f32 v112, v103, v83 :: v_dual_max_num_f32 v83, v103, v83
	v_cndmask_b32_e32 v103, v83, v112, vcc_lo
	s_delay_alu instid0(VALU_DEP_1) | instskip(NEXT) | instid1(VALU_DEP_1)
	v_and_b32_e32 v83, 0x7f800000, v103
	v_cmp_ne_u32_e64 s7, 0x7f800000, v83
                                        ; implicit-def: $vgpr83
	s_wait_xcnt 0x0
	s_and_saveexec_b32 s25, s7
	s_delay_alu instid0(SALU_CYCLE_1)
	s_xor_b32 s7, exec_lo, s25
; %bb.464:                              ;   in Loop: Header=BB2_463 Depth=2
	v_bfe_u32 v83, v103, 16, 1
	s_delay_alu instid0(VALU_DEP_1)
	v_add3_u32 v83, v103, v83, 0x7fff
                                        ; implicit-def: $vgpr103
; %bb.465:                              ;   in Loop: Header=BB2_463 Depth=2
	s_and_not1_saveexec_b32 s25, s7
; %bb.466:                              ;   in Loop: Header=BB2_463 Depth=2
	v_and_b32_e32 v83, 0xffff, v103
	v_or_b32_e32 v112, 0x10000, v103
	s_delay_alu instid0(VALU_DEP_2) | instskip(NEXT) | instid1(VALU_DEP_1)
	v_cmp_eq_u32_e64 s7, 0, v83
	v_cndmask_b32_e64 v83, v112, v103, s7
; %bb.467:                              ;   in Loop: Header=BB2_463 Depth=2
	s_or_b32 exec_lo, exec_lo, s25
	s_wait_loadcnt_dscnt 0x0
	v_dual_lshlrev_b32 v102, 16, v102 :: v_dual_lshlrev_b32 v99, 16, v99
	s_delay_alu instid0(VALU_DEP_1) | instskip(NEXT) | instid1(VALU_DEP_1)
	v_dual_max_num_f32 v102, v102, v102 :: v_dual_max_num_f32 v99, v99, v99
	v_dual_min_num_f32 v103, v99, v102 :: v_dual_max_num_f32 v99, v99, v102
	s_delay_alu instid0(VALU_DEP_1) | instskip(NEXT) | instid1(VALU_DEP_1)
	v_cndmask_b32_e32 v102, v99, v103, vcc_lo
	v_and_b32_e32 v99, 0x7f800000, v102
	s_delay_alu instid0(VALU_DEP_1) | instskip(SKIP_1) | instid1(SALU_CYCLE_1)
	v_cmp_ne_u32_e64 s7, 0x7f800000, v99
                                        ; implicit-def: $vgpr99
	s_and_saveexec_b32 s25, s7
	s_xor_b32 s7, exec_lo, s25
; %bb.468:                              ;   in Loop: Header=BB2_463 Depth=2
	v_bfe_u32 v99, v102, 16, 1
	s_delay_alu instid0(VALU_DEP_1)
	v_add3_u32 v99, v102, v99, 0x7fff
                                        ; implicit-def: $vgpr102
; %bb.469:                              ;   in Loop: Header=BB2_463 Depth=2
	s_and_not1_saveexec_b32 s25, s7
; %bb.470:                              ;   in Loop: Header=BB2_463 Depth=2
	v_and_b32_e32 v99, 0xffff, v102
	v_or_b32_e32 v103, 0x10000, v102
	s_delay_alu instid0(VALU_DEP_2) | instskip(NEXT) | instid1(VALU_DEP_1)
	v_cmp_eq_u32_e64 s7, 0, v99
	v_cndmask_b32_e64 v99, v103, v102, s7
; %bb.471:                              ;   in Loop: Header=BB2_463 Depth=2
	s_or_b32 exec_lo, exec_lo, s25
	v_dual_lshlrev_b32 v100, 16, v100 :: v_dual_lshlrev_b32 v101, 16, v101
	s_delay_alu instid0(VALU_DEP_1) | instskip(NEXT) | instid1(VALU_DEP_1)
	v_dual_max_num_f32 v100, v100, v100 :: v_dual_max_num_f32 v101, v101, v101
	v_dual_min_num_f32 v102, v101, v100 :: v_dual_max_num_f32 v100, v101, v100
	s_delay_alu instid0(VALU_DEP_1) | instskip(NEXT) | instid1(VALU_DEP_1)
	v_cndmask_b32_e32 v101, v100, v102, vcc_lo
	v_and_b32_e32 v100, 0x7f800000, v101
	s_delay_alu instid0(VALU_DEP_1) | instskip(SKIP_1) | instid1(SALU_CYCLE_1)
	v_cmp_ne_u32_e64 s7, 0x7f800000, v100
                                        ; implicit-def: $vgpr100
	s_and_saveexec_b32 s25, s7
	s_xor_b32 s7, exec_lo, s25
; %bb.472:                              ;   in Loop: Header=BB2_463 Depth=2
	v_bfe_u32 v100, v101, 16, 1
	s_delay_alu instid0(VALU_DEP_1)
	v_add3_u32 v100, v101, v100, 0x7fff
                                        ; implicit-def: $vgpr101
; %bb.473:                              ;   in Loop: Header=BB2_463 Depth=2
	s_and_not1_saveexec_b32 s25, s7
; %bb.474:                              ;   in Loop: Header=BB2_463 Depth=2
	v_and_b32_e32 v100, 0xffff, v101
	v_or_b32_e32 v102, 0x10000, v101
	s_delay_alu instid0(VALU_DEP_2) | instskip(NEXT) | instid1(VALU_DEP_1)
	v_cmp_eq_u32_e64 s7, 0, v100
	v_cndmask_b32_e64 v100, v102, v101, s7
; %bb.475:                              ;   in Loop: Header=BB2_463 Depth=2
	s_or_b32 exec_lo, exec_lo, s25
	v_dual_lshlrev_b32 v84, 16, v84 :: v_dual_lshlrev_b32 v85, 16, v85
	s_delay_alu instid0(VALU_DEP_1) | instskip(NEXT) | instid1(VALU_DEP_1)
	v_dual_max_num_f32 v84, v84, v84 :: v_dual_max_num_f32 v85, v85, v85
	v_dual_min_num_f32 v101, v85, v84 :: v_dual_max_num_f32 v84, v85, v84
	s_delay_alu instid0(VALU_DEP_1) | instskip(NEXT) | instid1(VALU_DEP_1)
	v_cndmask_b32_e32 v85, v84, v101, vcc_lo
	v_and_b32_e32 v84, 0x7f800000, v85
	s_delay_alu instid0(VALU_DEP_1) | instskip(SKIP_1) | instid1(SALU_CYCLE_1)
	v_cmp_ne_u32_e64 s7, 0x7f800000, v84
                                        ; implicit-def: $vgpr84
	s_and_saveexec_b32 s25, s7
	s_xor_b32 s7, exec_lo, s25
; %bb.476:                              ;   in Loop: Header=BB2_463 Depth=2
	v_bfe_u32 v84, v85, 16, 1
	s_delay_alu instid0(VALU_DEP_1)
	v_add3_u32 v84, v85, v84, 0x7fff
                                        ; implicit-def: $vgpr85
; %bb.477:                              ;   in Loop: Header=BB2_463 Depth=2
	s_and_not1_saveexec_b32 s25, s7
	s_cbranch_execz .LBB2_462
; %bb.478:                              ;   in Loop: Header=BB2_463 Depth=2
	v_and_b32_e32 v84, 0xffff, v85
	v_or_b32_e32 v101, 0x10000, v85
	s_delay_alu instid0(VALU_DEP_2) | instskip(NEXT) | instid1(VALU_DEP_1)
	v_cmp_eq_u32_e64 s7, 0, v84
	v_cndmask_b32_e64 v84, v101, v85, s7
	s_branch .LBB2_462
.LBB2_479:                              ;   in Loop: Header=BB2_313 Depth=1
	s_or_b32 exec_lo, exec_lo, s24
.LBB2_480:                              ;   in Loop: Header=BB2_313 Depth=1
	s_delay_alu instid0(SALU_CYCLE_1) | instskip(SKIP_1) | instid1(VALU_DEP_1)
	s_or_b32 exec_lo, exec_lo, s23
	v_lshlrev_b32_e32 v10, 8, v82
	v_cmp_ne_u32_e32 vcc_lo, v98, v10
	s_and_b32 exec_lo, exec_lo, vcc_lo
	s_cbranch_execz .LBB2_488
; %bb.481:                              ;   in Loop: Header=BB2_313 Depth=1
	v_dual_lshlrev_b32 v11, 5, v80 :: v_dual_lshlrev_b32 v12, 5, v81
	s_delay_alu instid0(VALU_DEP_1) | instskip(NEXT) | instid1(VALU_DEP_1)
	v_sub_nc_u32_e32 v11, v17, v11
	v_sub_nc_u32_e32 v11, v11, v12
	s_delay_alu instid0(VALU_DEP_1) | instskip(NEXT) | instid1(VALU_DEP_1)
	v_ashrrev_i32_e32 v12, 31, v11
	v_lshrrev_b32_e32 v12, 27, v12
	s_delay_alu instid0(VALU_DEP_1) | instskip(NEXT) | instid1(VALU_DEP_1)
	v_add_nc_u32_e32 v12, v11, v12
	v_and_b32_e32 v13, 0x7fffffe0, v12
	s_delay_alu instid0(VALU_DEP_1) | instskip(NEXT) | instid1(VALU_DEP_1)
	v_dual_lshlrev_b32 v12, 1, v12 :: v_dual_sub_nc_u32 v11, v11, v13
	v_and_b32_e32 v12, 0xffffffc0, v12
	s_delay_alu instid0(VALU_DEP_2) | instskip(NEXT) | instid1(VALU_DEP_1)
	v_lshlrev_b32_e32 v11, 1, v11
	v_add3_u32 v10, v12, v11, v10
	s_delay_alu instid0(VALU_DEP_1) | instskip(NEXT) | instid1(VALU_DEP_1)
	v_sub_nc_u32_e32 v17, v98, v10
	v_cmp_lt_i32_e32 vcc_lo, 1, v17
	s_and_b32 exec_lo, exec_lo, vcc_lo
	s_cbranch_execz .LBB2_488
; %bb.482:                              ;   in Loop: Header=BB2_313 Depth=1
	s_trap 2
	ds_load_b64 v[12:13], v0
	v_add_nc_u32_e32 v14, v10, v16
	s_bitcmp0_b64 s[12:13], 0
	s_mov_b32 s12, 0
	s_cselect_b32 vcc_lo, -1, 0
	s_delay_alu instid0(VALU_DEP_1) | instskip(NEXT) | instid1(VALU_DEP_1)
	v_ashrrev_i32_e32 v15, 31, v14
	v_add_nc_u64_e32 v[10:11], v[14:15], v[68:69]
	s_wait_dscnt 0x0
	v_add_nc_u64_e32 v[12:13], v[12:13], v[14:15]
	v_add_nc_u64_e32 v[14:15], v[14:15], v[70:71]
	s_branch .LBB2_484
.LBB2_483:                              ;   in Loop: Header=BB2_484 Depth=2
	s_or_b32 exec_lo, exec_lo, s13
	v_sub_nc_u32_e32 v17, v17, v54
	flat_store_d16_hi_b16 v[14:15], v16 th:TH_STORE_NT
	v_add_nc_u64_e32 v[10:11], v[10:11], v[54:55]
	v_add_nc_u64_e32 v[12:13], v[12:13], v[54:55]
	s_wait_xcnt 0x0
	v_add_nc_u64_e32 v[14:15], v[14:15], v[54:55]
	v_cmp_gt_i32_e64 s7, 2, v17
	s_or_b32 s12, s7, s12
	s_delay_alu instid0(SALU_CYCLE_1)
	s_and_not1_b32 exec_lo, exec_lo, s12
	s_cbranch_execz .LBB2_488
.LBB2_484:                              ;   Parent Loop BB2_313 Depth=1
                                        ; =>  This Inner Loop Header: Depth=2
	flat_load_u16 v16, v[12:13] th:TH_LOAD_NT
	flat_load_u16 v68, v[10:11] th:TH_LOAD_NT
	s_wait_loadcnt_dscnt 0x101
	v_lshlrev_b32_e32 v16, 16, v16
	s_wait_loadcnt_dscnt 0x0
	v_lshlrev_b32_e32 v68, 16, v68
	s_delay_alu instid0(VALU_DEP_2) | instskip(NEXT) | instid1(VALU_DEP_2)
	v_max_num_f32_e32 v16, v16, v16
	v_max_num_f32_e32 v68, v68, v68
	s_delay_alu instid0(VALU_DEP_1) | instskip(NEXT) | instid1(VALU_DEP_1)
	v_dual_min_num_f32 v69, v68, v16 :: v_dual_max_num_f32 v16, v68, v16
	v_cndmask_b32_e32 v68, v16, v69, vcc_lo
	s_delay_alu instid0(VALU_DEP_1) | instskip(NEXT) | instid1(VALU_DEP_1)
	v_and_b32_e32 v16, 0x7f800000, v68
	v_cmp_ne_u32_e64 s7, 0x7f800000, v16
                                        ; implicit-def: $vgpr16
	s_wait_xcnt 0x0
	s_and_saveexec_b32 s13, s7
	s_delay_alu instid0(SALU_CYCLE_1)
	s_xor_b32 s7, exec_lo, s13
; %bb.485:                              ;   in Loop: Header=BB2_484 Depth=2
	v_bfe_u32 v16, v68, 16, 1
	s_delay_alu instid0(VALU_DEP_1)
	v_add3_u32 v16, v68, v16, 0x7fff
                                        ; implicit-def: $vgpr68
; %bb.486:                              ;   in Loop: Header=BB2_484 Depth=2
	s_and_not1_saveexec_b32 s13, s7
	s_cbranch_execz .LBB2_483
; %bb.487:                              ;   in Loop: Header=BB2_484 Depth=2
	v_and_b32_e32 v16, 0xffff, v68
	v_or_b32_e32 v69, 0x10000, v68
	s_delay_alu instid0(VALU_DEP_2) | instskip(NEXT) | instid1(VALU_DEP_1)
	v_cmp_eq_u32_e64 s7, 0, v16
	v_cndmask_b32_e64 v16, v69, v68, s7
	s_branch .LBB2_483
.LBB2_488:                              ;   in Loop: Header=BB2_313 Depth=1
	s_or_b32 exec_lo, exec_lo, s10
	v_cmp_ne_u32_e64 s7, 0, v36
	s_and_saveexec_b32 s10, s2
	s_cbranch_execz .LBB2_507
.LBB2_489:                              ;   in Loop: Header=BB2_313 Depth=1
	s_and_saveexec_b32 s12, s3
	s_delay_alu instid0(SALU_CYCLE_1)
	s_xor_b32 s12, exec_lo, s12
	s_cbranch_execz .LBB2_504
; %bb.490:                              ;   in Loop: Header=BB2_313 Depth=1
	s_and_saveexec_b32 s13, s4
	s_cbranch_execz .LBB2_503
; %bb.491:                              ;   in Loop: Header=BB2_313 Depth=1
	s_mov_b32 s24, exec_lo
	s_mov_b32 s23, exec_lo
	v_mbcnt_lo_u32_b32 v10, s24, 0
	global_wb scope:SCOPE_DEV
	s_wait_storecnt 0x0
	s_wait_loadcnt_dscnt 0x0
	global_inv scope:SCOPE_DEV
	v_cmpx_eq_u32_e32 0, v10
	s_cbranch_execz .LBB2_493
; %bb.492:                              ;   in Loop: Header=BB2_313 Depth=1
	s_bcnt1_i32_b32 s24, s24
	s_delay_alu instid0(SALU_CYCLE_1)
	v_mov_b32_e32 v36, s24
	s_wait_loadcnt 0x0
	ds_add_u64 v0, v[36:37]
	s_trap 2
.LBB2_493:                              ;   in Loop: Header=BB2_313 Depth=1
	s_or_b32 exec_lo, exec_lo, s23
	s_trap 2
	ds_load_b64 v[10:11], v0
	s_wait_dscnt 0x0
	v_add_nc_u64_e32 v[28:29], v[28:29], v[38:39]
	s_mov_b32 s23, exec_lo
	s_delay_alu instid0(VALU_DEP_1)
	v_cmpx_lt_u64_e64 v[10:11], v[28:29]
	s_cbranch_execz .LBB2_502
; %bb.494:                              ;   in Loop: Header=BB2_313 Depth=1
	s_mov_b32 s24, 0
	s_mov_b32 s27, 0
                                        ; implicit-def: $sgpr25
                                        ; implicit-def: $sgpr26
	s_branch .LBB2_496
.LBB2_495:                              ;   in Loop: Header=BB2_496 Depth=2
	s_or_b32 exec_lo, exec_lo, s29
	s_delay_alu instid0(SALU_CYCLE_1) | instskip(NEXT) | instid1(SALU_CYCLE_1)
	s_and_b32 s28, exec_lo, s40
	s_or_b32 s24, s28, s24
	s_and_not1_b32 s25, s25, exec_lo
	s_and_b32 s28, s26, exec_lo
	s_delay_alu instid0(SALU_CYCLE_1)
	s_or_b32 s25, s25, s28
	s_and_not1_b32 exec_lo, exec_lo, s24
	s_cbranch_execz .LBB2_500
.LBB2_496:                              ;   Parent Loop BB2_313 Depth=1
                                        ; =>  This Inner Loop Header: Depth=2
	s_add_co_i32 s27, s27, 1
	s_delay_alu instid0(SALU_CYCLE_1) | instskip(SKIP_1) | instid1(SALU_CYCLE_1)
	s_cmp_lg_u32 s27, 0x2710
	s_cselect_b32 s28, -1, 0
	s_and_b32 vcc_lo, exec_lo, s28
	s_cbranch_vccz .LBB2_498
; %bb.497:                              ;   in Loop: Header=BB2_496 Depth=2
	s_mov_b32 s40, -1
	s_or_b32 s26, s26, exec_lo
	s_and_saveexec_b32 s29, s28
	s_cbranch_execz .LBB2_495
	s_branch .LBB2_499
.LBB2_498:                              ;   in Loop: Header=BB2_496 Depth=2
	s_trap 2
	ds_load_b64 v[10:11], v0
	s_and_not1_b32 s28, s28, exec_lo
	s_mov_b32 s27, 0
	s_wait_loadcnt_dscnt 0x0
	flat_load_b32 v10, v[10:11] scope:SCOPE_SYS
	s_wait_loadcnt_dscnt 0x0
	global_inv scope:SCOPE_SYS
	v_cmp_eq_u32_e32 vcc_lo, 0, v10
	s_and_b32 s29, vcc_lo, exec_lo
	s_delay_alu instid0(SALU_CYCLE_1)
	s_or_b32 s28, s28, s29
	s_mov_b32 s40, -1
	s_or_b32 s26, s26, exec_lo
	s_and_saveexec_b32 s29, s28
	s_cbranch_execz .LBB2_495
.LBB2_499:                              ;   in Loop: Header=BB2_496 Depth=2
	s_sleep 1
	s_trap 2
	ds_load_b64 v[10:11], v0
	s_wait_dscnt 0x0
	s_and_not1_b32 s26, s26, exec_lo
	v_cmp_ge_u64_e32 vcc_lo, v[10:11], v[28:29]
	s_or_not1_b32 s40, vcc_lo, exec_lo
	s_branch .LBB2_495
.LBB2_500:                              ;   in Loop: Header=BB2_313 Depth=1
	s_or_b32 exec_lo, exec_lo, s24
	s_and_saveexec_b32 s24, s25
	s_delay_alu instid0(SALU_CYCLE_1)
	s_xor_b32 s24, exec_lo, s24
	s_cbranch_execz .LBB2_502
; %bb.501:                              ;   in Loop: Header=BB2_313 Depth=1
	ds_store_b32 v0, v97
	s_trap 2
.LBB2_502:                              ;   in Loop: Header=BB2_313 Depth=1
	s_or_b32 exec_lo, exec_lo, s23
	;;#ASMSTART
	s_wakeup
	;;#ASMEND
.LBB2_503:                              ;   in Loop: Header=BB2_313 Depth=1
	s_or_b32 exec_lo, exec_lo, s13
.LBB2_504:                              ;   in Loop: Header=BB2_313 Depth=1
	s_and_not1_saveexec_b32 s12, s12
	s_cbranch_execz .LBB2_506
; %bb.505:                              ;   in Loop: Header=BB2_313 Depth=1
	global_wb scope:SCOPE_DEV
	s_wait_storecnt 0x0
	s_wait_loadcnt_dscnt 0x0
	global_inv scope:SCOPE_DEV
	s_barrier_signal -1
	s_barrier_wait -1
.LBB2_506:                              ;   in Loop: Header=BB2_313 Depth=1
	s_or_b32 exec_lo, exec_lo, s12
.LBB2_507:                              ;   in Loop: Header=BB2_313 Depth=1
	s_delay_alu instid0(SALU_CYCLE_1) | instskip(SKIP_1) | instid1(VALU_DEP_1)
	s_or_b32 exec_lo, exec_lo, s10
	v_and_b32_e32 v10, 16, v30
	v_cmp_ne_u32_e32 vcc_lo, 0, v10
	s_and_b32 s10, vcc_lo, s7
	s_delay_alu instid0(SALU_CYCLE_1)
	s_and_saveexec_b32 s7, s10
	s_cbranch_execz .LBB2_509
; %bb.508:                              ;   in Loop: Header=BB2_313 Depth=1
	global_wb scope:SCOPE_SYS
	s_wait_storecnt 0x0
	s_wait_loadcnt_dscnt 0x0
	global_inv scope:SCOPE_SYS
.LBB2_509:                              ;   in Loop: Header=BB2_313 Depth=1
	s_or_b32 exec_lo, exec_lo, s7
	v_and_b32_e32 v10, 32, v30
	s_mov_b32 s7, exec_lo
	s_delay_alu instid0(VALU_DEP_1)
	v_cmpx_ne_u32_e32 0, v10
	s_cbranch_execz .LBB2_511
; %bb.510:                              ;   in Loop: Header=BB2_313 Depth=1
	v_add_nc_u64_e32 v[8:9], 1, v[8:9]
	global_wb scope:SCOPE_SYS
	s_wait_storecnt 0x0
	s_wait_loadcnt_dscnt 0x0
	flat_store_b64 v[22:23], v[8:9] scope:SCOPE_SYS
.LBB2_511:                              ;   in Loop: Header=BB2_313 Depth=1
	s_wait_xcnt 0x0
	s_or_b32 exec_lo, exec_lo, s7
	v_mov_b32_e32 v14, v67
.LBB2_512:                              ;   in Loop: Header=BB2_313 Depth=1
	s_or_b32 exec_lo, exec_lo, s22
	s_and_saveexec_b32 s10, s21
	s_cbranch_execz .LBB2_312
; %bb.513:                              ;   in Loop: Header=BB2_313 Depth=1
	v_and_b32_e32 v10, 4, v30
	s_mov_b32 s12, exec_lo
	s_delay_alu instid0(VALU_DEP_1)
	v_cmpx_ne_u32_e32 0, v10
	s_cbranch_execz .LBB2_535
; %bb.514:                              ;   in Loop: Header=BB2_313 Depth=1
	v_add_nc_u64_e32 v[10:11], 1, v[8:9]
	s_mov_b32 s13, exec_lo
	s_wait_loadcnt 0x0
	s_delay_alu instid0(VALU_DEP_1)
	v_cmpx_lt_u64_e64 v[32:33], v[10:11]
	s_cbranch_execz .LBB2_526
; %bb.515:                              ;   in Loop: Header=BB2_313 Depth=1
	v_and_b32_e32 v9, 64, v30
	s_mov_b32 s21, 0
	s_mov_b32 s25, 0
                                        ; implicit-def: $sgpr22
                                        ; implicit-def: $sgpr23
                                        ; implicit-def: $sgpr24
	s_delay_alu instid0(VALU_DEP_1)
	v_cmp_eq_u32_e32 vcc_lo, 0, v9
	s_branch .LBB2_519
.LBB2_516:                              ;   in Loop: Header=BB2_519 Depth=2
	s_wait_loadcnt_dscnt 0x0
	v_cmp_ge_u64_e64 s7, v[32:33], v[10:11]
	s_or_b32 s28, s28, exec_lo
	s_or_not1_b32 s27, s7, exec_lo
.LBB2_517:                              ;   in Loop: Header=BB2_519 Depth=2
	s_or_b32 exec_lo, exec_lo, s40
	s_delay_alu instid0(SALU_CYCLE_1)
	s_and_not1_b32 s7, s24, exec_lo
	s_and_b32 s24, s28, exec_lo
	s_and_not1_b32 s23, s23, exec_lo
	s_and_b32 s27, s27, exec_lo
	s_or_b32 s24, s7, s24
	s_or_b32 s23, s23, s27
.LBB2_518:                              ;   in Loop: Header=BB2_519 Depth=2
	s_or_b32 exec_lo, exec_lo, s26
	s_delay_alu instid0(SALU_CYCLE_1) | instskip(NEXT) | instid1(SALU_CYCLE_1)
	s_and_b32 s7, exec_lo, s23
	s_or_b32 s21, s7, s21
	s_and_not1_b32 s7, s22, exec_lo
	s_and_b32 s22, s24, exec_lo
	s_delay_alu instid0(SALU_CYCLE_1)
	s_or_b32 s22, s7, s22
	s_and_not1_b32 exec_lo, exec_lo, s21
	s_cbranch_execz .LBB2_523
.LBB2_519:                              ;   Parent Loop BB2_313 Depth=1
                                        ; =>  This Inner Loop Header: Depth=2
	s_sleep 1
	s_wait_loadcnt_dscnt 0x0
	flat_load_b64 v[32:33], v[22:23] scope:SCOPE_SYS
	s_or_b32 s24, s24, exec_lo
	s_or_b32 s23, s23, exec_lo
                                        ; implicit-def: $vgpr9
	s_wait_xcnt 0x0
	s_and_saveexec_b32 s26, vcc_lo
	s_cbranch_execz .LBB2_518
; %bb.520:                              ;   in Loop: Header=BB2_519 Depth=2
	s_cmp_lt_i32 s25, 0x270f
	s_mov_b32 s27, -1
	s_cselect_b32 s29, -1, 0
	s_cmp_gt_i32 s25, 0x270e
	s_cbranch_scc0 .LBB2_522
; %bb.521:                              ;   in Loop: Header=BB2_519 Depth=2
	s_trap 2
	ds_load_b64 v[12:13], v0
	s_and_not1_b32 s25, s29, exec_lo
	s_mov_b32 s28, 0
	s_wait_storecnt 0x0
	s_wait_loadcnt_dscnt 0x0
	flat_load_b32 v9, v[12:13] scope:SCOPE_SYS
	s_wait_loadcnt_dscnt 0x0
	global_inv scope:SCOPE_SYS
	v_cmp_eq_u32_e64 s7, 0, v9
	s_and_b32 s7, s7, exec_lo
	s_delay_alu instid0(SALU_CYCLE_1)
	s_or_b32 s29, s25, s7
	s_mov_b32 s25, 0
	s_and_saveexec_b32 s40, s29
	s_cbranch_execz .LBB2_517
	s_branch .LBB2_516
.LBB2_522:                              ;   in Loop: Header=BB2_519 Depth=2
	s_add_co_i32 s25, s25, 1
	s_mov_b32 s28, -1
                                        ; implicit-def: $vgpr9
	s_and_saveexec_b32 s40, s29
	s_cbranch_execz .LBB2_517
	s_branch .LBB2_516
.LBB2_523:                              ;   in Loop: Header=BB2_313 Depth=1
	s_or_b32 exec_lo, exec_lo, s21
	s_xor_b32 s7, s22, -1
	s_delay_alu instid0(SALU_CYCLE_1) | instskip(NEXT) | instid1(SALU_CYCLE_1)
	s_and_saveexec_b32 s21, s7
	s_xor_b32 s7, exec_lo, s21
	s_cbranch_execz .LBB2_525
; %bb.524:                              ;   in Loop: Header=BB2_313 Depth=1
	v_or_b32_e32 v30, 64, v30
	s_wait_storecnt 0x0
	s_wait_loadcnt_dscnt 0x0
	ds_store_b32 v0, v9
	s_trap 2
.LBB2_525:                              ;   in Loop: Header=BB2_313 Depth=1
	s_or_b32 exec_lo, exec_lo, s7
.LBB2_526:                              ;   in Loop: Header=BB2_313 Depth=1
	s_delay_alu instid0(SALU_CYCLE_1) | instskip(SKIP_4) | instid1(VALU_DEP_2)
	s_or_b32 exec_lo, exec_lo, s13
	v_and_b32_e32 v9, 0x100, v30
	v_and_b32_e32 v36, 7, v8
	s_mov_b32 s7, -1
	;;#ASMSTART
	s_wakeup
	;;#ASMEND
	v_cmp_ne_u32_e32 vcc_lo, 0, v9
                                        ; implicit-def: $vgpr8_vgpr9
	s_and_saveexec_b32 s13, vcc_lo
	s_cbranch_execz .LBB2_530
; %bb.527:                              ;   in Loop: Header=BB2_313 Depth=1
	v_mad_nc_u64_u32 v[12:13], v36, 24, v[6:7]
	flat_load_b32 v8, v[12:13]
	s_wait_loadcnt_dscnt 0x0
	v_cmp_eq_u32_e64 s7, 1, v8
	v_cmp_ne_u32_e32 vcc_lo, 1, v8
                                        ; implicit-def: $vgpr8_vgpr9
	s_wait_xcnt 0x0
	s_and_saveexec_b32 s21, s7
	s_cbranch_execz .LBB2_529
; %bb.528:                              ;   in Loop: Header=BB2_313 Depth=1
	flat_load_b32 v8, v[12:13] offset:4 scope:SCOPE_SYS
	s_wait_loadcnt_dscnt 0x0
	v_ashrrev_i32_e32 v9, 31, v8
	s_delay_alu instid0(VALU_DEP_1)
	v_lshrrev_b64 v[8:9], 1, v[8:9]
.LBB2_529:                              ;   in Loop: Header=BB2_313 Depth=1
	s_wait_xcnt 0x0
	s_or_b32 exec_lo, exec_lo, s21
	s_delay_alu instid0(SALU_CYCLE_1)
	s_or_not1_b32 s7, vcc_lo, exec_lo
.LBB2_530:                              ;   in Loop: Header=BB2_313 Depth=1
	s_or_b32 exec_lo, exec_lo, s13
	s_and_saveexec_b32 s13, s7
; %bb.531:                              ;   in Loop: Header=BB2_313 Depth=1
	v_mul_u64_e32 v[8:9], v[36:37], v[24:25]
; %bb.532:                              ;   in Loop: Header=BB2_313 Depth=1
	s_or_b32 exec_lo, exec_lo, s13
	v_and_b32_e32 v12, 0x2000, v30
	s_delay_alu instid0(VALU_DEP_2)
	v_lshl_add_u64 v[8:9], v[8:9], 1, v[26:27]
	s_mov_b32 s7, exec_lo
	ds_store_b64 v0, v[8:9] offset:728
	v_cmpx_ne_u32_e32 0, v12
	s_cbranch_execz .LBB2_534
; %bb.533:                              ;   in Loop: Header=BB2_313 Depth=1
	ds_load_b64 v[8:9], v0 offset:872
	s_wait_dscnt 0x0
	v_add_nc_u64_e32 v[8:9], 1, v[8:9]
	ds_store_b64 v0, v[8:9] offset:872
.LBB2_534:                              ;   in Loop: Header=BB2_313 Depth=1
	s_or_b32 exec_lo, exec_lo, s7
	v_mov_b64_e32 v[8:9], v[10:11]
.LBB2_535:                              ;   in Loop: Header=BB2_313 Depth=1
	s_or_b32 exec_lo, exec_lo, s12
	s_and_saveexec_b32 s7, s2
	s_cbranch_execz .LBB2_554
; %bb.536:                              ;   in Loop: Header=BB2_313 Depth=1
	s_and_saveexec_b32 s12, s3
	s_delay_alu instid0(SALU_CYCLE_1)
	s_xor_b32 s12, exec_lo, s12
	s_cbranch_execz .LBB2_551
; %bb.537:                              ;   in Loop: Header=BB2_313 Depth=1
	s_and_saveexec_b32 s13, s4
	s_cbranch_execz .LBB2_550
; %bb.538:                              ;   in Loop: Header=BB2_313 Depth=1
	s_mov_b32 s22, exec_lo
	s_mov_b32 s21, exec_lo
	v_mbcnt_lo_u32_b32 v10, s22, 0
	global_wb scope:SCOPE_DEV
	s_wait_storecnt 0x0
	s_wait_loadcnt_dscnt 0x0
	global_inv scope:SCOPE_DEV
	v_cmpx_eq_u32_e32 0, v10
	s_cbranch_execz .LBB2_540
; %bb.539:                              ;   in Loop: Header=BB2_313 Depth=1
	s_bcnt1_i32_b32 s22, s22
	s_delay_alu instid0(SALU_CYCLE_1)
	v_mov_b32_e32 v36, s22
	s_wait_loadcnt 0x0
	ds_add_u64 v0, v[36:37]
	s_trap 2
.LBB2_540:                              ;   in Loop: Header=BB2_313 Depth=1
	s_or_b32 exec_lo, exec_lo, s21
	s_trap 2
	ds_load_b64 v[10:11], v0
	s_wait_dscnt 0x0
	v_add_nc_u64_e32 v[28:29], v[28:29], v[38:39]
	s_mov_b32 s21, exec_lo
	s_delay_alu instid0(VALU_DEP_1)
	v_cmpx_lt_u64_e64 v[10:11], v[28:29]
	s_cbranch_execz .LBB2_549
; %bb.541:                              ;   in Loop: Header=BB2_313 Depth=1
	s_mov_b32 s22, 0
	s_mov_b32 s25, 0
                                        ; implicit-def: $sgpr23
                                        ; implicit-def: $sgpr24
	s_branch .LBB2_543
.LBB2_542:                              ;   in Loop: Header=BB2_543 Depth=2
	s_or_b32 exec_lo, exec_lo, s27
	s_delay_alu instid0(SALU_CYCLE_1) | instskip(NEXT) | instid1(SALU_CYCLE_1)
	s_and_b32 s26, exec_lo, s28
	s_or_b32 s22, s26, s22
	s_and_not1_b32 s23, s23, exec_lo
	s_and_b32 s26, s24, exec_lo
	s_delay_alu instid0(SALU_CYCLE_1)
	s_or_b32 s23, s23, s26
	s_and_not1_b32 exec_lo, exec_lo, s22
	s_cbranch_execz .LBB2_547
.LBB2_543:                              ;   Parent Loop BB2_313 Depth=1
                                        ; =>  This Inner Loop Header: Depth=2
	s_add_co_i32 s25, s25, 1
	s_delay_alu instid0(SALU_CYCLE_1) | instskip(SKIP_1) | instid1(SALU_CYCLE_1)
	s_cmp_lg_u32 s25, 0x2710
	s_cselect_b32 s26, -1, 0
	s_and_b32 vcc_lo, exec_lo, s26
	s_cbranch_vccz .LBB2_545
; %bb.544:                              ;   in Loop: Header=BB2_543 Depth=2
	s_mov_b32 s28, -1
	s_or_b32 s24, s24, exec_lo
	s_and_saveexec_b32 s27, s26
	s_cbranch_execz .LBB2_542
	s_branch .LBB2_546
.LBB2_545:                              ;   in Loop: Header=BB2_543 Depth=2
	s_trap 2
	ds_load_b64 v[10:11], v0
	s_and_not1_b32 s26, s26, exec_lo
	s_mov_b32 s25, 0
	s_wait_loadcnt_dscnt 0x0
	flat_load_b32 v10, v[10:11] scope:SCOPE_SYS
	s_wait_loadcnt_dscnt 0x0
	global_inv scope:SCOPE_SYS
	v_cmp_eq_u32_e32 vcc_lo, 0, v10
	s_and_b32 s27, vcc_lo, exec_lo
	s_delay_alu instid0(SALU_CYCLE_1)
	s_or_b32 s26, s26, s27
	s_mov_b32 s28, -1
	s_or_b32 s24, s24, exec_lo
	s_and_saveexec_b32 s27, s26
	s_cbranch_execz .LBB2_542
.LBB2_546:                              ;   in Loop: Header=BB2_543 Depth=2
	s_sleep 1
	s_trap 2
	ds_load_b64 v[10:11], v0
	s_wait_dscnt 0x0
	s_and_not1_b32 s24, s24, exec_lo
	v_cmp_ge_u64_e32 vcc_lo, v[10:11], v[28:29]
	s_or_not1_b32 s28, vcc_lo, exec_lo
	s_branch .LBB2_542
.LBB2_547:                              ;   in Loop: Header=BB2_313 Depth=1
	s_or_b32 exec_lo, exec_lo, s22
	s_and_saveexec_b32 s22, s23
	s_delay_alu instid0(SALU_CYCLE_1)
	s_xor_b32 s22, exec_lo, s22
	s_cbranch_execz .LBB2_549
; %bb.548:                              ;   in Loop: Header=BB2_313 Depth=1
	ds_store_b32 v0, v97
	s_trap 2
.LBB2_549:                              ;   in Loop: Header=BB2_313 Depth=1
	s_or_b32 exec_lo, exec_lo, s21
	;;#ASMSTART
	s_wakeup
	;;#ASMEND
.LBB2_550:                              ;   in Loop: Header=BB2_313 Depth=1
	s_or_b32 exec_lo, exec_lo, s13
.LBB2_551:                              ;   in Loop: Header=BB2_313 Depth=1
	s_and_not1_saveexec_b32 s12, s12
	s_cbranch_execz .LBB2_553
; %bb.552:                              ;   in Loop: Header=BB2_313 Depth=1
	global_wb scope:SCOPE_DEV
	s_wait_storecnt 0x0
	s_wait_loadcnt_dscnt 0x0
	global_inv scope:SCOPE_DEV
	s_barrier_signal -1
	s_barrier_wait -1
.LBB2_553:                              ;   in Loop: Header=BB2_313 Depth=1
	s_or_b32 exec_lo, exec_lo, s12
.LBB2_554:                              ;   in Loop: Header=BB2_313 Depth=1
	s_delay_alu instid0(SALU_CYCLE_1) | instskip(SKIP_3) | instid1(VALU_DEP_1)
	s_or_b32 exec_lo, exec_lo, s7
	s_trap 2
	ds_load_b32 v10, v0
	v_sub_nc_u32_e32 v11, v66, v14
	v_min_i32_e32 v11, v67, v11
	s_delay_alu instid0(VALU_DEP_1) | instskip(SKIP_4) | instid1(VALU_DEP_1)
	v_cmp_lt_i32_e32 vcc_lo, 0, v11
	s_wait_dscnt 0x0
	v_readfirstlane_b32 s7, v10
	v_and_b32_e32 v10, 16, v30
	s_cmp_eq_u32 s7, 0
	v_cmp_ne_u32_e64 s7, 0, v10
	s_cselect_b32 s12, -1, 0
	s_delay_alu instid0(SALU_CYCLE_1) | instskip(NEXT) | instid1(SALU_CYCLE_1)
	s_and_b32 s12, vcc_lo, s12
	s_and_b32 s12, s7, s12
	s_delay_alu instid0(SALU_CYCLE_1)
	s_and_saveexec_b32 s7, s12
	s_cbranch_execz .LBB2_556
; %bb.555:                              ;   in Loop: Header=BB2_313 Depth=1
	global_wb scope:SCOPE_SYS
	s_wait_loadcnt 0x0
	s_wait_storecnt 0x0
	global_inv scope:SCOPE_SYS
.LBB2_556:                              ;   in Loop: Header=BB2_313 Depth=1
	s_or_b32 exec_lo, exec_lo, s7
	v_and_b32_e32 v10, 32, v30
	s_mov_b32 s7, exec_lo
	s_delay_alu instid0(VALU_DEP_1)
	v_cmpx_ne_u32_e32 0, v10
	s_cbranch_execz .LBB2_311
; %bb.557:                              ;   in Loop: Header=BB2_313 Depth=1
	v_add_nc_u64_e32 v[8:9], 1, v[8:9]
	global_wb scope:SCOPE_SYS
	s_wait_loadcnt 0x0
	s_wait_storecnt 0x0
	flat_store_b64 v[22:23], v[8:9] scope:SCOPE_SYS
	s_branch .LBB2_311
.LBB2_558:
	s_or_b32 exec_lo, exec_lo, s18
.LBB2_559:
	s_delay_alu instid0(SALU_CYCLE_1)
	s_or_b32 exec_lo, exec_lo, s17
.LBB2_560:
	s_delay_alu instid0(SALU_CYCLE_1)
	s_or_b32 exec_lo, exec_lo, s11
                                        ; implicit-def: $vgpr18_vgpr19
                                        ; implicit-def: $vgpr4_vgpr5
                                        ; implicit-def: $vgpr36_vgpr37
                                        ; implicit-def: $vgpr24
                                        ; implicit-def: $vgpr32_vgpr33
                                        ; implicit-def: $vgpr26_vgpr27
                                        ; implicit-def: $vgpr22_vgpr23
                                        ; implicit-def: $vgpr0
                                        ; implicit-def: $vgpr15
                                        ; implicit-def: $vgpr34_vgpr35
.LBB2_561:
	s_and_not1_saveexec_b32 s11, s16
	s_cbranch_execz .LBB2_735
; %bb.562:
	v_mov_b64_e32 v[28:29], 0
	s_mov_b32 s12, exec_lo
	v_cmpx_ne_u64_e32 0, v[4:5]
	s_cbranch_execz .LBB2_734
; %bb.563:
	v_dual_ashrrev_i32 v25, 31, v24 :: v_dual_bitop2_b32 v10, 31, v31 bitop3:0x40
	v_dual_mov_b32 v11, 0 :: v_dual_bitop2_b32 v84, 31, v0 bitop3:0x40
	v_dual_lshrrev_b32 v85, 5, v0 :: v_dual_lshlrev_b32 v28, 1, v1
	s_delay_alu instid0(VALU_DEP_3) | instskip(NEXT) | instid1(VALU_DEP_3)
	v_cmp_eq_u32_e64 s4, 0, v10
	v_dual_mov_b32 v13, v11 :: v_dual_lshrrev_b32 v12, 5, v1
	s_delay_alu instid0(VALU_DEP_4)
	v_lshlrev_b32_e32 v10, 4, v84
	v_cmp_lt_u32_e64 s6, v84, v15
	v_mov_b32_e32 v15, v11
	s_lshr_b32 s2, s15, 27
	v_cmp_eq_u32_e32 vcc_lo, 32, v1
	v_lshl_or_b32 v10, v85, 10, v10
	v_and_b32_e32 v48, 0x3fc0, v28
	v_mov_b64_e32 v[50:51], 0
	s_wait_dscnt 0x1
	v_cmp_ne_u64_e64 s7, 0, v[36:37]
	v_mov_b64_e32 v[52:53], 0
	v_mov_b64_e32 v[28:29], 0
	;; [unrolled: 1-line block ×3, first 2 shown]
	v_cmp_ge_u32_e64 s1, v0, v1
	s_add_co_i32 s15, s15, s2
	v_cmp_ne_u32_e64 s2, 32, v1
	v_cmp_ne_u32_e64 s3, v1, v96
	v_cmp_eq_u32_e64 s5, 0, v84
	v_dual_lshlrev_b32 v14, 10, v12 :: v_dual_lshlrev_b32 v16, 9, v12
	s_wait_dscnt 0x0
	v_dual_mov_b32 v17, v11 :: v_dual_lshlrev_b32 v38, 8, v12
	v_dual_mov_b32 v39, v11 :: v_dual_mov_b32 v49, v11
	v_mov_b32_e32 v86, 1
	s_ashr_i32 s15, s15, 5
	s_mov_b32 s13, 0
	s_xor_b32 s16, vcc_lo, -1
	s_trap 2
	s_branch .LBB2_567
.LBB2_564:                              ;   in Loop: Header=BB2_567 Depth=1
	s_wait_xcnt 0x0
	s_or_b32 exec_lo, exec_lo, s17
	v_add_nc_u64_e32 v[8:9], 1, v[8:9]
	global_wb scope:SCOPE_SYS
	s_wait_storecnt 0x0
	s_wait_loadcnt_dscnt 0x0
	flat_store_b64 v[22:23], v[8:9] scope:SCOPE_SYS
.LBB2_565:                              ;   in Loop: Header=BB2_567 Depth=1
	s_wait_xcnt 0x0
	s_or_b32 exec_lo, exec_lo, s10
.LBB2_566:                              ;   in Loop: Header=BB2_567 Depth=1
	s_delay_alu instid0(SALU_CYCLE_1) | instskip(SKIP_1) | instid1(VALU_DEP_1)
	s_or_b32 exec_lo, exec_lo, s18
	v_add_nc_u64_e32 v[52:53], v[52:53], v[34:35]
	v_cmp_ge_u64_e32 vcc_lo, v[52:53], v[4:5]
	s_or_b32 s13, vcc_lo, s13
	s_delay_alu instid0(SALU_CYCLE_1)
	s_and_not1_b32 exec_lo, exec_lo, s13
	s_cbranch_execz .LBB2_733
.LBB2_567:                              ; =>This Loop Header: Depth=1
                                        ;     Child Loop BB2_576 Depth 2
                                        ;     Child Loop BB2_600 Depth 2
	;; [unrolled: 1-line block ×10, first 2 shown]
	v_sub_nc_u64_e32 v[64:65], v[4:5], v[52:53]
	s_delay_alu instid0(VALU_DEP_1) | instskip(NEXT) | instid1(VALU_DEP_1)
	v_min_u64 v[64:65], v[34:35], v[64:65]
	v_add_nc_u32_e32 v10, 15, v64
	s_delay_alu instid0(VALU_DEP_2) | instskip(NEXT) | instid1(VALU_DEP_2)
	v_cmp_eq_u64_e32 vcc_lo, 0, v[64:65]
	v_and_b32_e32 v10, 0x3ffffff0, v10
	s_or_b32 s17, s1, vcc_lo
	s_delay_alu instid0(SALU_CYCLE_1) | instskip(NEXT) | instid1(VALU_DEP_1)
	s_xor_b32 s10, s17, -1
	v_dual_mov_b32 v10, 0 :: v_dual_max_i32 v65, s15, v10
	s_and_saveexec_b32 s18, s10
	s_cbranch_execz .LBB2_684
; %bb.568:                              ;   in Loop: Header=BB2_567 Depth=1
	s_and_saveexec_b32 s10, s0
	s_cbranch_execz .LBB2_570
; %bb.569:                              ;   in Loop: Header=BB2_567 Depth=1
	s_trap 2
	ds_load_b64 v[66:67], v0
	s_wait_dscnt 0x0
	v_lshl_add_u64 v[66:67], v[18:19], 1, v[66:67]
	s_delay_alu instid0(VALU_DEP_1)
	v_lshl_add_u64 v[66:67], v[52:53], 1, v[66:67]
	ds_store_b64 v0, v[66:67]
	ds_store_b64 v0, v[50:51]
.LBB2_570:                              ;   in Loop: Header=BB2_567 Depth=1
	s_or_b32 exec_lo, exec_lo, s10
	v_and_b32_e32 v10, 8, v30
	v_min_u32_e32 v65, v65, v64
	s_mov_b32 s19, exec_lo
	s_delay_alu instid0(VALU_DEP_2)
	v_cmpx_ne_u32_e32 0, v10
	s_cbranch_execz .LBB2_592
; %bb.571:                              ;   in Loop: Header=BB2_567 Depth=1
	s_wait_loadcnt 0x0
	v_add_nc_u64_e32 v[68:69], 8, v[32:33]
	v_add_nc_u64_e32 v[66:67], 1, v[8:9]
	s_mov_b32 s20, exec_lo
	s_delay_alu instid0(VALU_DEP_1)
	v_cmpx_lt_u64_e64 v[68:69], v[66:67]
	s_cbranch_execz .LBB2_583
; %bb.572:                              ;   in Loop: Header=BB2_567 Depth=1
	v_and_b32_e32 v9, 64, v30
	s_mov_b32 s21, 0
	s_mov_b32 s25, 0
                                        ; implicit-def: $sgpr22
                                        ; implicit-def: $sgpr23
                                        ; implicit-def: $sgpr24
	s_delay_alu instid0(VALU_DEP_1)
	v_cmp_eq_u32_e32 vcc_lo, 0, v9
	s_branch .LBB2_576
.LBB2_573:                              ;   in Loop: Header=BB2_576 Depth=2
	s_wait_loadcnt_dscnt 0x0
	v_add_nc_u64_e32 v[68:69], 8, v[32:33]
	s_or_b32 s28, s28, exec_lo
	s_delay_alu instid0(VALU_DEP_1)
	v_cmp_ge_u64_e64 s10, v[68:69], v[66:67]
	s_or_not1_b32 s27, s10, exec_lo
.LBB2_574:                              ;   in Loop: Header=BB2_576 Depth=2
	s_or_b32 exec_lo, exec_lo, s40
	s_delay_alu instid0(SALU_CYCLE_1)
	s_and_not1_b32 s10, s24, exec_lo
	s_and_b32 s24, s28, exec_lo
	s_and_not1_b32 s23, s23, exec_lo
	s_and_b32 s27, s27, exec_lo
	s_or_b32 s24, s10, s24
	s_or_b32 s23, s23, s27
.LBB2_575:                              ;   in Loop: Header=BB2_576 Depth=2
	s_or_b32 exec_lo, exec_lo, s26
	s_delay_alu instid0(SALU_CYCLE_1) | instskip(NEXT) | instid1(SALU_CYCLE_1)
	s_and_b32 s10, exec_lo, s23
	s_or_b32 s21, s10, s21
	s_and_not1_b32 s10, s22, exec_lo
	s_and_b32 s22, s24, exec_lo
	s_delay_alu instid0(SALU_CYCLE_1)
	s_or_b32 s22, s10, s22
	s_and_not1_b32 exec_lo, exec_lo, s21
	s_cbranch_execz .LBB2_580
.LBB2_576:                              ;   Parent Loop BB2_567 Depth=1
                                        ; =>  This Inner Loop Header: Depth=2
	s_sleep 1
	s_wait_loadcnt_dscnt 0x0
	flat_load_b64 v[32:33], v[22:23] scope:SCOPE_SYS
	s_or_b32 s24, s24, exec_lo
	s_or_b32 s23, s23, exec_lo
                                        ; implicit-def: $vgpr9
	s_wait_xcnt 0x0
	s_and_saveexec_b32 s26, vcc_lo
	s_cbranch_execz .LBB2_575
; %bb.577:                              ;   in Loop: Header=BB2_576 Depth=2
	s_cmp_lt_i32 s25, 0x270f
	s_mov_b32 s27, -1
	s_cselect_b32 s29, -1, 0
	s_cmp_gt_i32 s25, 0x270e
	s_cbranch_scc0 .LBB2_579
; %bb.578:                              ;   in Loop: Header=BB2_576 Depth=2
	s_trap 2
	ds_load_b64 v[68:69], v0
	s_and_not1_b32 s25, s29, exec_lo
	s_mov_b32 s28, 0
	s_wait_storecnt 0x0
	s_wait_loadcnt_dscnt 0x0
	flat_load_b32 v9, v[68:69] scope:SCOPE_SYS
	s_wait_loadcnt_dscnt 0x0
	global_inv scope:SCOPE_SYS
	v_cmp_eq_u32_e64 s10, 0, v9
	s_and_b32 s10, s10, exec_lo
	s_delay_alu instid0(SALU_CYCLE_1)
	s_or_b32 s29, s25, s10
	s_mov_b32 s25, 0
	s_and_saveexec_b32 s40, s29
	s_cbranch_execz .LBB2_574
	s_branch .LBB2_573
.LBB2_579:                              ;   in Loop: Header=BB2_576 Depth=2
	s_add_co_i32 s25, s25, 1
	s_mov_b32 s28, -1
                                        ; implicit-def: $vgpr9
	s_and_saveexec_b32 s40, s29
	s_cbranch_execz .LBB2_574
	s_branch .LBB2_573
.LBB2_580:                              ;   in Loop: Header=BB2_567 Depth=1
	s_or_b32 exec_lo, exec_lo, s21
	s_xor_b32 s10, s22, -1
	s_delay_alu instid0(SALU_CYCLE_1) | instskip(NEXT) | instid1(SALU_CYCLE_1)
	s_and_saveexec_b32 s21, s10
	s_xor_b32 s10, exec_lo, s21
	s_cbranch_execz .LBB2_582
; %bb.581:                              ;   in Loop: Header=BB2_567 Depth=1
	v_or_b32_e32 v30, 64, v30
	s_wait_storecnt 0x0
	s_wait_loadcnt_dscnt 0x0
	ds_store_b32 v0, v9
	s_trap 2
.LBB2_582:                              ;   in Loop: Header=BB2_567 Depth=1
	s_or_b32 exec_lo, exec_lo, s10
.LBB2_583:                              ;   in Loop: Header=BB2_567 Depth=1
	s_delay_alu instid0(SALU_CYCLE_1) | instskip(SKIP_4) | instid1(VALU_DEP_2)
	s_or_b32 exec_lo, exec_lo, s20
	v_and_b32_e32 v9, 0x100, v30
	v_and_b32_e32 v10, 7, v8
	s_mov_b32 s10, -1
	;;#ASMSTART
	s_wakeup
	;;#ASMEND
	v_cmp_ne_u32_e32 vcc_lo, 0, v9
                                        ; implicit-def: $vgpr8_vgpr9
	s_and_saveexec_b32 s20, vcc_lo
	s_cbranch_execz .LBB2_587
; %bb.584:                              ;   in Loop: Header=BB2_567 Depth=1
	v_mad_nc_u64_u32 v[68:69], v10, 24, v[6:7]
	v_dual_mov_b32 v9, v11 :: v_dual_lshlrev_b32 v8, 1, v65
	s_mov_b32 s21, exec_lo
	s_clause 0x1
	flat_load_b32 v70, v[68:69]
	flat_store_b64 v[68:69], v[8:9] offset:8
                                        ; implicit-def: $vgpr8_vgpr9
	s_wait_loadcnt_dscnt 0x1
	v_cmp_ne_u32_e32 vcc_lo, 1, v70
	s_wait_xcnt 0x0
	v_cmpx_eq_u32_e32 1, v70
	s_cbranch_execz .LBB2_586
; %bb.585:                              ;   in Loop: Header=BB2_567 Depth=1
	flat_load_b32 v8, v[68:69] offset:4 scope:SCOPE_SYS
	s_wait_loadcnt_dscnt 0x0
	v_ashrrev_i32_e32 v9, 31, v8
	s_delay_alu instid0(VALU_DEP_1)
	v_lshrrev_b64 v[8:9], 1, v[8:9]
.LBB2_586:                              ;   in Loop: Header=BB2_567 Depth=1
	s_wait_xcnt 0x0
	s_or_b32 exec_lo, exec_lo, s21
	s_delay_alu instid0(SALU_CYCLE_1)
	s_or_not1_b32 s10, vcc_lo, exec_lo
.LBB2_587:                              ;   in Loop: Header=BB2_567 Depth=1
	s_or_b32 exec_lo, exec_lo, s20
	s_and_saveexec_b32 s20, s10
; %bb.588:                              ;   in Loop: Header=BB2_567 Depth=1
	v_mul_u64_e32 v[8:9], v[10:11], v[24:25]
; %bb.589:                              ;   in Loop: Header=BB2_567 Depth=1
	s_or_b32 exec_lo, exec_lo, s20
	v_and_b32_e32 v10, 0x2000, v30
	s_delay_alu instid0(VALU_DEP_2)
	v_lshl_add_u64 v[8:9], v[8:9], 1, v[26:27]
	s_mov_b32 s10, exec_lo
	ds_store_b64 v0, v[8:9] offset:784
	v_cmpx_ne_u32_e32 0, v10
	s_cbranch_execz .LBB2_591
; %bb.590:                              ;   in Loop: Header=BB2_567 Depth=1
	ds_load_b64 v[8:9], v0 offset:872
	s_wait_dscnt 0x0
	v_add_nc_u64_e32 v[8:9], 1, v[8:9]
	ds_store_b64 v0, v[8:9] offset:872
.LBB2_591:                              ;   in Loop: Header=BB2_567 Depth=1
	s_or_b32 exec_lo, exec_lo, s10
	v_mov_b64_e32 v[8:9], v[66:67]
.LBB2_592:                              ;   in Loop: Header=BB2_567 Depth=1
	s_or_b32 exec_lo, exec_lo, s19
	s_and_saveexec_b32 s10, s2
	s_cbranch_execz .LBB2_611
; %bb.593:                              ;   in Loop: Header=BB2_567 Depth=1
	s_and_saveexec_b32 s19, s3
	s_delay_alu instid0(SALU_CYCLE_1)
	s_xor_b32 s19, exec_lo, s19
	s_cbranch_execz .LBB2_608
; %bb.594:                              ;   in Loop: Header=BB2_567 Depth=1
	s_and_saveexec_b32 s20, s4
	s_cbranch_execz .LBB2_607
; %bb.595:                              ;   in Loop: Header=BB2_567 Depth=1
	s_mov_b32 s22, exec_lo
	s_mov_b32 s21, exec_lo
	v_mbcnt_lo_u32_b32 v10, s22, 0
	global_wb scope:SCOPE_DEV
	s_wait_storecnt 0x0
	s_wait_loadcnt_dscnt 0x0
	global_inv scope:SCOPE_DEV
	v_cmpx_eq_u32_e32 0, v10
	s_cbranch_execz .LBB2_597
; %bb.596:                              ;   in Loop: Header=BB2_567 Depth=1
	s_bcnt1_i32_b32 s22, s22
	s_delay_alu instid0(SALU_CYCLE_1)
	v_mov_b32_e32 v10, s22
	s_wait_loadcnt 0x0
	ds_add_u64 v0, v[10:11]
	s_trap 2
.LBB2_597:                              ;   in Loop: Header=BB2_567 Depth=1
	s_or_b32 exec_lo, exec_lo, s21
	s_trap 2
	ds_load_b64 v[66:67], v0
	s_wait_dscnt 0x0
	v_add_nc_u64_e32 v[28:29], v[28:29], v[12:13]
	s_mov_b32 s21, exec_lo
	s_delay_alu instid0(VALU_DEP_1)
	v_cmpx_lt_u64_e64 v[66:67], v[28:29]
	s_cbranch_execz .LBB2_606
; %bb.598:                              ;   in Loop: Header=BB2_567 Depth=1
	s_mov_b32 s22, 0
	s_mov_b32 s25, 0
                                        ; implicit-def: $sgpr23
                                        ; implicit-def: $sgpr24
	s_branch .LBB2_600
.LBB2_599:                              ;   in Loop: Header=BB2_600 Depth=2
	s_or_b32 exec_lo, exec_lo, s27
	s_delay_alu instid0(SALU_CYCLE_1) | instskip(NEXT) | instid1(SALU_CYCLE_1)
	s_and_b32 s26, exec_lo, s28
	s_or_b32 s22, s26, s22
	s_and_not1_b32 s23, s23, exec_lo
	s_and_b32 s26, s24, exec_lo
	s_delay_alu instid0(SALU_CYCLE_1)
	s_or_b32 s23, s23, s26
	s_and_not1_b32 exec_lo, exec_lo, s22
	s_cbranch_execz .LBB2_604
.LBB2_600:                              ;   Parent Loop BB2_567 Depth=1
                                        ; =>  This Inner Loop Header: Depth=2
	s_add_co_i32 s25, s25, 1
	s_delay_alu instid0(SALU_CYCLE_1) | instskip(SKIP_1) | instid1(SALU_CYCLE_1)
	s_cmp_lg_u32 s25, 0x2710
	s_cselect_b32 s26, -1, 0
	s_and_b32 vcc_lo, exec_lo, s26
	s_cbranch_vccz .LBB2_602
; %bb.601:                              ;   in Loop: Header=BB2_600 Depth=2
	s_mov_b32 s28, -1
	s_or_b32 s24, s24, exec_lo
	s_and_saveexec_b32 s27, s26
	s_cbranch_execz .LBB2_599
	s_branch .LBB2_603
.LBB2_602:                              ;   in Loop: Header=BB2_600 Depth=2
	s_trap 2
	ds_load_b64 v[66:67], v0
	s_and_not1_b32 s26, s26, exec_lo
	s_mov_b32 s25, 0
	s_wait_loadcnt_dscnt 0x0
	flat_load_b32 v10, v[66:67] scope:SCOPE_SYS
	s_wait_loadcnt_dscnt 0x0
	global_inv scope:SCOPE_SYS
	v_cmp_eq_u32_e32 vcc_lo, 0, v10
	s_and_b32 s27, vcc_lo, exec_lo
	s_delay_alu instid0(SALU_CYCLE_1)
	s_or_b32 s26, s26, s27
	s_mov_b32 s28, -1
	s_or_b32 s24, s24, exec_lo
	s_and_saveexec_b32 s27, s26
	s_cbranch_execz .LBB2_599
.LBB2_603:                              ;   in Loop: Header=BB2_600 Depth=2
	s_sleep 1
	s_trap 2
	ds_load_b64 v[66:67], v0
	s_wait_dscnt 0x0
	s_and_not1_b32 s24, s24, exec_lo
	v_cmp_ge_u64_e32 vcc_lo, v[66:67], v[28:29]
	s_or_not1_b32 s28, vcc_lo, exec_lo
	s_branch .LBB2_599
.LBB2_604:                              ;   in Loop: Header=BB2_567 Depth=1
	s_or_b32 exec_lo, exec_lo, s22
	s_and_saveexec_b32 s22, s23
	s_delay_alu instid0(SALU_CYCLE_1)
	s_xor_b32 s22, exec_lo, s22
	s_cbranch_execz .LBB2_606
; %bb.605:                              ;   in Loop: Header=BB2_567 Depth=1
	ds_store_b32 v0, v86
	s_trap 2
.LBB2_606:                              ;   in Loop: Header=BB2_567 Depth=1
	s_or_b32 exec_lo, exec_lo, s21
	;;#ASMSTART
	s_wakeup
	;;#ASMEND
.LBB2_607:                              ;   in Loop: Header=BB2_567 Depth=1
	s_or_b32 exec_lo, exec_lo, s20
.LBB2_608:                              ;   in Loop: Header=BB2_567 Depth=1
	s_and_not1_saveexec_b32 s19, s19
	s_cbranch_execz .LBB2_610
; %bb.609:                              ;   in Loop: Header=BB2_567 Depth=1
	global_wb scope:SCOPE_DEV
	s_wait_storecnt 0x0
	s_wait_loadcnt_dscnt 0x0
	global_inv scope:SCOPE_DEV
	s_barrier_signal -1
	s_barrier_wait -1
.LBB2_610:                              ;   in Loop: Header=BB2_567 Depth=1
	s_or_b32 exec_lo, exec_lo, s19
.LBB2_611:                              ;   in Loop: Header=BB2_567 Depth=1
	s_delay_alu instid0(SALU_CYCLE_1) | instskip(SKIP_3) | instid1(VALU_DEP_1)
	s_or_b32 exec_lo, exec_lo, s10
	s_trap 2
	ds_load_b32 v70, v0
	v_and_b32_e32 v10, 0x4000, v30
	v_cmp_ne_u32_e32 vcc_lo, 0, v10
	s_and_b32 s19, s16, vcc_lo
	s_delay_alu instid0(SALU_CYCLE_1)
	s_and_saveexec_b32 s10, s19
	s_cbranch_execz .LBB2_630
; %bb.612:                              ;   in Loop: Header=BB2_567 Depth=1
	s_and_saveexec_b32 s19, s3
	s_delay_alu instid0(SALU_CYCLE_1)
	s_xor_b32 s19, exec_lo, s19
	s_cbranch_execz .LBB2_627
; %bb.613:                              ;   in Loop: Header=BB2_567 Depth=1
	s_and_saveexec_b32 s20, s4
	s_cbranch_execz .LBB2_626
; %bb.614:                              ;   in Loop: Header=BB2_567 Depth=1
	s_mov_b32 s22, exec_lo
	s_mov_b32 s21, exec_lo
	v_mbcnt_lo_u32_b32 v10, s22, 0
	global_wb scope:SCOPE_DEV
	s_wait_storecnt 0x0
	s_wait_loadcnt_dscnt 0x0
	global_inv scope:SCOPE_DEV
	v_cmpx_eq_u32_e32 0, v10
	s_cbranch_execz .LBB2_616
; %bb.615:                              ;   in Loop: Header=BB2_567 Depth=1
	s_bcnt1_i32_b32 s22, s22
	s_delay_alu instid0(SALU_CYCLE_1)
	v_mov_b32_e32 v10, s22
	s_wait_loadcnt 0x0
	ds_add_u64 v0, v[10:11]
	s_trap 2
.LBB2_616:                              ;   in Loop: Header=BB2_567 Depth=1
	s_or_b32 exec_lo, exec_lo, s21
	s_trap 2
	ds_load_b64 v[66:67], v0
	s_wait_dscnt 0x0
	v_add_nc_u64_e32 v[28:29], v[28:29], v[12:13]
	s_mov_b32 s21, exec_lo
	s_delay_alu instid0(VALU_DEP_1)
	v_cmpx_lt_u64_e64 v[66:67], v[28:29]
	s_cbranch_execz .LBB2_625
; %bb.617:                              ;   in Loop: Header=BB2_567 Depth=1
	s_mov_b32 s22, 0
	s_mov_b32 s25, 0
                                        ; implicit-def: $sgpr23
                                        ; implicit-def: $sgpr24
	s_branch .LBB2_619
.LBB2_618:                              ;   in Loop: Header=BB2_619 Depth=2
	s_or_b32 exec_lo, exec_lo, s27
	s_delay_alu instid0(SALU_CYCLE_1) | instskip(NEXT) | instid1(SALU_CYCLE_1)
	s_and_b32 s26, exec_lo, s28
	s_or_b32 s22, s26, s22
	s_and_not1_b32 s23, s23, exec_lo
	s_and_b32 s26, s24, exec_lo
	s_delay_alu instid0(SALU_CYCLE_1)
	s_or_b32 s23, s23, s26
	s_and_not1_b32 exec_lo, exec_lo, s22
	s_cbranch_execz .LBB2_623
.LBB2_619:                              ;   Parent Loop BB2_567 Depth=1
                                        ; =>  This Inner Loop Header: Depth=2
	s_add_co_i32 s25, s25, 1
	s_delay_alu instid0(SALU_CYCLE_1) | instskip(SKIP_1) | instid1(SALU_CYCLE_1)
	s_cmp_lg_u32 s25, 0x2710
	s_cselect_b32 s26, -1, 0
	s_and_b32 vcc_lo, exec_lo, s26
	s_cbranch_vccz .LBB2_621
; %bb.620:                              ;   in Loop: Header=BB2_619 Depth=2
	s_mov_b32 s28, -1
	s_or_b32 s24, s24, exec_lo
	s_and_saveexec_b32 s27, s26
	s_cbranch_execz .LBB2_618
	s_branch .LBB2_622
.LBB2_621:                              ;   in Loop: Header=BB2_619 Depth=2
	s_trap 2
	ds_load_b64 v[66:67], v0
	s_and_not1_b32 s26, s26, exec_lo
	s_mov_b32 s25, 0
	s_wait_loadcnt_dscnt 0x0
	flat_load_b32 v10, v[66:67] scope:SCOPE_SYS
	s_wait_loadcnt_dscnt 0x0
	global_inv scope:SCOPE_SYS
	v_cmp_eq_u32_e32 vcc_lo, 0, v10
	s_and_b32 s27, vcc_lo, exec_lo
	s_delay_alu instid0(SALU_CYCLE_1)
	s_or_b32 s26, s26, s27
	s_mov_b32 s28, -1
	s_or_b32 s24, s24, exec_lo
	s_and_saveexec_b32 s27, s26
	s_cbranch_execz .LBB2_618
.LBB2_622:                              ;   in Loop: Header=BB2_619 Depth=2
	s_sleep 1
	s_trap 2
	ds_load_b64 v[66:67], v0
	s_wait_dscnt 0x0
	s_and_not1_b32 s24, s24, exec_lo
	v_cmp_ge_u64_e32 vcc_lo, v[66:67], v[28:29]
	s_or_not1_b32 s28, vcc_lo, exec_lo
	s_branch .LBB2_618
.LBB2_623:                              ;   in Loop: Header=BB2_567 Depth=1
	s_or_b32 exec_lo, exec_lo, s22
	s_and_saveexec_b32 s22, s23
	s_delay_alu instid0(SALU_CYCLE_1)
	s_xor_b32 s22, exec_lo, s22
	s_cbranch_execz .LBB2_625
; %bb.624:                              ;   in Loop: Header=BB2_567 Depth=1
	ds_store_b32 v0, v86
	s_trap 2
.LBB2_625:                              ;   in Loop: Header=BB2_567 Depth=1
	s_or_b32 exec_lo, exec_lo, s21
	;;#ASMSTART
	s_wakeup
	;;#ASMEND
.LBB2_626:                              ;   in Loop: Header=BB2_567 Depth=1
	s_or_b32 exec_lo, exec_lo, s20
.LBB2_627:                              ;   in Loop: Header=BB2_567 Depth=1
	s_and_not1_saveexec_b32 s19, s19
	s_cbranch_execz .LBB2_629
; %bb.628:                              ;   in Loop: Header=BB2_567 Depth=1
	global_wb scope:SCOPE_DEV
	s_wait_storecnt 0x0
	s_wait_loadcnt_dscnt 0x0
	global_inv scope:SCOPE_DEV
	s_barrier_signal -1
	s_barrier_wait -1
.LBB2_629:                              ;   in Loop: Header=BB2_567 Depth=1
	s_or_b32 exec_lo, exec_lo, s19
.LBB2_630:                              ;   in Loop: Header=BB2_567 Depth=1
	s_delay_alu instid0(SALU_CYCLE_1)
	s_or_b32 exec_lo, exec_lo, s10
	s_trap 2
	ds_load_b64 v[66:67], v0
	s_wait_dscnt 0x0
	v_cmp_eq_u64_e32 vcc_lo, 0, v[66:67]
	s_cbranch_vccnz .LBB2_638
; %bb.631:                              ;   in Loop: Header=BB2_567 Depth=1
	s_trap 2
	ds_load_b64 v[68:69], v0
	s_wait_dscnt 0x0
	v_cmp_eq_u64_e32 vcc_lo, 0, v[68:69]
	s_cbranch_vccnz .LBB2_638
; %bb.632:                              ;   in Loop: Header=BB2_567 Depth=1
	s_mov_b32 s10, -1
	s_and_saveexec_b32 s19, s5
	s_cbranch_execz .LBB2_634
; %bb.633:                              ;   in Loop: Header=BB2_567 Depth=1
	ds_load_b32 v10, v0 offset:720
	s_wait_dscnt 0x0
	v_and_b32_e32 v10, 15, v10
	s_delay_alu instid0(VALU_DEP_1)
	v_cmp_eq_u32_e32 vcc_lo, 0, v10
	s_or_not1_b32 s10, vcc_lo, exec_lo
.LBB2_634:                              ;   in Loop: Header=BB2_567 Depth=1
	s_or_b32 exec_lo, exec_lo, s19
	s_and_saveexec_b32 s19, s6
	s_cbranch_execz .LBB2_636
; %bb.635:                              ;   in Loop: Header=BB2_567 Depth=1
	ds_load_b32 v10, v0 offset:784
	s_wait_dscnt 0x0
	v_and_b32_e32 v10, 15, v10
	s_delay_alu instid0(VALU_DEP_1) | instskip(SKIP_3) | instid1(SALU_CYCLE_1)
	v_cmp_eq_u32_e32 vcc_lo, 0, v10
	s_and_b32 s20, s10, vcc_lo
	s_and_not1_b32 s10, s10, exec_lo
	s_and_b32 s20, s20, exec_lo
	s_or_b32 s10, s10, s20
.LBB2_636:                              ;   in Loop: Header=BB2_567 Depth=1
	s_or_b32 exec_lo, exec_lo, s19
	v_cmp_eq_u32_e32 vcc_lo, 0, v70
	s_xor_b32 s10, s10, -1
	s_mov_b32 s20, -1
	v_cndmask_b32_e64 v71, 0, 1, s10
	v_dual_mov_b32 v97, 0 :: v_dual_cndmask_b32 v10, 0, v65
	s_delay_alu instid0(VALU_DEP_2) | instskip(NEXT) | instid1(VALU_DEP_2)
	v_cmp_ne_u32_e32 vcc_lo, 0, v71
	v_lshlrev_b32_e32 v87, 1, v10
	s_cbranch_vccz .LBB2_639
; %bb.637:                              ;   in Loop: Header=BB2_567 Depth=1
	v_mov_b32_e32 v98, v0
	s_and_saveexec_b32 s10, s20
	s_cbranch_execnz .LBB2_650
	s_branch .LBB2_658
.LBB2_638:                              ;   in Loop: Header=BB2_567 Depth=1
	s_mov_b32 s10, 0
	s_and_saveexec_b32 s19, s2
	s_cbranch_execnz .LBB2_659
	s_branch .LBB2_677
.LBB2_639:                              ;   in Loop: Header=BB2_567 Depth=1
	v_lshrrev_b32_e32 v80, 9, v10
	s_mov_b32 s10, exec_lo
	s_delay_alu instid0(VALU_DEP_1) | instskip(NEXT) | instid1(VALU_DEP_1)
	v_sub_nc_u32_e32 v81, v80, v85
	v_cmpx_lt_i32_e32 0, v81
	s_cbranch_execz .LBB2_643
; %bb.640:                              ;   in Loop: Header=BB2_567 Depth=1
	v_mov_b64_e32 v[70:71], v[54:55]
	s_mov_b32 s19, 0
.LBB2_641:                              ;   Parent Loop BB2_567 Depth=1
                                        ; =>  This Inner Loop Header: Depth=2
	s_delay_alu instid0(VALU_DEP_1)
	v_add_nc_u64_e32 v[82:83], v[66:67], v[70:71]
	v_sub_nc_u32_e32 v81, v81, v12
	s_clause 0x1
	global_load_b128 v[98:101], v[82:83], off th:TH_LOAD_NT
	global_load_b128 v[112:115], v[82:83], off offset:512 th:TH_LOAD_NT
	s_wait_xcnt 0x0
	v_add_nc_u64_e32 v[82:83], v[68:69], v[70:71]
	v_cmp_gt_i32_e32 vcc_lo, 1, v81
	v_add_nc_u64_e32 v[70:71], v[70:71], v[14:15]
	s_wait_loadcnt 0x1
	global_store_b128 v[82:83], v[98:101], off th:TH_STORE_NT
	s_wait_loadcnt 0x0
	global_store_b128 v[82:83], v[112:115], off offset:512 th:TH_STORE_NT
	s_or_b32 s19, vcc_lo, s19
	s_wait_xcnt 0x0
	s_and_not1_b32 exec_lo, exec_lo, s19
	s_cbranch_execnz .LBB2_641
; %bb.642:                              ;   in Loop: Header=BB2_567 Depth=1
	s_or_b32 exec_lo, exec_lo, s19
.LBB2_643:                              ;   in Loop: Header=BB2_567 Depth=1
	s_delay_alu instid0(SALU_CYCLE_1) | instskip(SKIP_3) | instid1(VALU_DEP_1)
	s_or_b32 exec_lo, exec_lo, s10
	v_dual_mov_b32 v97, 0 :: v_dual_lshlrev_b32 v80, 10, v80
	s_mov_b32 s20, 0
	s_mov_b32 s19, exec_lo
                                        ; implicit-def: $vgpr98
	v_cmpx_ne_u32_e64 v87, v80
	s_cbranch_execz .LBB2_649
; %bb.644:                              ;   in Loop: Header=BB2_567 Depth=1
	v_dual_lshlrev_b32 v70, 5, v81 :: v_dual_sub_nc_u32 v97, v87, v80
	s_mov_b32 s20, exec_lo
	s_delay_alu instid0(VALU_DEP_1) | instskip(NEXT) | instid1(VALU_DEP_1)
	v_dual_sub_nc_u32 v70, v84, v70 :: v_dual_ashrrev_i32 v81, 31, v97
	v_dual_ashrrev_i32 v71, 31, v70 :: v_dual_lshrrev_b32 v81, 23, v81
	s_delay_alu instid0(VALU_DEP_1) | instskip(NEXT) | instid1(VALU_DEP_1)
	v_lshrrev_b32_e32 v71, 27, v71
	v_add_nc_u32_e32 v71, v70, v71
	s_delay_alu instid0(VALU_DEP_1) | instskip(NEXT) | instid1(VALU_DEP_1)
	v_and_b32_e32 v82, 0xffffffe0, v71
	v_dual_add_nc_u32 v98, v97, v81 :: v_dual_sub_nc_u32 v81, v70, v82
	s_delay_alu instid0(VALU_DEP_1) | instskip(SKIP_1) | instid1(VALU_DEP_2)
	v_and_b32_e32 v82, 0xfffffe00, v98
	v_dual_ashrrev_i32 v71, 5, v71 :: v_dual_ashrrev_i32 v98, 9, v98
	v_dual_lshlrev_b32 v70, 4, v81 :: v_dual_sub_nc_u32 v83, v97, v82
	s_delay_alu instid0(VALU_DEP_1) | instskip(NEXT) | instid1(VALU_DEP_2)
	v_lshl_add_u32 v70, v71, 9, v70
	v_cmp_lt_i32_e32 vcc_lo, 15, v83
	s_delay_alu instid0(VALU_DEP_4) | instskip(NEXT) | instid1(VALU_DEP_1)
	v_add_co_ci_u32_e64 v99, null, 0, v98, vcc_lo
	v_dual_sub_nc_u32 v98, v97, v70 :: v_dual_sub_nc_u32 v97, v99, v71
	s_delay_alu instid0(VALU_DEP_1)
	v_cmpx_lt_i32_e32 15, v98
	s_cbranch_execz .LBB2_648
; %bb.645:                              ;   in Loop: Header=BB2_567 Depth=1
	v_add_nc_u32_e32 v70, v70, v80
	s_mov_b32 s21, 0
	s_delay_alu instid0(VALU_DEP_1)
	v_ashrrev_i32_e32 v71, 31, v70
.LBB2_646:                              ;   Parent Loop BB2_567 Depth=1
                                        ; =>  This Inner Loop Header: Depth=2
	s_delay_alu instid0(VALU_DEP_1) | instskip(SKIP_4) | instid1(VALU_DEP_4)
	v_add_nc_u64_e32 v[100:101], v[66:67], v[70:71]
	v_sub_nc_u32_e32 v98, v98, v16
	v_add_nc_u64_e32 v[112:113], v[68:69], v[70:71]
	v_add_nc_u64_e32 v[70:71], v[70:71], v[16:17]
	v_sub_nc_u32_e32 v97, v97, v12
	v_cmp_gt_i32_e64 s10, 16, v98
	global_load_b128 v[100:103], v[100:101], off th:TH_LOAD_NT
	s_or_b32 s21, s10, s21
	s_wait_loadcnt 0x0
	global_store_b128 v[112:113], v[100:103], off th:TH_STORE_NT
	s_wait_xcnt 0x0
	s_and_not1_b32 exec_lo, exec_lo, s21
	s_cbranch_execnz .LBB2_646
; %bb.647:                              ;   in Loop: Header=BB2_567 Depth=1
	s_or_b32 exec_lo, exec_lo, s21
.LBB2_648:                              ;   in Loop: Header=BB2_567 Depth=1
	s_delay_alu instid0(SALU_CYCLE_1) | instskip(NEXT) | instid1(VALU_DEP_2)
	s_or_b32 exec_lo, exec_lo, s20
	v_cmp_lt_i32_e64 s10, 0, v97
	s_delay_alu instid0(VALU_DEP_1) | instskip(NEXT) | instid1(VALU_DEP_1)
	v_dual_cndmask_b32 v98, 0, v12, s10 :: v_dual_bitop2_b32 v70, 14, v87 bitop3:0x40
	v_dual_sub_nc_u32 v71, v83, v70 :: v_dual_cndmask_b32 v87, v83, v70, vcc_lo
	s_delay_alu instid0(VALU_DEP_1) | instskip(NEXT) | instid1(VALU_DEP_2)
	v_dual_cndmask_b32 v70, 0, v71 :: v_dual_sub_nc_u32 v71, v98, v97
	v_cmp_ne_u32_e32 vcc_lo, 0, v87
	s_delay_alu instid0(VALU_DEP_2) | instskip(NEXT) | instid1(VALU_DEP_3)
	v_add3_u32 v97, v82, v80, v70
	v_lshl_add_u32 v98, v71, 5, v81
	s_and_b32 s20, vcc_lo, exec_lo
.LBB2_649:                              ;   in Loop: Header=BB2_567 Depth=1
	s_or_b32 exec_lo, exec_lo, s19
	s_and_saveexec_b32 s10, s20
	s_cbranch_execz .LBB2_658
.LBB2_650:                              ;   in Loop: Header=BB2_567 Depth=1
	s_delay_alu instid0(VALU_DEP_1) | instskip(SKIP_1) | instid1(VALU_DEP_1)
	v_dual_ashrrev_i32 v70, 31, v98 :: v_dual_ashrrev_i32 v71, 31, v87
	s_mov_b32 s19, exec_lo
	v_dual_lshrrev_b32 v70, 27, v70 :: v_dual_lshrrev_b32 v71, 24, v71
	s_delay_alu instid0(VALU_DEP_1) | instskip(NEXT) | instid1(VALU_DEP_1)
	v_dual_add_nc_u32 v70, v98, v70 :: v_dual_add_nc_u32 v71, v87, v71
	v_dual_ashrrev_i32 v99, 5, v70 :: v_dual_ashrrev_i32 v101, 8, v71
	s_delay_alu instid0(VALU_DEP_1) | instskip(NEXT) | instid1(VALU_DEP_1)
	v_sub_nc_u32_e32 v100, v101, v99
	v_cmpx_lt_i32_e32 0, v100
	s_cbranch_execz .LBB2_654
; %bb.651:                              ;   in Loop: Header=BB2_567 Depth=1
	v_and_b32_e32 v70, 0x7fffffe0, v70
	v_mov_b64_e32 v[80:81], v[68:69]
	v_mov_b64_e32 v[82:83], v[66:67]
	s_mov_b32 s20, 0
	s_delay_alu instid0(VALU_DEP_3) | instskip(NEXT) | instid1(VALU_DEP_1)
	v_dual_lshlrev_b32 v71, 8, v99 :: v_dual_sub_nc_u32 v70, v98, v70
	v_lshlrev_b32_e32 v70, 1, v70
	s_delay_alu instid0(VALU_DEP_1) | instskip(NEXT) | instid1(VALU_DEP_1)
	v_add3_u32 v70, v70, v97, v71
	v_ashrrev_i32_e32 v71, 31, v70
.LBB2_652:                              ;   Parent Loop BB2_567 Depth=1
                                        ; =>  This Inner Loop Header: Depth=2
	s_delay_alu instid0(VALU_DEP_1)
	v_add_nc_u64_e32 v[102:103], v[70:71], v[82:83]
	v_sub_nc_u32_e32 v100, v100, v12
	v_add_nc_u64_e32 v[82:83], v[82:83], v[38:39]
	s_clause 0x3
	flat_load_u16 v112, v[102:103] th:TH_LOAD_NT
	flat_load_u16 v113, v[102:103] offset:64 th:TH_LOAD_NT
	flat_load_u16 v114, v[102:103] offset:128 th:TH_LOAD_NT
	flat_load_u16 v115, v[102:103] offset:192 th:TH_LOAD_NT
	s_wait_xcnt 0x0
	v_add_nc_u64_e32 v[102:103], v[70:71], v[80:81]
	v_cmp_gt_i32_e32 vcc_lo, 1, v100
	v_add_nc_u64_e32 v[80:81], v[80:81], v[38:39]
	s_wait_loadcnt_dscnt 0x303
	flat_store_b16 v[102:103], v112 th:TH_STORE_NT
	s_wait_loadcnt_dscnt 0x203
	flat_store_b16 v[102:103], v113 offset:64 th:TH_STORE_NT
	s_wait_loadcnt_dscnt 0x103
	flat_store_b16 v[102:103], v114 offset:128 th:TH_STORE_NT
	;; [unrolled: 2-line block ×3, first 2 shown]
	s_or_b32 s20, vcc_lo, s20
	s_wait_xcnt 0x0
	s_and_not1_b32 exec_lo, exec_lo, s20
	s_cbranch_execnz .LBB2_652
; %bb.653:                              ;   in Loop: Header=BB2_567 Depth=1
	s_or_b32 exec_lo, exec_lo, s20
.LBB2_654:                              ;   in Loop: Header=BB2_567 Depth=1
	s_delay_alu instid0(SALU_CYCLE_1) | instskip(SKIP_1) | instid1(VALU_DEP_1)
	s_or_b32 exec_lo, exec_lo, s19
	v_lshlrev_b32_e32 v70, 8, v101
	v_cmp_ne_u32_e32 vcc_lo, v87, v70
	s_and_b32 exec_lo, exec_lo, vcc_lo
	s_cbranch_execz .LBB2_658
; %bb.655:                              ;   in Loop: Header=BB2_567 Depth=1
	v_dual_lshlrev_b32 v71, 5, v99 :: v_dual_lshlrev_b32 v80, 5, v100
	s_delay_alu instid0(VALU_DEP_1) | instskip(NEXT) | instid1(VALU_DEP_1)
	v_sub_nc_u32_e32 v71, v98, v71
	v_sub_nc_u32_e32 v71, v71, v80
	s_delay_alu instid0(VALU_DEP_1) | instskip(NEXT) | instid1(VALU_DEP_1)
	v_ashrrev_i32_e32 v80, 31, v71
	v_lshrrev_b32_e32 v80, 27, v80
	s_delay_alu instid0(VALU_DEP_1) | instskip(NEXT) | instid1(VALU_DEP_1)
	v_add_nc_u32_e32 v80, v71, v80
	v_and_b32_e32 v81, 0x7fffffe0, v80
	s_delay_alu instid0(VALU_DEP_1) | instskip(NEXT) | instid1(VALU_DEP_1)
	v_dual_lshlrev_b32 v80, 1, v80 :: v_dual_sub_nc_u32 v71, v71, v81
	v_and_b32_e32 v80, 0xffffffc0, v80
	s_delay_alu instid0(VALU_DEP_2) | instskip(NEXT) | instid1(VALU_DEP_1)
	v_lshlrev_b32_e32 v71, 1, v71
	v_add3_u32 v70, v80, v71, v70
	s_delay_alu instid0(VALU_DEP_1) | instskip(NEXT) | instid1(VALU_DEP_1)
	v_sub_nc_u32_e32 v80, v87, v70
	v_cmp_lt_i32_e32 vcc_lo, 1, v80
	s_and_b32 exec_lo, exec_lo, vcc_lo
	s_cbranch_execz .LBB2_658
; %bb.656:                              ;   in Loop: Header=BB2_567 Depth=1
	v_add_nc_u32_e32 v70, v70, v97
	s_mov_b32 s19, 0
	s_delay_alu instid0(VALU_DEP_1)
	v_ashrrev_i32_e32 v71, 31, v70
.LBB2_657:                              ;   Parent Loop BB2_567 Depth=1
                                        ; =>  This Inner Loop Header: Depth=2
	s_delay_alu instid0(VALU_DEP_1) | instskip(SKIP_1) | instid1(VALU_DEP_1)
	v_add_nc_u64_e32 v[82:83], v[66:67], v[70:71]
	v_sub_nc_u32_e32 v80, v80, v48
	v_cmp_gt_i32_e32 vcc_lo, 2, v80
	flat_load_u16 v81, v[82:83] th:TH_LOAD_NT
	s_wait_xcnt 0x0
	v_add_nc_u64_e32 v[82:83], v[68:69], v[70:71]
	v_add_nc_u64_e32 v[70:71], v[70:71], v[48:49]
	s_or_b32 s19, vcc_lo, s19
	s_wait_loadcnt_dscnt 0x0
	flat_store_b16 v[82:83], v81 th:TH_STORE_NT
	s_wait_xcnt 0x0
	s_and_not1_b32 exec_lo, exec_lo, s19
	s_cbranch_execnz .LBB2_657
.LBB2_658:                              ;   in Loop: Header=BB2_567 Depth=1
	s_or_b32 exec_lo, exec_lo, s10
	v_cmp_ne_u32_e64 s10, 0, v10
	s_and_saveexec_b32 s19, s2
	s_cbranch_execz .LBB2_677
.LBB2_659:                              ;   in Loop: Header=BB2_567 Depth=1
	s_and_saveexec_b32 s20, s3
	s_delay_alu instid0(SALU_CYCLE_1)
	s_xor_b32 s20, exec_lo, s20
	s_cbranch_execz .LBB2_674
; %bb.660:                              ;   in Loop: Header=BB2_567 Depth=1
	s_and_saveexec_b32 s21, s4
	s_cbranch_execz .LBB2_673
; %bb.661:                              ;   in Loop: Header=BB2_567 Depth=1
	s_mov_b32 s23, exec_lo
	s_mov_b32 s22, exec_lo
	v_mbcnt_lo_u32_b32 v10, s23, 0
	global_wb scope:SCOPE_DEV
	s_wait_storecnt 0x0
	s_wait_loadcnt_dscnt 0x0
	global_inv scope:SCOPE_DEV
	v_cmpx_eq_u32_e32 0, v10
	s_cbranch_execz .LBB2_663
; %bb.662:                              ;   in Loop: Header=BB2_567 Depth=1
	s_bcnt1_i32_b32 s23, s23
	s_delay_alu instid0(SALU_CYCLE_1)
	v_mov_b32_e32 v10, s23
	s_wait_loadcnt 0x0
	ds_add_u64 v0, v[10:11]
	s_trap 2
.LBB2_663:                              ;   in Loop: Header=BB2_567 Depth=1
	s_or_b32 exec_lo, exec_lo, s22
	s_trap 2
	ds_load_b64 v[66:67], v0
	s_wait_dscnt 0x0
	v_add_nc_u64_e32 v[28:29], v[28:29], v[12:13]
	s_mov_b32 s22, exec_lo
	s_delay_alu instid0(VALU_DEP_1)
	v_cmpx_lt_u64_e64 v[66:67], v[28:29]
	s_cbranch_execz .LBB2_672
; %bb.664:                              ;   in Loop: Header=BB2_567 Depth=1
	s_mov_b32 s23, 0
	s_mov_b32 s26, 0
                                        ; implicit-def: $sgpr24
                                        ; implicit-def: $sgpr25
	s_branch .LBB2_666
.LBB2_665:                              ;   in Loop: Header=BB2_666 Depth=2
	s_or_b32 exec_lo, exec_lo, s28
	s_delay_alu instid0(SALU_CYCLE_1) | instskip(NEXT) | instid1(SALU_CYCLE_1)
	s_and_b32 s27, exec_lo, s29
	s_or_b32 s23, s27, s23
	s_and_not1_b32 s24, s24, exec_lo
	s_and_b32 s27, s25, exec_lo
	s_delay_alu instid0(SALU_CYCLE_1)
	s_or_b32 s24, s24, s27
	s_and_not1_b32 exec_lo, exec_lo, s23
	s_cbranch_execz .LBB2_670
.LBB2_666:                              ;   Parent Loop BB2_567 Depth=1
                                        ; =>  This Inner Loop Header: Depth=2
	s_add_co_i32 s26, s26, 1
	s_delay_alu instid0(SALU_CYCLE_1) | instskip(SKIP_1) | instid1(SALU_CYCLE_1)
	s_cmp_lg_u32 s26, 0x2710
	s_cselect_b32 s27, -1, 0
	s_and_b32 vcc_lo, exec_lo, s27
	s_cbranch_vccz .LBB2_668
; %bb.667:                              ;   in Loop: Header=BB2_666 Depth=2
	s_mov_b32 s29, -1
	s_or_b32 s25, s25, exec_lo
	s_and_saveexec_b32 s28, s27
	s_cbranch_execz .LBB2_665
	s_branch .LBB2_669
.LBB2_668:                              ;   in Loop: Header=BB2_666 Depth=2
	s_trap 2
	ds_load_b64 v[66:67], v0
	s_and_not1_b32 s27, s27, exec_lo
	s_mov_b32 s26, 0
	s_wait_loadcnt_dscnt 0x0
	flat_load_b32 v10, v[66:67] scope:SCOPE_SYS
	s_wait_loadcnt_dscnt 0x0
	global_inv scope:SCOPE_SYS
	v_cmp_eq_u32_e32 vcc_lo, 0, v10
	s_and_b32 s28, vcc_lo, exec_lo
	s_delay_alu instid0(SALU_CYCLE_1)
	s_or_b32 s27, s27, s28
	s_mov_b32 s29, -1
	s_or_b32 s25, s25, exec_lo
	s_and_saveexec_b32 s28, s27
	s_cbranch_execz .LBB2_665
.LBB2_669:                              ;   in Loop: Header=BB2_666 Depth=2
	s_sleep 1
	s_trap 2
	ds_load_b64 v[66:67], v0
	s_wait_dscnt 0x0
	s_and_not1_b32 s25, s25, exec_lo
	v_cmp_ge_u64_e32 vcc_lo, v[66:67], v[28:29]
	s_or_not1_b32 s29, vcc_lo, exec_lo
	s_branch .LBB2_665
.LBB2_670:                              ;   in Loop: Header=BB2_567 Depth=1
	s_or_b32 exec_lo, exec_lo, s23
	s_and_saveexec_b32 s23, s24
	s_delay_alu instid0(SALU_CYCLE_1)
	s_xor_b32 s23, exec_lo, s23
	s_cbranch_execz .LBB2_672
; %bb.671:                              ;   in Loop: Header=BB2_567 Depth=1
	ds_store_b32 v0, v86
	s_trap 2
.LBB2_672:                              ;   in Loop: Header=BB2_567 Depth=1
	s_or_b32 exec_lo, exec_lo, s22
	;;#ASMSTART
	s_wakeup
	;;#ASMEND
.LBB2_673:                              ;   in Loop: Header=BB2_567 Depth=1
	s_or_b32 exec_lo, exec_lo, s21
.LBB2_674:                              ;   in Loop: Header=BB2_567 Depth=1
	s_and_not1_saveexec_b32 s20, s20
	s_cbranch_execz .LBB2_676
; %bb.675:                              ;   in Loop: Header=BB2_567 Depth=1
	global_wb scope:SCOPE_DEV
	s_wait_storecnt 0x0
	s_wait_loadcnt_dscnt 0x0
	global_inv scope:SCOPE_DEV
	s_barrier_signal -1
	s_barrier_wait -1
.LBB2_676:                              ;   in Loop: Header=BB2_567 Depth=1
	s_or_b32 exec_lo, exec_lo, s20
.LBB2_677:                              ;   in Loop: Header=BB2_567 Depth=1
	s_delay_alu instid0(SALU_CYCLE_1) | instskip(SKIP_1) | instid1(VALU_DEP_1)
	s_or_b32 exec_lo, exec_lo, s19
	v_and_b32_e32 v10, 16, v30
	v_cmp_ne_u32_e32 vcc_lo, 0, v10
	s_and_b32 s19, vcc_lo, s10
	s_delay_alu instid0(SALU_CYCLE_1)
	s_and_saveexec_b32 s10, s19
	s_cbranch_execz .LBB2_679
; %bb.678:                              ;   in Loop: Header=BB2_567 Depth=1
	global_wb scope:SCOPE_SYS
	s_wait_storecnt 0x0
	s_wait_loadcnt_dscnt 0x0
	global_inv scope:SCOPE_SYS
.LBB2_679:                              ;   in Loop: Header=BB2_567 Depth=1
	s_or_b32 exec_lo, exec_lo, s10
	s_delay_alu instid0(SALU_CYCLE_1)
	s_mov_b32 s10, exec_lo
	v_cmpx_ne_u32_e32 0, v10
	s_cbranch_execz .LBB2_683
; %bb.680:                              ;   in Loop: Header=BB2_567 Depth=1
	s_and_saveexec_b32 s19, s7
	s_cbranch_execz .LBB2_682
; %bb.681:                              ;   in Loop: Header=BB2_567 Depth=1
	global_wb scope:SCOPE_SYS
	s_wait_storecnt 0x0
	s_wait_loadcnt_dscnt 0x0
	flat_store_b32 v[36:37], v86 scope:SCOPE_SYS
.LBB2_682:                              ;   in Loop: Header=BB2_567 Depth=1
	s_wait_xcnt 0x0
	s_or_b32 exec_lo, exec_lo, s19
	v_add_nc_u64_e32 v[8:9], 1, v[8:9]
	global_wb scope:SCOPE_SYS
	s_wait_storecnt 0x0
	s_wait_loadcnt_dscnt 0x0
	flat_store_b64 v[22:23], v[8:9] scope:SCOPE_SYS
.LBB2_683:                              ;   in Loop: Header=BB2_567 Depth=1
	s_wait_xcnt 0x0
	s_or_b32 exec_lo, exec_lo, s10
	v_mov_b32_e32 v10, v65
.LBB2_684:                              ;   in Loop: Header=BB2_567 Depth=1
	s_or_b32 exec_lo, exec_lo, s18
	s_and_saveexec_b32 s18, s17
	s_cbranch_execz .LBB2_566
; %bb.685:                              ;   in Loop: Header=BB2_567 Depth=1
	s_delay_alu instid0(VALU_DEP_1) | instskip(SKIP_2) | instid1(VALU_DEP_2)
	v_sub_nc_u32_e32 v10, v64, v10
	v_and_b32_e32 v66, 8, v30
	s_mov_b32 s17, exec_lo
	v_min_i32_e32 v64, v65, v10
	s_delay_alu instid0(VALU_DEP_2)
	v_cmpx_ne_u32_e32 0, v66
	s_cbranch_execz .LBB2_707
; %bb.686:                              ;   in Loop: Header=BB2_567 Depth=1
	s_wait_loadcnt 0x0
	v_add_nc_u64_e32 v[68:69], 8, v[32:33]
	v_add_nc_u64_e32 v[66:67], 1, v[8:9]
	s_mov_b32 s19, exec_lo
	s_delay_alu instid0(VALU_DEP_1)
	v_cmpx_lt_u64_e64 v[68:69], v[66:67]
	s_cbranch_execz .LBB2_698
; %bb.687:                              ;   in Loop: Header=BB2_567 Depth=1
	v_and_b32_e32 v9, 64, v30
	s_mov_b32 s20, 0
	s_mov_b32 s24, 0
                                        ; implicit-def: $sgpr21
                                        ; implicit-def: $sgpr22
                                        ; implicit-def: $sgpr23
	s_delay_alu instid0(VALU_DEP_1)
	v_cmp_eq_u32_e32 vcc_lo, 0, v9
	s_branch .LBB2_691
.LBB2_688:                              ;   in Loop: Header=BB2_691 Depth=2
	s_wait_loadcnt_dscnt 0x0
	v_add_nc_u64_e32 v[68:69], 8, v[32:33]
	s_or_b32 s27, s27, exec_lo
	s_delay_alu instid0(VALU_DEP_1)
	v_cmp_ge_u64_e64 s10, v[68:69], v[66:67]
	s_or_not1_b32 s26, s10, exec_lo
.LBB2_689:                              ;   in Loop: Header=BB2_691 Depth=2
	s_or_b32 exec_lo, exec_lo, s29
	s_delay_alu instid0(SALU_CYCLE_1)
	s_and_not1_b32 s10, s23, exec_lo
	s_and_b32 s23, s27, exec_lo
	s_and_not1_b32 s22, s22, exec_lo
	s_and_b32 s26, s26, exec_lo
	s_or_b32 s23, s10, s23
	s_or_b32 s22, s22, s26
.LBB2_690:                              ;   in Loop: Header=BB2_691 Depth=2
	s_or_b32 exec_lo, exec_lo, s25
	s_delay_alu instid0(SALU_CYCLE_1) | instskip(NEXT) | instid1(SALU_CYCLE_1)
	s_and_b32 s10, exec_lo, s22
	s_or_b32 s20, s10, s20
	s_and_not1_b32 s10, s21, exec_lo
	s_and_b32 s21, s23, exec_lo
	s_delay_alu instid0(SALU_CYCLE_1)
	s_or_b32 s21, s10, s21
	s_and_not1_b32 exec_lo, exec_lo, s20
	s_cbranch_execz .LBB2_695
.LBB2_691:                              ;   Parent Loop BB2_567 Depth=1
                                        ; =>  This Inner Loop Header: Depth=2
	s_sleep 1
	s_wait_loadcnt_dscnt 0x0
	flat_load_b64 v[32:33], v[22:23] scope:SCOPE_SYS
	s_or_b32 s23, s23, exec_lo
	s_or_b32 s22, s22, exec_lo
                                        ; implicit-def: $vgpr9
	s_wait_xcnt 0x0
	s_and_saveexec_b32 s25, vcc_lo
	s_cbranch_execz .LBB2_690
; %bb.692:                              ;   in Loop: Header=BB2_691 Depth=2
	s_cmp_lt_i32 s24, 0x270f
	s_mov_b32 s26, -1
	s_cselect_b32 s28, -1, 0
	s_cmp_gt_i32 s24, 0x270e
	s_cbranch_scc0 .LBB2_694
; %bb.693:                              ;   in Loop: Header=BB2_691 Depth=2
	s_trap 2
	ds_load_b64 v[68:69], v0
	s_and_not1_b32 s24, s28, exec_lo
	s_mov_b32 s27, 0
	s_wait_storecnt 0x0
	s_wait_loadcnt_dscnt 0x0
	flat_load_b32 v9, v[68:69] scope:SCOPE_SYS
	s_wait_loadcnt_dscnt 0x0
	global_inv scope:SCOPE_SYS
	v_cmp_eq_u32_e64 s10, 0, v9
	s_and_b32 s10, s10, exec_lo
	s_delay_alu instid0(SALU_CYCLE_1)
	s_or_b32 s28, s24, s10
	s_mov_b32 s24, 0
	s_and_saveexec_b32 s29, s28
	s_cbranch_execz .LBB2_689
	s_branch .LBB2_688
.LBB2_694:                              ;   in Loop: Header=BB2_691 Depth=2
	s_add_co_i32 s24, s24, 1
	s_mov_b32 s27, -1
                                        ; implicit-def: $vgpr9
	s_and_saveexec_b32 s29, s28
	s_cbranch_execz .LBB2_689
	s_branch .LBB2_688
.LBB2_695:                              ;   in Loop: Header=BB2_567 Depth=1
	s_or_b32 exec_lo, exec_lo, s20
	s_xor_b32 s10, s21, -1
	s_delay_alu instid0(SALU_CYCLE_1) | instskip(NEXT) | instid1(SALU_CYCLE_1)
	s_and_saveexec_b32 s20, s10
	s_xor_b32 s10, exec_lo, s20
	s_cbranch_execz .LBB2_697
; %bb.696:                              ;   in Loop: Header=BB2_567 Depth=1
	v_or_b32_e32 v30, 64, v30
	s_wait_storecnt 0x0
	s_wait_loadcnt_dscnt 0x0
	ds_store_b32 v0, v9
	s_trap 2
.LBB2_697:                              ;   in Loop: Header=BB2_567 Depth=1
	s_or_b32 exec_lo, exec_lo, s10
.LBB2_698:                              ;   in Loop: Header=BB2_567 Depth=1
	s_delay_alu instid0(SALU_CYCLE_1) | instskip(SKIP_4) | instid1(VALU_DEP_2)
	s_or_b32 exec_lo, exec_lo, s19
	v_and_b32_e32 v9, 0x100, v30
	v_and_b32_e32 v10, 7, v8
	s_mov_b32 s19, 0
	;;#ASMSTART
	s_wakeup
	;;#ASMEND
	v_cmp_ne_u32_e32 vcc_lo, 0, v9
                                        ; implicit-def: $vgpr8_vgpr9
	s_and_saveexec_b32 s10, vcc_lo
	s_delay_alu instid0(SALU_CYCLE_1)
	s_xor_b32 s10, exec_lo, s10
	s_cbranch_execz .LBB2_719
; %bb.699:                              ;   in Loop: Header=BB2_567 Depth=1
	v_mad_nc_u64_u32 v[68:69], v10, 24, v[6:7]
	v_ashrrev_i32_e32 v65, 31, v64
	s_mov_b32 s19, -1
	s_mov_b32 s20, exec_lo
	s_delay_alu instid0(VALU_DEP_1)
	v_lshlrev_b64_e32 v[8:9], 1, v[64:65]
	s_clause 0x1
	flat_load_b32 v70, v[68:69]
	flat_store_b64 v[68:69], v[8:9] offset:8
                                        ; implicit-def: $vgpr8_vgpr9
	s_wait_loadcnt_dscnt 0x1
	v_cmpx_eq_u32_e32 1, v70
	s_cbranch_execz .LBB2_701
; %bb.700:                              ;   in Loop: Header=BB2_567 Depth=1
	flat_load_b32 v8, v[68:69] offset:4 scope:SCOPE_SYS
	s_xor_b32 s19, exec_lo, -1
	s_wait_loadcnt_dscnt 0x0
	v_ashrrev_i32_e32 v9, 31, v8
	s_delay_alu instid0(VALU_DEP_1)
	v_lshrrev_b64 v[8:9], 1, v[8:9]
.LBB2_701:                              ;   in Loop: Header=BB2_567 Depth=1
	s_wait_xcnt 0x0
	s_or_b32 exec_lo, exec_lo, s20
	s_delay_alu instid0(SALU_CYCLE_1)
	s_and_b32 s19, s19, exec_lo
	s_and_not1_saveexec_b32 s10, s10
	s_cbranch_execnz .LBB2_720
.LBB2_702:                              ;   in Loop: Header=BB2_567 Depth=1
	s_or_b32 exec_lo, exec_lo, s10
	s_and_saveexec_b32 s10, s19
.LBB2_703:                              ;   in Loop: Header=BB2_567 Depth=1
	v_mul_u64_e32 v[8:9], v[10:11], v[24:25]
.LBB2_704:                              ;   in Loop: Header=BB2_567 Depth=1
	s_or_b32 exec_lo, exec_lo, s10
	v_and_b32_e32 v10, 0x2000, v30
	s_delay_alu instid0(VALU_DEP_2)
	v_lshl_add_u64 v[8:9], v[8:9], 1, v[26:27]
	s_mov_b32 s10, exec_lo
	ds_store_b64 v0, v[8:9] offset:784
	v_cmpx_ne_u32_e32 0, v10
	s_cbranch_execz .LBB2_706
; %bb.705:                              ;   in Loop: Header=BB2_567 Depth=1
	ds_load_b64 v[8:9], v0 offset:872
	s_wait_dscnt 0x0
	v_add_nc_u64_e32 v[8:9], 1, v[8:9]
	ds_store_b64 v0, v[8:9] offset:872
.LBB2_706:                              ;   in Loop: Header=BB2_567 Depth=1
	s_or_b32 exec_lo, exec_lo, s10
	v_mov_b64_e32 v[8:9], v[66:67]
.LBB2_707:                              ;   in Loop: Header=BB2_567 Depth=1
	s_or_b32 exec_lo, exec_lo, s17
	s_and_saveexec_b32 s10, s2
	s_cbranch_execz .LBB2_728
; %bb.708:                              ;   in Loop: Header=BB2_567 Depth=1
	s_and_saveexec_b32 s17, s3
	s_delay_alu instid0(SALU_CYCLE_1)
	s_xor_b32 s17, exec_lo, s17
	s_cbranch_execz .LBB2_725
; %bb.709:                              ;   in Loop: Header=BB2_567 Depth=1
	s_and_saveexec_b32 s19, s4
	s_cbranch_execz .LBB2_724
; %bb.710:                              ;   in Loop: Header=BB2_567 Depth=1
	s_mov_b32 s21, exec_lo
	s_mov_b32 s20, exec_lo
	v_mbcnt_lo_u32_b32 v10, s21, 0
	global_wb scope:SCOPE_DEV
	s_wait_storecnt 0x0
	s_wait_loadcnt_dscnt 0x0
	global_inv scope:SCOPE_DEV
	v_cmpx_eq_u32_e32 0, v10
	s_cbranch_execz .LBB2_712
; %bb.711:                              ;   in Loop: Header=BB2_567 Depth=1
	s_bcnt1_i32_b32 s21, s21
	s_delay_alu instid0(SALU_CYCLE_1)
	v_mov_b32_e32 v10, s21
	s_wait_loadcnt 0x0
	ds_add_u64 v0, v[10:11]
	s_trap 2
.LBB2_712:                              ;   in Loop: Header=BB2_567 Depth=1
	s_or_b32 exec_lo, exec_lo, s20
	s_trap 2
	ds_load_b64 v[66:67], v0
	s_wait_dscnt 0x0
	v_add_nc_u64_e32 v[28:29], v[28:29], v[12:13]
	s_mov_b32 s20, exec_lo
	s_delay_alu instid0(VALU_DEP_1)
	v_cmpx_lt_u64_e64 v[66:67], v[28:29]
	s_cbranch_execz .LBB2_723
; %bb.713:                              ;   in Loop: Header=BB2_567 Depth=1
	s_mov_b32 s21, 0
	s_mov_b32 s24, 0
                                        ; implicit-def: $sgpr22
                                        ; implicit-def: $sgpr23
	s_branch .LBB2_715
.LBB2_714:                              ;   in Loop: Header=BB2_715 Depth=2
	s_or_b32 exec_lo, exec_lo, s26
	s_delay_alu instid0(SALU_CYCLE_1) | instskip(NEXT) | instid1(SALU_CYCLE_1)
	s_and_b32 s25, exec_lo, s27
	s_or_b32 s21, s25, s21
	s_and_not1_b32 s22, s22, exec_lo
	s_and_b32 s25, s23, exec_lo
	s_delay_alu instid0(SALU_CYCLE_1)
	s_or_b32 s22, s22, s25
	s_and_not1_b32 exec_lo, exec_lo, s21
	s_cbranch_execz .LBB2_721
.LBB2_715:                              ;   Parent Loop BB2_567 Depth=1
                                        ; =>  This Inner Loop Header: Depth=2
	s_add_co_i32 s24, s24, 1
	s_delay_alu instid0(SALU_CYCLE_1) | instskip(SKIP_1) | instid1(SALU_CYCLE_1)
	s_cmp_lg_u32 s24, 0x2710
	s_cselect_b32 s25, -1, 0
	s_and_b32 vcc_lo, exec_lo, s25
	s_cbranch_vccz .LBB2_717
; %bb.716:                              ;   in Loop: Header=BB2_715 Depth=2
	s_mov_b32 s27, -1
	s_or_b32 s23, s23, exec_lo
	s_and_saveexec_b32 s26, s25
	s_cbranch_execz .LBB2_714
	s_branch .LBB2_718
.LBB2_717:                              ;   in Loop: Header=BB2_715 Depth=2
	s_trap 2
	ds_load_b64 v[66:67], v0
	s_and_not1_b32 s25, s25, exec_lo
	s_mov_b32 s24, 0
	s_wait_loadcnt_dscnt 0x0
	flat_load_b32 v10, v[66:67] scope:SCOPE_SYS
	s_wait_loadcnt_dscnt 0x0
	global_inv scope:SCOPE_SYS
	v_cmp_eq_u32_e32 vcc_lo, 0, v10
	s_and_b32 s26, vcc_lo, exec_lo
	s_delay_alu instid0(SALU_CYCLE_1)
	s_or_b32 s25, s25, s26
	s_mov_b32 s27, -1
	s_or_b32 s23, s23, exec_lo
	s_and_saveexec_b32 s26, s25
	s_cbranch_execz .LBB2_714
.LBB2_718:                              ;   in Loop: Header=BB2_715 Depth=2
	s_sleep 1
	s_trap 2
	ds_load_b64 v[66:67], v0
	s_wait_dscnt 0x0
	s_and_not1_b32 s23, s23, exec_lo
	v_cmp_ge_u64_e32 vcc_lo, v[66:67], v[28:29]
	s_or_not1_b32 s27, vcc_lo, exec_lo
	s_branch .LBB2_714
.LBB2_719:                              ;   in Loop: Header=BB2_567 Depth=1
	s_and_not1_saveexec_b32 s10, s10
	s_cbranch_execz .LBB2_702
.LBB2_720:                              ;   in Loop: Header=BB2_567 Depth=1
	s_or_b32 s19, s19, exec_lo
	s_or_b32 exec_lo, exec_lo, s10
	s_and_saveexec_b32 s10, s19
	s_cbranch_execnz .LBB2_703
	s_branch .LBB2_704
.LBB2_721:                              ;   in Loop: Header=BB2_567 Depth=1
	s_or_b32 exec_lo, exec_lo, s21
	s_and_saveexec_b32 s21, s22
	s_delay_alu instid0(SALU_CYCLE_1)
	s_xor_b32 s21, exec_lo, s21
	s_cbranch_execz .LBB2_723
; %bb.722:                              ;   in Loop: Header=BB2_567 Depth=1
	ds_store_b32 v0, v86
	s_trap 2
.LBB2_723:                              ;   in Loop: Header=BB2_567 Depth=1
	s_or_b32 exec_lo, exec_lo, s20
	;;#ASMSTART
	s_wakeup
	;;#ASMEND
.LBB2_724:                              ;   in Loop: Header=BB2_567 Depth=1
	s_or_b32 exec_lo, exec_lo, s19
.LBB2_725:                              ;   in Loop: Header=BB2_567 Depth=1
	s_and_not1_saveexec_b32 s17, s17
	s_cbranch_execz .LBB2_727
; %bb.726:                              ;   in Loop: Header=BB2_567 Depth=1
	global_wb scope:SCOPE_DEV
	s_wait_storecnt 0x0
	s_wait_loadcnt_dscnt 0x0
	global_inv scope:SCOPE_DEV
	s_barrier_signal -1
	s_barrier_wait -1
.LBB2_727:                              ;   in Loop: Header=BB2_567 Depth=1
	s_or_b32 exec_lo, exec_lo, s17
.LBB2_728:                              ;   in Loop: Header=BB2_567 Depth=1
	s_delay_alu instid0(SALU_CYCLE_1)
	s_or_b32 exec_lo, exec_lo, s10
	s_trap 2
	ds_load_b32 v10, v0
	v_cmp_lt_i32_e32 vcc_lo, 0, v64
	s_wait_dscnt 0x0
	v_readfirstlane_b32 s10, v10
	v_and_b32_e32 v10, 16, v30
	s_cmp_eq_u32 s10, 0
	s_delay_alu instid0(VALU_DEP_1) | instskip(SKIP_1) | instid1(SALU_CYCLE_1)
	v_cmp_ne_u32_e64 s10, 0, v10
	s_cselect_b32 s17, -1, 0
	s_and_b32 s17, vcc_lo, s17
	s_delay_alu instid0(SALU_CYCLE_1) | instskip(NEXT) | instid1(SALU_CYCLE_1)
	s_and_b32 s17, s10, s17
	s_and_saveexec_b32 s10, s17
	s_cbranch_execz .LBB2_730
; %bb.729:                              ;   in Loop: Header=BB2_567 Depth=1
	global_wb scope:SCOPE_SYS
	s_wait_loadcnt 0x0
	s_wait_storecnt 0x0
	global_inv scope:SCOPE_SYS
.LBB2_730:                              ;   in Loop: Header=BB2_567 Depth=1
	s_or_b32 exec_lo, exec_lo, s10
	s_delay_alu instid0(SALU_CYCLE_1)
	s_mov_b32 s10, exec_lo
	v_cmpx_ne_u32_e32 0, v10
	s_cbranch_execz .LBB2_565
; %bb.731:                              ;   in Loop: Header=BB2_567 Depth=1
	s_and_saveexec_b32 s17, s7
	s_cbranch_execz .LBB2_564
; %bb.732:                              ;   in Loop: Header=BB2_567 Depth=1
	global_wb scope:SCOPE_SYS
	s_wait_loadcnt 0x0
	s_wait_storecnt 0x0
	flat_store_b32 v[36:37], v86 scope:SCOPE_SYS
	s_branch .LBB2_564
.LBB2_733:
	s_or_b32 exec_lo, exec_lo, s13
.LBB2_734:
	s_delay_alu instid0(SALU_CYCLE_1)
	s_or_b32 exec_lo, exec_lo, s12
.LBB2_735:
	s_delay_alu instid0(SALU_CYCLE_1) | instskip(SKIP_2) | instid1(VALU_DEP_1)
	s_or_b32 exec_lo, exec_lo, s11
	v_and_b32_e32 v0, 0x800, v30
	s_mov_b32 s1, exec_lo
	v_cmpx_eq_u32_e32 0, v0
	s_cbranch_execz .LBB2_768
; %bb.736:
	v_and_b32_e32 v0, 48, v30
	s_mov_b32 s0, exec_lo
	s_delay_alu instid0(VALU_DEP_1)
	v_cmpx_ne_u32_e32 0, v0
	s_cbranch_execz .LBB2_738
; %bb.737:
	s_wait_dscnt 0x0
	flat_store_b64 v[20:21], v[8:9] offset:104
.LBB2_738:
	s_wait_xcnt 0x0
	s_or_b32 exec_lo, exec_lo, s0
	v_and_b32_e32 v0, 0x88, v30
	s_mov_b32 s2, exec_lo
	s_delay_alu instid0(VALU_DEP_1)
	v_cmpx_eq_u32_e32 0x88, v0
	s_cbranch_execz .LBB2_748
; %bb.739:
	s_wait_dscnt 0x0
	v_add_nc_u32_e32 v0, -1, v8
	s_mov_b32 s3, 0
	s_delay_alu instid0(VALU_DEP_1) | instskip(NEXT) | instid1(VALU_DEP_1)
	v_and_b32_e32 v0, 7, v0
	v_mad_nc_u64_u32 v[4:5], v0, 24, v[6:7]
	v_and_b32_e32 v0, 64, v30
	s_delay_alu instid0(VALU_DEP_1)
	v_cmp_eq_u32_e64 s0, 0, v0
	flat_load_b64 v[6:7], v[4:5] offset:8 scope:SCOPE_SYS
	s_wait_loadcnt_dscnt 0x0
	v_cmp_ne_u64_e32 vcc_lo, -1, v[6:7]
	s_and_b32 s0, vcc_lo, s0
	s_wait_xcnt 0x0
	s_and_b32 exec_lo, exec_lo, s0
	s_cbranch_execz .LBB2_748
; %bb.740:
	s_mov_b32 s5, 0
                                        ; implicit-def: $sgpr0
                                        ; implicit-def: $sgpr4
	s_branch .LBB2_743
.LBB2_741:                              ;   in Loop: Header=BB2_743 Depth=1
	flat_load_b64 v[6:7], v[4:5] offset:8 scope:SCOPE_SYS
	s_wait_loadcnt 0x0
	s_and_not1_b32 s4, s4, exec_lo
	s_wait_dscnt 0x0
	v_cmp_eq_u64_e32 vcc_lo, -1, v[6:7]
	s_or_not1_b32 s7, vcc_lo, exec_lo
.LBB2_742:                              ;   in Loop: Header=BB2_743 Depth=1
	s_wait_xcnt 0x0
	s_or_b32 exec_lo, exec_lo, s10
	s_delay_alu instid0(SALU_CYCLE_1) | instskip(NEXT) | instid1(SALU_CYCLE_1)
	s_and_b32 s6, exec_lo, s7
	s_or_b32 s3, s6, s3
	s_and_not1_b32 s0, s0, exec_lo
	s_and_b32 s6, s4, exec_lo
	s_delay_alu instid0(SALU_CYCLE_1)
	s_or_b32 s0, s0, s6
	s_and_not1_b32 exec_lo, exec_lo, s3
	s_cbranch_execz .LBB2_746
.LBB2_743:                              ; =>This Inner Loop Header: Depth=1
	s_cmp_lt_i32 s5, 0x270f
	s_cselect_b32 s6, -1, 0
	s_delay_alu instid0(SALU_CYCLE_1)
	s_and_b32 vcc_lo, exec_lo, s6
	s_cbranch_vccnz .LBB2_745
; %bb.744:                              ;   in Loop: Header=BB2_743 Depth=1
	s_trap 2
	ds_load_b64 v[6:7], v0
	s_and_not1_b32 s6, s6, exec_lo
	s_mov_b32 s5, 0
	s_wait_storecnt_dscnt 0x0
	flat_load_b32 v0, v[6:7] scope:SCOPE_SYS
	s_wait_loadcnt_dscnt 0x0
	global_inv scope:SCOPE_SYS
	v_cmp_eq_u32_e32 vcc_lo, 0, v0
	s_and_b32 s7, vcc_lo, exec_lo
	s_delay_alu instid0(SALU_CYCLE_1)
	s_or_b32 s6, s6, s7
	s_mov_b32 s7, -1
	s_or_b32 s4, s4, exec_lo
	s_wait_xcnt 0x0
	s_and_saveexec_b32 s10, s6
	s_cbranch_execz .LBB2_742
	s_branch .LBB2_741
.LBB2_745:                              ;   in Loop: Header=BB2_743 Depth=1
	s_add_co_i32 s5, s5, 1
                                        ; implicit-def: $vgpr0
	s_mov_b32 s7, -1
	s_or_b32 s4, s4, exec_lo
	s_and_saveexec_b32 s10, s6
	s_cbranch_execz .LBB2_742
	s_branch .LBB2_741
.LBB2_746:
	s_or_b32 exec_lo, exec_lo, s3
	s_and_saveexec_b32 s3, s0
	s_delay_alu instid0(SALU_CYCLE_1)
	s_xor_b32 s3, exec_lo, s3
	s_cbranch_execz .LBB2_748
; %bb.747:
	s_wait_loadcnt 0x0
	s_wait_storecnt 0x0
	ds_store_b32 v0, v0
	s_trap 2
.LBB2_748:
	s_or_b32 exec_lo, exec_lo, s2
	v_and_b32_e32 v0, 0x2000, v30
	s_mov_b32 s0, exec_lo
	s_delay_alu instid0(VALU_DEP_1)
	v_cmpx_ne_u32_e32 0, v0
	s_cbranch_execz .LBB2_750
; %bb.749:
	s_trap 2
	ds_load_b64 v[4:5], v0
	s_wait_dscnt 0x0
	flat_store_b64 v[2:3], v[4:5] offset:16
.LBB2_750:
	s_wait_xcnt 0x0
	s_or_b32 exec_lo, exec_lo, s0
	v_cmp_ne_u32_e32 vcc_lo, 32, v1
	s_and_b32 exec_lo, exec_lo, vcc_lo
	s_cbranch_execz .LBB2_768
; %bb.751:
	s_mov_b32 s0, exec_lo
	v_cmpx_ne_u32_e64 v1, v96
	s_xor_b32 s0, exec_lo, s0
	s_cbranch_execz .LBB2_766
; %bb.752:
	v_and_b32_e32 v0, 31, v31
	s_mov_b32 s2, exec_lo
	s_delay_alu instid0(VALU_DEP_1)
	v_cmpx_eq_u32_e32 0, v0
	s_cbranch_execz .LBB2_765
; %bb.753:
	s_mov_b32 s4, exec_lo
	s_mov_b32 s3, exec_lo
	v_mbcnt_lo_u32_b32 v0, s4, 0
	global_wb scope:SCOPE_DEV
	s_wait_storecnt 0x0
	s_wait_loadcnt_dscnt 0x0
	global_inv scope:SCOPE_DEV
	v_cmpx_eq_u32_e32 0, v0
	s_cbranch_execz .LBB2_755
; %bb.754:
	s_bcnt1_i32_b32 s4, s4
	s_delay_alu instid0(SALU_CYCLE_1)
	v_dual_mov_b32 v3, 0 :: v_dual_mov_b32 v2, s4
	s_wait_loadcnt 0x0
	ds_add_u64 v0, v[2:3]
	s_trap 2
.LBB2_755:
	s_or_b32 exec_lo, exec_lo, s3
	s_trap 2
	ds_load_b64 v[2:3], v0
	s_wait_dscnt 0x0
	v_dual_mov_b32 v1, 0 :: v_dual_lshrrev_b32 v0, 5, v1
	s_mov_b32 s3, exec_lo
	s_delay_alu instid0(VALU_DEP_1) | instskip(NEXT) | instid1(VALU_DEP_1)
	v_add_nc_u64_e32 v[0:1], v[28:29], v[0:1]
	v_cmpx_lt_u64_e64 v[2:3], v[0:1]
	s_cbranch_execz .LBB2_764
; %bb.756:
	s_mov_b32 s4, 0
	s_mov_b32 s7, 0
                                        ; implicit-def: $sgpr5
                                        ; implicit-def: $sgpr6
	s_branch .LBB2_758
.LBB2_757:                              ;   in Loop: Header=BB2_758 Depth=1
	s_or_b32 exec_lo, exec_lo, s11
	s_delay_alu instid0(SALU_CYCLE_1) | instskip(NEXT) | instid1(SALU_CYCLE_1)
	s_and_b32 s10, exec_lo, s12
	s_or_b32 s4, s10, s4
	s_and_not1_b32 s5, s5, exec_lo
	s_and_b32 s10, s6, exec_lo
	s_delay_alu instid0(SALU_CYCLE_1)
	s_or_b32 s5, s5, s10
	s_and_not1_b32 exec_lo, exec_lo, s4
	s_cbranch_execz .LBB2_762
.LBB2_758:                              ; =>This Inner Loop Header: Depth=1
	s_add_co_i32 s7, s7, 1
	s_delay_alu instid0(SALU_CYCLE_1) | instskip(SKIP_1) | instid1(SALU_CYCLE_1)
	s_cmp_lg_u32 s7, 0x2710
	s_cselect_b32 s10, -1, 0
	s_and_b32 vcc_lo, exec_lo, s10
	s_cbranch_vccz .LBB2_760
; %bb.759:                              ;   in Loop: Header=BB2_758 Depth=1
	s_mov_b32 s12, -1
	s_or_b32 s6, s6, exec_lo
	s_and_saveexec_b32 s11, s10
	s_cbranch_execz .LBB2_757
	s_branch .LBB2_761
.LBB2_760:                              ;   in Loop: Header=BB2_758 Depth=1
	s_trap 2
	ds_load_b64 v[2:3], v0
	s_and_not1_b32 s10, s10, exec_lo
	s_mov_b32 s7, 0
	s_wait_loadcnt_dscnt 0x0
	flat_load_b32 v2, v[2:3] scope:SCOPE_SYS
	s_wait_loadcnt_dscnt 0x0
	global_inv scope:SCOPE_SYS
	v_cmp_eq_u32_e32 vcc_lo, 0, v2
	s_and_b32 s11, vcc_lo, exec_lo
	s_delay_alu instid0(SALU_CYCLE_1)
	s_or_b32 s10, s10, s11
	s_mov_b32 s12, -1
	s_or_b32 s6, s6, exec_lo
	s_and_saveexec_b32 s11, s10
	s_cbranch_execz .LBB2_757
.LBB2_761:                              ;   in Loop: Header=BB2_758 Depth=1
	s_sleep 1
	s_trap 2
	ds_load_b64 v[2:3], v0
	s_wait_dscnt 0x0
	s_and_not1_b32 s6, s6, exec_lo
	v_cmp_ge_u64_e32 vcc_lo, v[2:3], v[0:1]
	s_or_not1_b32 s12, vcc_lo, exec_lo
	s_branch .LBB2_757
.LBB2_762:
	s_or_b32 exec_lo, exec_lo, s4
	s_and_saveexec_b32 s4, s5
	s_delay_alu instid0(SALU_CYCLE_1)
	s_xor_b32 s4, exec_lo, s4
	s_cbranch_execz .LBB2_764
; %bb.763:
	v_mov_b32_e32 v0, 1
	ds_store_b32 v0, v0
	s_trap 2
.LBB2_764:
	s_or_b32 exec_lo, exec_lo, s3
	;;#ASMSTART
	s_wakeup
	;;#ASMEND
.LBB2_765:
	s_or_b32 exec_lo, exec_lo, s2
.LBB2_766:
	s_and_not1_saveexec_b32 s0, s0
	s_cbranch_execz .LBB2_768
; %bb.767:
	global_wb scope:SCOPE_DEV
	s_wait_storecnt 0x0
	s_wait_loadcnt_dscnt 0x0
	global_inv scope:SCOPE_DEV
	s_barrier_signal -1
	s_barrier_wait -1
.LBB2_768:
	s_or_b32 exec_lo, exec_lo, s1
.LBB2_769:
	s_and_not1_saveexec_b32 s21, s14
	s_cbranch_execz .LBB2_771
; %bb.770:
	s_get_pc_i64 s[0:1]
	s_add_nc_u64 s[0:1], s[0:1], __PRETTY_FUNCTION__._ZN10PrimitivesI12hip_bfloat1610FuncMinMaxIS0_E12FanSymmetricILi1EELi0E11ProtoSimpleILi1ELi1ELi0ELi1ELi0ELi0EELi0ELb0ELi0ELi0ELi0EEC2EiiPKiS9_PKvPvmhhhP15ncclDevWorkCollP14ncclDevWorkP2pii@rel64+4
	s_get_pc_i64 s[2:3]
	s_add_nc_u64 s[2:3], s[2:3], __assert_fail@rel64+4
	v_dual_mov_b32 v0, s0 :: v_dual_mov_b32 v1, s1
	s_swap_pc_i64 s[30:31], s[2:3]
	; divergent unreachable
.LBB2_771:
	s_or_b32 exec_lo, exec_lo, s21
	scratch_load_b32 v40, off, s33          ; 4-byte Folded Reload
	v_readlane_b32 s30, v41, 0
	v_readlane_b32 s31, v41, 1
	s_mov_b32 s32, s33
	s_wait_xcnt 0x0
	s_or_saveexec_b32 s0, -1
	scratch_load_b32 v41, off, s33 offset:4 ; 4-byte Folded Reload
	s_wait_xcnt 0x0
	s_mov_b32 exec_lo, s0
	s_mov_b32 s33, s43
	s_wait_loadcnt_dscnt 0x0
	s_set_pc_i64 s[30:31]
.Lfunc_end2:
	.size	_ZN12_GLOBAL__N_17runRingI12hip_bfloat1610FuncMinMaxIS1_E11ProtoSimpleILi1ELi1ELi0ELi1ELi0ELi0EELi0ELi1ELi0EEEviiP15ncclDevWorkColl, .Lfunc_end2-_ZN12_GLOBAL__N_17runRingI12hip_bfloat1610FuncMinMaxIS1_E11ProtoSimpleILi1ELi1ELi0ELi1ELi0ELi0EELi0ELi1ELi0EEEviiP15ncclDevWorkColl
                                        ; -- End function
	.set .L_ZN12_GLOBAL__N_17runRingI12hip_bfloat1610FuncMinMaxIS1_E11ProtoSimpleILi1ELi1ELi0ELi1ELi0ELi0EELi0ELi1ELi0EEEviiP15ncclDevWorkColl.num_vgpr, max(118, .L__assert_fail.num_vgpr)
	.set .L_ZN12_GLOBAL__N_17runRingI12hip_bfloat1610FuncMinMaxIS1_E11ProtoSimpleILi1ELi1ELi0ELi1ELi0ELi0EELi0ELi1ELi0EEEviiP15ncclDevWorkColl.num_agpr, max(0, .L__assert_fail.num_agpr)
	.set .L_ZN12_GLOBAL__N_17runRingI12hip_bfloat1610FuncMinMaxIS1_E11ProtoSimpleILi1ELi1ELi0ELi1ELi0ELi0EELi0ELi1ELi0EEEviiP15ncclDevWorkColl.numbered_sgpr, max(44, .L__assert_fail.numbered_sgpr)
	.set .L_ZN12_GLOBAL__N_17runRingI12hip_bfloat1610FuncMinMaxIS1_E11ProtoSimpleILi1ELi1ELi0ELi1ELi0ELi0EELi0ELi1ELi0EEEviiP15ncclDevWorkColl.num_named_barrier, max(0, .L__assert_fail.num_named_barrier)
	.set .L_ZN12_GLOBAL__N_17runRingI12hip_bfloat1610FuncMinMaxIS1_E11ProtoSimpleILi1ELi1ELi0ELi1ELi0ELi0EELi0ELi1ELi0EEEviiP15ncclDevWorkColl.private_seg_size, 16+max(.L__assert_fail.private_seg_size)
	.set .L_ZN12_GLOBAL__N_17runRingI12hip_bfloat1610FuncMinMaxIS1_E11ProtoSimpleILi1ELi1ELi0ELi1ELi0ELi0EELi0ELi1ELi0EEEviiP15ncclDevWorkColl.uses_vcc, or(1, .L__assert_fail.uses_vcc)
	.set .L_ZN12_GLOBAL__N_17runRingI12hip_bfloat1610FuncMinMaxIS1_E11ProtoSimpleILi1ELi1ELi0ELi1ELi0ELi0EELi0ELi1ELi0EEEviiP15ncclDevWorkColl.uses_flat_scratch, or(1, .L__assert_fail.uses_flat_scratch)
	.set .L_ZN12_GLOBAL__N_17runRingI12hip_bfloat1610FuncMinMaxIS1_E11ProtoSimpleILi1ELi1ELi0ELi1ELi0ELi0EELi0ELi1ELi0EEEviiP15ncclDevWorkColl.has_dyn_sized_stack, or(0, .L__assert_fail.has_dyn_sized_stack)
	.set .L_ZN12_GLOBAL__N_17runRingI12hip_bfloat1610FuncMinMaxIS1_E11ProtoSimpleILi1ELi1ELi0ELi1ELi0ELi0EELi0ELi1ELi0EEEviiP15ncclDevWorkColl.has_recursion, or(1, .L__assert_fail.has_recursion)
	.set .L_ZN12_GLOBAL__N_17runRingI12hip_bfloat1610FuncMinMaxIS1_E11ProtoSimpleILi1ELi1ELi0ELi1ELi0ELi0EELi0ELi1ELi0EEEviiP15ncclDevWorkColl.has_indirect_call, or(0, .L__assert_fail.has_indirect_call)
	.section	.AMDGPU.csdata,"",@progbits
; Function info:
; codeLenInByte = 26884
; TotalNumSgprs: 46
; NumVgprs: 118
; ScratchSize: 80
; MemoryBound: 1
	.text
	.p2align	2                               ; -- Begin function _Z48ncclDevFunc_Reduce_RING_SIMPLE_MinMax_bf16_0_0_1v
	.type	_Z48ncclDevFunc_Reduce_RING_SIMPLE_MinMax_bf16_0_0_1v,@function
_Z48ncclDevFunc_Reduce_RING_SIMPLE_MinMax_bf16_0_0_1v: ; @_Z48ncclDevFunc_Reduce_RING_SIMPLE_MinMax_bf16_0_0_1v
; %bb.0:
	s_wait_loadcnt_dscnt 0x0
	s_wait_kmcnt 0x0
	s_mov_b32 s59, s33
	s_mov_b32 s33, s32
	s_or_saveexec_b32 s0, -1
	scratch_store_b32 off, v40, s33 offset:4 ; 4-byte Folded Spill
	s_wait_xcnt 0x0
	s_mov_b32 exec_lo, s0
	s_add_co_i32 s32, s32, 16
	scratch_store_b32 off, v41, s33         ; 4-byte Folded Spill
	v_writelane_b32 v40, s30, 0
	v_writelane_b32 v40, s31, 1
	s_trap 2
	ds_load_b32 v0, v0
	v_mov_b32_e32 v118, v31
	s_mov_b32 s46, s12
	s_mov_b64 s[44:45], s[8:9]
	s_mov_b32 s2, exec_lo
	s_delay_alu instid0(VALU_DEP_1) | instskip(SKIP_2) | instid1(VALU_DEP_1)
	v_and_b32_e32 v119, 0x3ff, v118
	s_wait_dscnt 0x0
	s_wait_xcnt 0x0
	v_cmpx_lt_i32_e64 v119, v0
	s_cbranch_execz .LBB3_5
; %bb.1:
	s_load_b32 s0, s[44:45], 0x0
	s_bfe_u32 s1, ttmp6, 0x4000c
	s_and_b32 s3, ttmp6, 15
	s_add_co_i32 s1, s1, 1
	s_getreg_b32 s4, hwreg(HW_REG_IB_STS2, 6, 4)
	s_mul_i32 s1, ttmp9, s1
	v_mov_b32_e32 v2, v119
	s_add_co_i32 s3, s3, s1
	s_cmp_eq_u32 s4, 0
                                        ; implicit-def: $vgpr3
	s_cselect_b32 s1, ttmp9, s3
	s_mov_b32 s3, 0
	s_wait_kmcnt 0x0
	s_cmp_lt_u32 s1, s0
	s_mov_b32 s1, 0
	s_cselect_b32 s0, 12, 18
	s_delay_alu instid0(SALU_CYCLE_1)
	s_add_nc_u64 s[4:5], s[44:45], s[0:1]
	s_load_u16 s0, s[4:5], 0x0
	s_trap 2
	ds_load_b32 v1, v0
	s_wait_dscnt 0x0
	s_wait_kmcnt 0x0
	v_mul_lo_u32 v1, v1, s0
	s_branch .LBB3_3
.LBB3_2:                                ;   in Loop: Header=BB3_3 Depth=1
	s_or_b32 exec_lo, exec_lo, s4
	v_dual_add_nc_u32 v2, s0, v2 :: v_dual_add_nc_u32 v3, v3, v1
	s_delay_alu instid0(VALU_DEP_1) | instskip(SKIP_1) | instid1(SALU_CYCLE_1)
	v_cmp_ge_i32_e32 vcc_lo, v2, v0
	s_or_b32 s3, vcc_lo, s3
	s_and_not1_b32 exec_lo, exec_lo, s3
	s_cbranch_execz .LBB3_5
.LBB3_3:                                ; =>This Inner Loop Header: Depth=1
	ds_load_b32 v4, v3
	s_mov_b32 s4, exec_lo
	s_wait_dscnt 0x0
	v_and_b32_e32 v4, 0x1000000, v4
	s_delay_alu instid0(VALU_DEP_1)
	v_cmpx_ne_u32_e32 0, v4
	s_cbranch_execz .LBB3_2
; %bb.4:                                ;   in Loop: Header=BB3_3 Depth=1
	ds_load_b64 v[4:5], v3 offset:104
	s_wait_dscnt 0x0
	flat_load_u16 v4, v[4:5]
	s_wait_xcnt 0x0
	v_mov_b32_e32 v5, s1
	s_wait_loadcnt_dscnt 0x0
	v_and_b32_e32 v4, 0xffff, v4
	ds_store_b64 v3, v[4:5] offset:104
	s_branch .LBB3_2
.LBB3_5:
	s_or_b32 exec_lo, exec_lo, s2
	s_wait_storecnt_dscnt 0x0
	s_barrier_signal -1
	s_barrier_wait -1
	s_trap 2
	ds_load_b32 v0, v0
	s_wait_dscnt 0x0
	v_cmp_gt_i32_e32 vcc_lo, 1, v0
	s_cbranch_vccnz .LBB3_13
; %bb.6:
	s_mov_b32 s47, 0
	s_get_pc_i64 s[56:57]
	s_add_nc_u64 s[56:57], s[56:57], _ZN12_GLOBAL__N_17runRingI12hip_bfloat1610FuncMinMaxIS1_E11ProtoSimpleILi1ELi1ELi0ELi1ELi0ELi0EELi0ELi1ELi0EEEviiP15ncclDevWorkColl@rel64+4
	s_branch .LBB3_8
.LBB3_7:                                ;   in Loop: Header=BB3_8 Depth=1
	s_or_b32 exec_lo, exec_lo, s58
	s_trap 2
	ds_load_b32 v0, v0
	s_add_co_i32 s47, s47, 1
	s_wait_dscnt 0x0
	v_cmp_lt_i32_e32 vcc_lo, s47, v0
	s_cbranch_vccz .LBB3_13
.LBB3_8:                                ; =>This Inner Loop Header: Depth=1
	s_trap 2
	ds_load_b32 v0, v0
	s_cmp_eq_u32 s47, 0
	s_cbranch_scc1 .LBB3_11
; %bb.9:                                ;   in Loop: Header=BB3_8 Depth=1
	s_trap 2
	s_wait_dscnt 0x0
	ds_load_b32 v1, v0
	s_wait_dscnt 0x0
	v_xor_b32_e32 v1, v1, v0
	s_delay_alu instid0(VALU_DEP_1) | instskip(NEXT) | instid1(VALU_DEP_1)
	v_and_b32_e32 v1, 0xff0000, v1
	v_cmp_eq_u32_e32 vcc_lo, 0, v1
	s_cbranch_vccnz .LBB3_11
; %bb.10:                               ;   in Loop: Header=BB3_8 Depth=1
	s_barrier_signal -1
	s_barrier_wait -1
	ds_load_b32 v0, v0
.LBB3_11:                               ;   in Loop: Header=BB3_8 Depth=1
	s_wait_dscnt 0x0
	v_lshrrev_b32_e32 v0, 11, v0
	s_mov_b32 s58, exec_lo
	s_delay_alu instid0(VALU_DEP_1) | instskip(NEXT) | instid1(VALU_DEP_1)
	v_and_b32_e32 v1, 0x1fe0, v0
	v_cmpx_lt_u32_e64 v119, v1
	s_cbranch_execz .LBB3_7
; %bb.12:                               ;   in Loop: Header=BB3_8 Depth=1
	s_mov_b64 s[0:1], src_shared_base
	v_dual_mov_b32 v31, v118 :: v_dual_mov_b32 v0, v119
	v_mov_b32_e32 v3, s1
	s_mov_b64 s[8:9], s[44:45]
	s_mov_b32 s12, s46
	s_swap_pc_i64 s[30:31], s[56:57]
	s_branch .LBB3_7
.LBB3_13:
	scratch_load_b32 v41, off, s33          ; 4-byte Folded Reload
	v_readlane_b32 s30, v40, 0
	v_readlane_b32 s31, v40, 1
	s_mov_b32 s32, s33
	s_wait_xcnt 0x0
	s_or_saveexec_b32 s0, -1
	scratch_load_b32 v40, off, s33 offset:4 ; 4-byte Folded Reload
	s_wait_xcnt 0x0
	s_mov_b32 exec_lo, s0
	s_mov_b32 s33, s59
	s_wait_loadcnt 0x0
	s_set_pc_i64 s[30:31]
.Lfunc_end3:
	.size	_Z48ncclDevFunc_Reduce_RING_SIMPLE_MinMax_bf16_0_0_1v, .Lfunc_end3-_Z48ncclDevFunc_Reduce_RING_SIMPLE_MinMax_bf16_0_0_1v
                                        ; -- End function
	.set .L_Z48ncclDevFunc_Reduce_RING_SIMPLE_MinMax_bf16_0_0_1v.num_vgpr, max(120, .L_ZN12_GLOBAL__N_17runRingI12hip_bfloat1610FuncMinMaxIS1_E11ProtoSimpleILi1ELi1ELi0ELi1ELi0ELi0EELi0ELi1ELi0EEEviiP15ncclDevWorkColl.num_vgpr)
	.set .L_Z48ncclDevFunc_Reduce_RING_SIMPLE_MinMax_bf16_0_0_1v.num_agpr, max(0, .L_ZN12_GLOBAL__N_17runRingI12hip_bfloat1610FuncMinMaxIS1_E11ProtoSimpleILi1ELi1ELi0ELi1ELi0ELi0EELi0ELi1ELi0EEEviiP15ncclDevWorkColl.num_agpr)
	.set .L_Z48ncclDevFunc_Reduce_RING_SIMPLE_MinMax_bf16_0_0_1v.numbered_sgpr, max(60, .L_ZN12_GLOBAL__N_17runRingI12hip_bfloat1610FuncMinMaxIS1_E11ProtoSimpleILi1ELi1ELi0ELi1ELi0ELi0EELi0ELi1ELi0EEEviiP15ncclDevWorkColl.numbered_sgpr)
	.set .L_Z48ncclDevFunc_Reduce_RING_SIMPLE_MinMax_bf16_0_0_1v.num_named_barrier, max(0, .L_ZN12_GLOBAL__N_17runRingI12hip_bfloat1610FuncMinMaxIS1_E11ProtoSimpleILi1ELi1ELi0ELi1ELi0ELi0EELi0ELi1ELi0EEEviiP15ncclDevWorkColl.num_named_barrier)
	.set .L_Z48ncclDevFunc_Reduce_RING_SIMPLE_MinMax_bf16_0_0_1v.private_seg_size, 16+max(.L_ZN12_GLOBAL__N_17runRingI12hip_bfloat1610FuncMinMaxIS1_E11ProtoSimpleILi1ELi1ELi0ELi1ELi0ELi0EELi0ELi1ELi0EEEviiP15ncclDevWorkColl.private_seg_size)
	.set .L_Z48ncclDevFunc_Reduce_RING_SIMPLE_MinMax_bf16_0_0_1v.uses_vcc, or(1, .L_ZN12_GLOBAL__N_17runRingI12hip_bfloat1610FuncMinMaxIS1_E11ProtoSimpleILi1ELi1ELi0ELi1ELi0ELi0EELi0ELi1ELi0EEEviiP15ncclDevWorkColl.uses_vcc)
	.set .L_Z48ncclDevFunc_Reduce_RING_SIMPLE_MinMax_bf16_0_0_1v.uses_flat_scratch, or(0, .L_ZN12_GLOBAL__N_17runRingI12hip_bfloat1610FuncMinMaxIS1_E11ProtoSimpleILi1ELi1ELi0ELi1ELi0ELi0EELi0ELi1ELi0EEEviiP15ncclDevWorkColl.uses_flat_scratch)
	.set .L_Z48ncclDevFunc_Reduce_RING_SIMPLE_MinMax_bf16_0_0_1v.has_dyn_sized_stack, or(0, .L_ZN12_GLOBAL__N_17runRingI12hip_bfloat1610FuncMinMaxIS1_E11ProtoSimpleILi1ELi1ELi0ELi1ELi0ELi0EELi0ELi1ELi0EEEviiP15ncclDevWorkColl.has_dyn_sized_stack)
	.set .L_Z48ncclDevFunc_Reduce_RING_SIMPLE_MinMax_bf16_0_0_1v.has_recursion, or(1, .L_ZN12_GLOBAL__N_17runRingI12hip_bfloat1610FuncMinMaxIS1_E11ProtoSimpleILi1ELi1ELi0ELi1ELi0ELi0EELi0ELi1ELi0EEEviiP15ncclDevWorkColl.has_recursion)
	.set .L_Z48ncclDevFunc_Reduce_RING_SIMPLE_MinMax_bf16_0_0_1v.has_indirect_call, or(0, .L_ZN12_GLOBAL__N_17runRingI12hip_bfloat1610FuncMinMaxIS1_E11ProtoSimpleILi1ELi1ELi0ELi1ELi0ELi0EELi0ELi1ELi0EEEviiP15ncclDevWorkColl.has_indirect_call)
	.section	.AMDGPU.csdata,"",@progbits
; Function info:
; codeLenInByte = 692
; TotalNumSgprs: 62
; NumVgprs: 120
; ScratchSize: 96
; MemoryBound: 0
	.text
	.p2align	2                               ; -- Begin function _ZN12_GLOBAL__N_17runRingI12hip_bfloat1610FuncMinMaxIS1_E11ProtoSimpleILi1ELi1ELi0ELi1ELi0ELi0EELi0ELi1ELi1EEEviiP15ncclDevWorkColl
	.type	_ZN12_GLOBAL__N_17runRingI12hip_bfloat1610FuncMinMaxIS1_E11ProtoSimpleILi1ELi1ELi0ELi1ELi0ELi0EELi0ELi1ELi1EEEviiP15ncclDevWorkColl,@function
_ZN12_GLOBAL__N_17runRingI12hip_bfloat1610FuncMinMaxIS1_E11ProtoSimpleILi1ELi1ELi0ELi1ELi0ELi0EELi0ELi1ELi1EEEviiP15ncclDevWorkColl: ; @_ZN12_GLOBAL__N_17runRingI12hip_bfloat1610FuncMinMaxIS1_E11ProtoSimpleILi1ELi1ELi0ELi1ELi0ELi0EELi0ELi1ELi1EEEviiP15ncclDevWorkColl
; %bb.0:
	s_wait_loadcnt_dscnt 0x0
	s_wait_kmcnt 0x0
	s_mov_b32 s58, s33
	s_mov_b32 s33, s32
	s_or_saveexec_b32 s0, -1
	scratch_store_b32 off, v74, s33 offset:144 ; 4-byte Folded Spill
	s_wait_xcnt 0x0
	s_mov_b32 exec_lo, s0
	s_addk_co_i32 s32, 0xa0
	s_clause 0x11
	scratch_store_b32 off, v40, s33 offset:68
	; meta instruction
	scratch_store_b32 off, v41, s33 offset:64
	; meta instruction
	;; [unrolled: 2-line block ×17, first 2 shown]
	scratch_store_b32 off, v73, s33
	v_writelane_b32 v74, s30, 0
	v_writelane_b32 v74, s31, 1
	s_trap 2
	ds_load_b64 v[14:15], v0
	ds_load_b32 v9, v0
	flat_load_b64 v[6:7], v[2:3]
                                        ; implicit-def: $vgpr18_vgpr19
                                        ; implicit-def: $vgpr4_vgpr5
                                        ; implicit-def: $vgpr26_vgpr27
	s_wait_dscnt 0x2
	v_readfirstlane_b32 s0, v14
	v_readfirstlane_b32 s1, v15
	flat_load_u16 v17, v[2:3] offset:8
	flat_load_b32 v24, v15, s[0:1] offset:-4 scale_offset
	s_wait_xcnt 0x0
	s_mov_b32 s0, exec_lo
	s_wait_loadcnt_dscnt 0x202
	v_and_b32_e32 v8, 0xff, v6
	v_mov_b32_e32 v16, v7
	s_delay_alu instid0(VALU_DEP_2)
	v_cmpx_ne_u32_e64 v9, v8
	s_xor_b32 s0, exec_lo, s0
	s_cbranch_execz .LBB4_6
; %bb.1:
	v_bfe_u32 v10, v6, 8, 8
	v_not_b32_e32 v8, v8
	s_mov_b32 s1, exec_lo
                                        ; implicit-def: $vgpr18_vgpr19
                                        ; implicit-def: $vgpr4_vgpr5
                                        ; implicit-def: $vgpr26_vgpr27
	s_delay_alu instid0(VALU_DEP_2)
	v_cmpx_ne_u32_e64 v9, v10
	s_xor_b32 s1, exec_lo, s1
	s_cbranch_execz .LBB4_3
; %bb.2:
	s_clause 0x1
	flat_load_b128 v[4:7], v[2:3] offset:72
	flat_load_b64 v[10:11], v[2:3] offset:96
	v_add_nc_u32_e32 v8, v9, v8
	s_wait_loadcnt_dscnt 0x101
	s_delay_alu instid0(VALU_DEP_1) | instskip(SKIP_3) | instid1(VALU_DEP_3)
	v_mad_nc_u64_u32 v[26:27], v6, v8, v[4:5]
	v_ashrrev_i32_e32 v5, 31, v8
	s_wait_loadcnt_dscnt 0x0
	v_lshrrev_b64 v[18:19], 13, v[10:11]
                                        ; implicit-def: $vgpr10
	v_mad_u32 v4, v7, v8, v27
                                        ; implicit-def: $vgpr8
	s_delay_alu instid0(VALU_DEP_1)
	v_mad_u32 v27, v6, v5, v4
	v_mov_b64_e32 v[4:5], v[6:7]
.LBB4_3:
	s_wait_xcnt 0x0
	s_and_not1_saveexec_b32 s1, s1
	s_cbranch_execz .LBB4_5
; %bb.4:
	s_clause 0x1
	flat_load_b128 v[18:21], v[2:3] offset:72
	flat_load_b128 v[4:7], v[2:3] offset:88
	s_wait_loadcnt_dscnt 0x0
	v_add_nc_u32_e32 v6, v10, v8
	s_delay_alu instid0(VALU_DEP_1) | instskip(SKIP_1) | instid1(VALU_DEP_2)
	v_mad_nc_u64_u32 v[26:27], v20, v6, v[18:19]
	v_lshrrev_b32_e32 v18, 2, v7
	v_mad_u32 v8, v21, v6, v27
	v_ashrrev_i32_e32 v6, 31, v6
	s_delay_alu instid0(VALU_DEP_1)
	v_mad_u32 v27, v20, v6, v8
.LBB4_5:
	s_wait_xcnt 0x0
	s_or_b32 exec_lo, exec_lo, s1
.LBB4_6:
	s_and_not1_saveexec_b32 s0, s0
	s_cbranch_execz .LBB4_8
; %bb.7:
	s_clause 0x1
	flat_load_b64 v[6:7], v[2:3] offset:96
	flat_load_b64 v[4:5], v[2:3] offset:72
	v_mov_b64_e32 v[26:27], 0
	s_wait_loadcnt_dscnt 0x101
	v_lshlrev_b64_e32 v[18:19], 8, v[6:7]
.LBB4_8:
	s_wait_xcnt 0x0
	s_or_b32 exec_lo, exec_lo, s0
	s_trap 2
	ds_load_b64 v[6:7], v0
	s_mov_b32 s1, 0
	s_mov_b32 s2, exec_lo
	s_wait_dscnt 0x0
	v_cmp_ne_u32_e32 vcc_lo, -1, v6
	v_cndmask_b32_e64 v15, 0, 1, vcc_lo
	v_cmp_ne_u32_e32 vcc_lo, -1, v7
	s_delay_alu instid0(VALU_DEP_2) | instskip(NEXT) | instid1(VALU_DEP_1)
	v_add_co_ci_u32_e64 v6, null, 0, v15, vcc_lo
	v_lshlrev_b32_e32 v7, 1, v6
	s_delay_alu instid0(VALU_DEP_1)
	v_cmpx_le_u32_e64 v7, v1
	s_xor_b32 s16, exec_lo, s2
	s_cbranch_execz .LBB4_1220
; %bb.9:
	s_clause 0x1
	flat_load_b128 v[10:13], v[2:3] offset:16
	flat_load_b64 v[20:21], v[2:3] offset:104
	s_trap 2
	s_load_b32 s0, s[8:9], 0x0
	s_bfe_u32 s2, ttmp6, 0x4000c
	s_and_b32 s3, ttmp6, 15
	s_add_co_i32 s2, s2, 1
	s_getreg_b32 s4, hwreg(HW_REG_IB_STS2, 6, 4)
	s_mul_i32 s2, ttmp9, s2
	v_dual_mov_b32 v2, 0 :: v_dual_mov_b32 v30, 4
	s_add_co_i32 s3, s3, s2
	s_cmp_eq_u32 s4, 0
	s_cselect_b32 s2, ttmp9, s3
	s_wait_kmcnt 0x0
	s_cmp_lt_u32 s2, s0
	s_mov_b32 s2, exec_lo
	s_cselect_b32 s0, 12, 18
	s_delay_alu instid0(SALU_CYCLE_1)
	s_add_nc_u64 s[0:1], s[8:9], s[0:1]
	global_load_u16 v19, v2, s[0:1]
	s_wait_xcnt 0x0
	ds_load_b32 v2, v0
	s_wait_dscnt 0x0
	v_readfirstlane_b32 s1, v2
	v_cmpx_ge_u32_e64 v0, v15
	s_cbranch_execz .LBB4_19
; %bb.10:
	v_cmp_ge_u32_e64 s0, v0, v6
                                        ; implicit-def: $vgpr30
	s_and_saveexec_b32 s3, s0
	s_delay_alu instid0(SALU_CYCLE_1)
	s_xor_b32 s0, exec_lo, s3
	s_cbranch_execz .LBB4_16
; %bb.11:
	v_cndmask_b32_e64 v2, 0, 1, vcc_lo
	s_mov_b32 s3, exec_lo
	s_delay_alu instid0(VALU_DEP_1) | instskip(NEXT) | instid1(VALU_DEP_1)
	v_sub_nc_u32_e32 v2, v1, v2
	v_cmpx_ge_u32_e64 v0, v2
	s_xor_b32 s3, exec_lo, s3
; %bb.12:
                                        ; implicit-def: $vgpr6
; %bb.13:
	s_delay_alu instid0(SALU_CYCLE_1)
	s_or_saveexec_b32 s3, s3
	v_mov_b32_e32 v30, 16
	s_xor_b32 exec_lo, exec_lo, s3
; %bb.14:
	v_sub_nc_u32_e32 v2, v1, v6
	s_delay_alu instid0(VALU_DEP_1)
	v_cmp_lt_i32_e32 vcc_lo, v0, v2
	v_cndmask_b32_e64 v30, 32, 0, vcc_lo
; %bb.15:
	s_or_b32 exec_lo, exec_lo, s3
.LBB4_16:
	s_and_not1_saveexec_b32 s0, s0
; %bb.17:
	v_mov_b32_e32 v30, 8
; %bb.18:
	s_or_b32 exec_lo, exec_lo, s0
.LBB4_19:
	s_delay_alu instid0(SALU_CYCLE_1) | instskip(NEXT) | instid1(VALU_DEP_1)
	s_or_b32 exec_lo, exec_lo, s2
	v_dual_mov_b32 v25, -1 :: v_dual_bitop2_b32 v2, 36, v30 bitop3:0x40
	s_delay_alu instid0(VALU_DEP_1)
	v_cmp_ne_u32_e32 vcc_lo, 0, v2
	s_and_saveexec_b32 s0, vcc_lo
	s_cbranch_execz .LBB4_21
; %bb.20:
	s_trap 2
	ds_load_b32 v25, v0
.LBB4_21:
	s_or_b32 exec_lo, exec_lo, s0
	v_and_b32_e32 v2, 24, v30
	s_mov_b32 s2, exec_lo
	s_delay_alu instid0(VALU_DEP_1)
	v_cmpx_ne_u32_e32 0, v2
	s_cbranch_execz .LBB4_23
; %bb.22:
	s_trap 2
	s_wait_dscnt 0x0
	ds_load_b32 v25, v0
.LBB4_23:
	s_or_b32 exec_lo, exec_lo, s2
	s_wait_loadcnt 0x4
	v_lshrrev_b64 v[2:3], 31, v[16:17]
	v_mov_b64_e32 v[28:29], 0
	v_mov_b64_e32 v[6:7], 0
                                        ; implicit-def: $vgpr34
                                        ; implicit-def: $vgpr38_vgpr39
                                        ; implicit-def: $vgpr36_vgpr37
                                        ; implicit-def: $vgpr32_vgpr33
	s_delay_alu instid0(VALU_DEP_3)
	v_and_b32_e32 v17, 3, v2
                                        ; implicit-def: $vgpr2_vgpr3
	s_and_saveexec_b32 s0, vcc_lo
	s_cbranch_execz .LBB4_33
; %bb.24:
	s_trap 2
	ds_load_b64 v[2:3], v0
	v_and_b32_e32 v6, 0xffff, v17
	s_wait_dscnt 0x0
	v_readfirstlane_b32 s2, v2
	v_readfirstlane_b32 s3, v3
	flat_load_b64 v[2:3], v25, s[2:3] scale_offset
	s_wait_loadcnt_dscnt 0x0
	v_mad_nc_u64_u32 v[22:23], 0xa8, v6, v[2:3]
	flat_load_b32 v2, v[22:23] offset:640
	s_wait_loadcnt_dscnt 0x0
	v_cmp_eq_u32_e32 vcc_lo, 1, v2
                                        ; implicit-def: $vgpr2_vgpr3
	s_wait_xcnt 0x0
	s_and_saveexec_b32 s2, vcc_lo
	s_cbranch_execz .LBB4_26
; %bb.25:
	flat_load_b64 v[2:3], v[22:23] offset:648
	v_or_b32_e32 v30, 0x2000, v30
	s_wait_loadcnt_dscnt 0x0
	flat_load_b64 v[6:7], v[2:3]
	s_trap 2
	s_wait_loadcnt_dscnt 0x0
	ds_store_b64 v0, v[6:7]
	flat_load_b64 v[6:7], v[2:3] offset:8
	s_wait_loadcnt_dscnt 0x0
	ds_store_b64 v0, v[6:7]
	flat_load_b64 v[6:7], v[2:3] offset:16
	s_wait_loadcnt_dscnt 0x0
	ds_store_b64 v0, v[6:7]
.LBB4_26:
	s_wait_xcnt 0x0
	s_or_b32 exec_lo, exec_lo, s2
	flat_load_b64 v[8:9], v[22:23] offset:608
	v_and_b32_e32 v6, 32, v30
	s_mov_b32 s2, exec_lo
                                        ; implicit-def: $vgpr32_vgpr33
	s_wait_xcnt 0x0
	s_delay_alu instid0(VALU_DEP_1)
	v_cmpx_ne_u32_e32 0, v6
	s_cbranch_execz .LBB4_28
; %bb.27:
	flat_load_b64 v[32:33], v[22:23] offset:560
	global_wb scope:SCOPE_SYS
	s_wait_storecnt 0x0
	s_wait_xcnt 0x0
	s_wait_loadcnt_dscnt 0x0
	flat_store_b64 v[32:33], v[8:9] scope:SCOPE_SYS
.LBB4_28:
	s_wait_xcnt 0x0
	s_or_b32 exec_lo, exec_lo, s2
	v_and_b32_e32 v34, 4, v30
	v_add_nc_u64_e32 v[28:29], 0x1f8, v[22:23]
	v_mov_b64_e32 v[6:7], 0
                                        ; implicit-def: $vgpr38_vgpr39
                                        ; implicit-def: $vgpr36_vgpr37
	s_delay_alu instid0(VALU_DEP_3)
	v_cmp_ne_u32_e32 vcc_lo, 0, v34
                                        ; implicit-def: $vgpr34
	s_and_saveexec_b32 s2, vcc_lo
	s_cbranch_execz .LBB4_32
; %bb.29:
	v_and_b32_e32 v6, 0x800, v30
	s_mov_b32 s3, exec_lo
	s_delay_alu instid0(VALU_DEP_1)
	v_cmpx_eq_u32_e32 0, v6
	s_cbranch_execz .LBB4_31
; %bb.30:
	s_trap 2
	ds_store_b64 v0, v[28:29]
.LBB4_31:
	s_or_b32 exec_lo, exec_lo, s3
	flat_load_b64 v[32:33], v[22:23] offset:552
	s_wait_loadcnt_dscnt 0x0
	flat_load_b64 v[38:39], v[32:33] scope:SCOPE_SYS
	s_clause 0x2
	flat_load_b32 v34, v[22:23] offset:576
	flat_load_b64 v[6:7], v[22:23] offset:600
	flat_load_b64 v[36:37], v[22:23] offset:520
	s_wait_xcnt 0x0
	v_or_b32_e32 v22, 0x100, v30
	s_wait_loadcnt_dscnt 0x202
	v_ashrrev_i32_e32 v34, 1, v34
	s_wait_loadcnt_dscnt 0x101
	v_cmp_eq_u64_e32 vcc_lo, 0, v[6:7]
	v_cndmask_b32_e32 v30, v22, v30, vcc_lo
.LBB4_32:
	s_or_b32 exec_lo, exec_lo, s2
.LBB4_33:
	s_delay_alu instid0(SALU_CYCLE_1) | instskip(NEXT) | instid1(VALU_DEP_1)
	s_or_b32 exec_lo, exec_lo, s0
	v_and_b32_e32 v22, 24, v30
	s_mov_b32 s0, exec_lo
                                        ; implicit-def: $vgpr52_vgpr53
	s_delay_alu instid0(VALU_DEP_1)
	v_cmpx_ne_u32_e32 0, v22
	s_cbranch_execz .LBB4_41
; %bb.34:
	s_trap 2
	ds_load_b64 v[6:7], v0
	s_wait_loadcnt_dscnt 0x1
	v_and_b32_e32 v8, 0xffff, v17
	v_or_b32_e32 v17, 0x100, v30
                                        ; implicit-def: $vgpr52_vgpr53
	s_wait_dscnt 0x0
	v_readfirstlane_b32 s2, v6
	v_readfirstlane_b32 s3, v7
	flat_load_b64 v[6:7], v25, s[2:3] scale_offset
	s_wait_xcnt 0x0
	s_mov_b32 s2, exec_lo
	s_wait_loadcnt_dscnt 0x0
	v_mad_nc_u64_u32 v[28:29], 0xa8, v8, v[6:7]
	flat_load_b128 v[6:9], v[28:29] offset:96
	s_wait_loadcnt_dscnt 0x0
	v_cmp_eq_u64_e32 vcc_lo, 0, v[6:7]
	v_cndmask_b32_e32 v30, v17, v30, vcc_lo
	s_delay_alu instid0(VALU_DEP_1) | instskip(SKIP_1) | instid1(VALU_DEP_1)
	v_and_b32_e32 v17, 16, v30
	s_wait_xcnt 0x0
	v_cmpx_ne_u32_e32 0, v17
	s_cbranch_execz .LBB4_36
; %bb.35:
	s_clause 0x2
	flat_load_b64 v[32:33], v[28:29] offset:48
	flat_load_b64 v[52:53], v[28:29] offset:120
	;; [unrolled: 1-line block ×3, first 2 shown]
.LBB4_36:
	s_wait_xcnt 0x0
	s_or_b32 exec_lo, exec_lo, s2
	v_and_b32_e32 v17, 8, v30
	s_mov_b32 s2, exec_lo
	s_delay_alu instid0(VALU_DEP_1)
	v_cmpx_ne_u32_e32 0, v17
	s_cbranch_execz .LBB4_40
; %bb.37:
	v_and_b32_e32 v17, 0x800, v30
	s_mov_b32 s3, exec_lo
	s_delay_alu instid0(VALU_DEP_1)
	v_cmpx_eq_u32_e32 0, v17
	s_cbranch_execz .LBB4_39
; %bb.38:
	s_trap 2
	ds_store_b64 v0, v[28:29]
.LBB4_39:
	s_or_b32 exec_lo, exec_lo, s3
	s_wait_loadcnt_dscnt 0x202
	flat_load_b64 v[32:33], v[28:29] offset:56
	s_wait_loadcnt_dscnt 0x0
	flat_load_b64 v[38:39], v[32:33] scope:SCOPE_SYS
	s_clause 0x1
	flat_load_b32 v17, v[28:29] offset:72
	flat_load_b64 v[36:37], v[28:29] offset:16
	s_wait_loadcnt_dscnt 0x101
	v_ashrrev_i32_e32 v34, 1, v17
.LBB4_40:
	s_wait_xcnt 0x0
	s_or_b32 exec_lo, exec_lo, s2
.LBB4_41:
	s_delay_alu instid0(SALU_CYCLE_1)
	s_or_b32 exec_lo, exec_lo, s0
	v_cmp_eq_u32_e64 s0, 0, v0
	s_and_saveexec_b32 s2, s0
	s_cbranch_execz .LBB4_43
; %bb.42:
	v_mov_b64_e32 v[22:23], 0
	s_wait_loadcnt 0x2
	ds_store_2addr_b64 v0, v[12:13], v[10:11] offset1:1
	s_trap 2
	ds_store_b64 v0, v[22:23]
	s_wait_loadcnt 0x1
	ds_store_b64 v0, v[20:21]
.LBB4_43:
	s_or_b32 exec_lo, exec_lo, s2
	s_ashr_i32 s2, s1, 31
	v_and_b32_e32 v50, 0x1fffff00, v18
	s_lshr_b32 s2, s2, 29
	s_wait_loadcnt 0x2
	v_bfe_u32 v10, v16, 1, 30
	v_mov_b32_e32 v51, 0
	s_wait_loadcnt 0x0
	v_and_b32_e32 v44, 0xffff, v19
	s_add_co_i32 s1, s1, s2
                                        ; implicit-def: $vgpr48_vgpr49
	s_delay_alu instid0(SALU_CYCLE_1)
	s_ashr_i32 s17, s1, 4
	s_mov_b32 s1, exec_lo
	v_cmpx_ne_u32_e64 v24, v10
	s_xor_b32 s18, exec_lo, s1
	s_cbranch_execz .LBB4_981
; %bb.44:
                                        ; implicit-def: $vgpr48_vgpr49
	s_mov_b32 s1, exec_lo
	v_cmpx_ne_u32_e64 v14, v10
	s_xor_b32 s19, exec_lo, s1
	s_cbranch_execz .LBB4_518
; %bb.45:
	v_mov_b64_e32 v[48:49], 0
	s_mov_b32 s20, exec_lo
	v_cmpx_ne_u64_e32 0, v[4:5]
	s_cbranch_execz .LBB4_517
; %bb.46:
	v_dual_mov_b32 v19, 0 :: v_dual_lshrrev_b32 v20, 5, v1
	v_dual_ashrrev_i32 v35, 31, v34 :: v_dual_bitop2_b32 v10, 31, v31 bitop3:0x40
	s_delay_alu instid0(VALU_DEP_2) | instskip(NEXT) | instid1(VALU_DEP_3)
	v_dual_mov_b32 v21, v19 :: v_dual_bitop2_b32 v114, 31, v0 bitop3:0x40
	v_dual_lshlrev_b32 v115, 9, v20 :: v_dual_lshlrev_b32 v117, 6, v20
	v_lshl_add_u32 v54, v20, 8, 0xffffff00
	s_lshr_b32 s2, s17, 27
	s_wait_dscnt 0x0
	s_delay_alu instid0(VALU_DEP_2) | instskip(SKIP_3) | instid1(VALU_DEP_2)
	v_dual_mov_b32 v25, v19 :: v_dual_add_nc_u32 v22, 0xfffffe00, v115
	v_subrev_nc_u32_e32 v64, 64, v117
	v_dual_mov_b32 v118, 1 :: v_dual_ashrrev_i32 v55, 31, v54
	s_add_co_i32 s2, s17, s2
	v_dual_ashrrev_i32 v23, 31, v22 :: v_dual_ashrrev_i32 v65, 31, v64
	v_cmp_eq_u32_e32 vcc_lo, 32, v1
	v_mov_b64_e32 v[68:69], 0
	v_cmp_eq_u64_e64 s7, 0, v[52:53]
	s_delay_alu instid0(VALU_DEP_4)
	v_add_nc_u64_e32 v[66:67], 0x200, v[22:23]
	v_add_nc_u64_e32 v[70:71], 0x100, v[54:55]
	;; [unrolled: 1-line block ×3, first 2 shown]
	v_mov_b64_e32 v[82:83], 0
	v_mov_b64_e32 v[48:49], 0
	v_cmp_ge_u32_e64 s1, v0, v1
	s_ashr_i32 s21, s2, 5
	v_cmp_ne_u32_e64 s2, 32, v1
	v_cmp_ne_u32_e64 s3, v1, v44
	v_cmp_eq_u32_e64 s4, 0, v10
	v_cmp_le_u32_e64 s5, v114, v15
	v_cmp_lt_u32_e64 s6, v114, v15
	v_dual_lshrrev_b32 v116, 5, v0 :: v_dual_lshlrev_b32 v24, 4, v0
	v_mov_b32_e32 v119, 0x90
	s_mov_b32 s22, 0
	s_add_co_i32 s23, s33, 0x80
	s_add_co_i32 s24, s33, 0x60
	s_add_co_i32 s25, s33, 0x80
	s_add_co_i32 s26, s33, 0x60
	s_xor_b32 s27, vcc_lo, -1
	s_trap 2
	s_branch .LBB4_49
.LBB4_47:                               ;   in Loop: Header=BB4_49 Depth=1
	s_wait_xcnt 0x0
	s_or_b32 exec_lo, exec_lo, s10
.LBB4_48:                               ;   in Loop: Header=BB4_49 Depth=1
	s_delay_alu instid0(SALU_CYCLE_1) | instskip(SKIP_1) | instid1(VALU_DEP_1)
	s_or_b32 exec_lo, exec_lo, s11
	v_add_nc_u64_e32 v[82:83], v[82:83], v[50:51]
	v_cmp_ge_u64_e32 vcc_lo, v[82:83], v[4:5]
	s_or_b32 s22, vcc_lo, s22
	s_delay_alu instid0(SALU_CYCLE_1)
	s_and_not1_b32 exec_lo, exec_lo, s22
	s_cbranch_execz .LBB4_516
.LBB4_49:                               ; =>This Loop Header: Depth=1
                                        ;     Child Loop BB4_58 Depth 2
                                        ;     Child Loop BB4_86 Depth 2
	;; [unrolled: 1-line block ×4, first 2 shown]
                                        ;       Child Loop BB4_131 Depth 3
                                        ;       Child Loop BB4_168 Depth 3
                                        ;     Child Loop BB4_243 Depth 2
                                        ;       Child Loop BB4_244 Depth 3
                                        ;       Child Loop BB4_281 Depth 3
                                        ;     Child Loop BB4_358 Depth 2
                                        ;     Child Loop BB4_417 Depth 2
                                        ;       Child Loop BB4_418 Depth 3
                                        ;       Child Loop BB4_427 Depth 3
                                        ;     Child Loop BB4_446 Depth 2
                                        ;     Child Loop BB4_471 Depth 2
	;; [unrolled: 1-line block ×3, first 2 shown]
	v_sub_nc_u64_e32 v[10:11], v[4:5], v[82:83]
	s_delay_alu instid0(VALU_DEP_1) | instskip(NEXT) | instid1(VALU_DEP_1)
	v_min_u64 v[84:85], v[50:51], v[10:11]
	v_add_nc_u32_e32 v10, 15, v84
	s_delay_alu instid0(VALU_DEP_2) | instskip(NEXT) | instid1(VALU_DEP_2)
	v_cmp_eq_u64_e32 vcc_lo, 0, v[84:85]
	v_and_b32_e32 v10, 0x3ffffff0, v10
	s_or_b32 s28, s1, vcc_lo
	s_delay_alu instid0(SALU_CYCLE_1) | instskip(NEXT) | instid1(VALU_DEP_1)
	s_xor_b32 s10, s28, -1
	v_dual_mov_b32 v10, 0 :: v_dual_max_i32 v85, s21, v10
	s_and_saveexec_b32 s29, s10
	s_cbranch_execz .LBB4_464
; %bb.50:                               ;   in Loop: Header=BB4_49 Depth=1
	s_and_saveexec_b32 s10, s0
	s_cbranch_execz .LBB4_52
; %bb.51:                               ;   in Loop: Header=BB4_49 Depth=1
	s_trap 2
	ds_load_b64 v[10:11], v0
	s_wait_dscnt 0x0
	v_lshl_add_u64 v[10:11], v[26:27], 1, v[10:11]
	s_delay_alu instid0(VALU_DEP_1)
	v_lshl_add_u64 v[10:11], v[82:83], 1, v[10:11]
	ds_store_b64 v0, v[10:11]
	ds_store_b64 v0, v[68:69]
.LBB4_52:                               ;   in Loop: Header=BB4_49 Depth=1
	s_or_b32 exec_lo, exec_lo, s10
	v_and_b32_e32 v10, 12, v30
	v_min_u32_e32 v85, v85, v84
	s_mov_b32 s11, exec_lo
	s_delay_alu instid0(VALU_DEP_2)
	v_cmpx_ne_u32_e32 0, v10
	s_cbranch_execz .LBB4_78
; %bb.53:                               ;   in Loop: Header=BB4_49 Depth=1
	v_and_b32_e32 v18, 8, v30
	v_add_nc_u64_e32 v[10:11], 1, v[8:9]
	s_mov_b32 s12, exec_lo
	s_wait_loadcnt 0x0
	s_delay_alu instid0(VALU_DEP_2) | instskip(NEXT) | instid1(VALU_DEP_1)
	v_add_nc_u64_e32 v[12:13], v[38:39], v[18:19]
	v_cmpx_lt_u64_e64 v[12:13], v[10:11]
	s_cbranch_execz .LBB4_65
; %bb.54:                               ;   in Loop: Header=BB4_49 Depth=1
	v_and_b32_e32 v9, 64, v30
	s_mov_b32 s13, 0
	s_mov_b32 s41, 0
                                        ; implicit-def: $sgpr14
                                        ; implicit-def: $sgpr15
                                        ; implicit-def: $sgpr40
	s_delay_alu instid0(VALU_DEP_1)
	v_cmp_eq_u32_e32 vcc_lo, 0, v9
	s_branch .LBB4_58
.LBB4_55:                               ;   in Loop: Header=BB4_58 Depth=2
	s_wait_loadcnt_dscnt 0x0
	v_add_nc_u64_e32 v[12:13], v[38:39], v[18:19]
	s_or_b32 s44, s44, exec_lo
	s_delay_alu instid0(VALU_DEP_1)
	v_cmp_ge_u64_e64 s10, v[12:13], v[10:11]
	s_or_not1_b32 s43, s10, exec_lo
.LBB4_56:                               ;   in Loop: Header=BB4_58 Depth=2
	s_or_b32 exec_lo, exec_lo, s46
	s_delay_alu instid0(SALU_CYCLE_1)
	s_and_not1_b32 s10, s40, exec_lo
	s_and_b32 s40, s44, exec_lo
	s_and_not1_b32 s15, s15, exec_lo
	s_and_b32 s43, s43, exec_lo
	s_or_b32 s40, s10, s40
	s_or_b32 s15, s15, s43
.LBB4_57:                               ;   in Loop: Header=BB4_58 Depth=2
	s_or_b32 exec_lo, exec_lo, s42
	s_delay_alu instid0(SALU_CYCLE_1) | instskip(NEXT) | instid1(SALU_CYCLE_1)
	s_and_b32 s10, exec_lo, s15
	s_or_b32 s13, s10, s13
	s_and_not1_b32 s10, s14, exec_lo
	s_and_b32 s14, s40, exec_lo
	s_delay_alu instid0(SALU_CYCLE_1)
	s_or_b32 s14, s10, s14
	s_and_not1_b32 exec_lo, exec_lo, s13
	s_cbranch_execz .LBB4_62
.LBB4_58:                               ;   Parent Loop BB4_49 Depth=1
                                        ; =>  This Inner Loop Header: Depth=2
	s_sleep 1
	s_wait_loadcnt_dscnt 0x0
	flat_load_b64 v[38:39], v[32:33] scope:SCOPE_SYS
	s_or_b32 s40, s40, exec_lo
	s_or_b32 s15, s15, exec_lo
                                        ; implicit-def: $vgpr9
	s_wait_xcnt 0x0
	s_and_saveexec_b32 s42, vcc_lo
	s_cbranch_execz .LBB4_57
; %bb.59:                               ;   in Loop: Header=BB4_58 Depth=2
	s_cmp_lt_i32 s41, 0x270f
	s_mov_b32 s43, -1
	s_cselect_b32 s45, -1, 0
	s_cmp_gt_i32 s41, 0x270e
	s_cbranch_scc0 .LBB4_61
; %bb.60:                               ;   in Loop: Header=BB4_58 Depth=2
	s_trap 2
	ds_load_b64 v[12:13], v0
	s_and_not1_b32 s41, s45, exec_lo
	s_mov_b32 s44, 0
	s_wait_storecnt 0x0
	s_wait_loadcnt_dscnt 0x0
	flat_load_b32 v9, v[12:13] scope:SCOPE_SYS
	s_wait_loadcnt_dscnt 0x0
	global_inv scope:SCOPE_SYS
	v_cmp_eq_u32_e64 s10, 0, v9
	s_and_b32 s10, s10, exec_lo
	s_delay_alu instid0(SALU_CYCLE_1)
	s_or_b32 s45, s41, s10
	s_mov_b32 s41, 0
	s_and_saveexec_b32 s46, s45
	s_cbranch_execz .LBB4_56
	s_branch .LBB4_55
.LBB4_61:                               ;   in Loop: Header=BB4_58 Depth=2
	s_add_co_i32 s41, s41, 1
	s_mov_b32 s44, -1
                                        ; implicit-def: $vgpr9
	s_and_saveexec_b32 s46, s45
	s_cbranch_execz .LBB4_56
	s_branch .LBB4_55
.LBB4_62:                               ;   in Loop: Header=BB4_49 Depth=1
	s_or_b32 exec_lo, exec_lo, s13
	s_xor_b32 s10, s14, -1
	s_delay_alu instid0(SALU_CYCLE_1) | instskip(NEXT) | instid1(SALU_CYCLE_1)
	s_and_saveexec_b32 s13, s10
	s_xor_b32 s10, exec_lo, s13
	s_cbranch_execz .LBB4_64
; %bb.63:                               ;   in Loop: Header=BB4_49 Depth=1
	v_or_b32_e32 v30, 64, v30
	s_wait_storecnt 0x0
	s_wait_loadcnt_dscnt 0x0
	ds_store_b32 v0, v9
	s_trap 2
.LBB4_64:                               ;   in Loop: Header=BB4_49 Depth=1
	s_or_b32 exec_lo, exec_lo, s10
.LBB4_65:                               ;   in Loop: Header=BB4_49 Depth=1
	s_delay_alu instid0(SALU_CYCLE_1) | instskip(SKIP_3) | instid1(VALU_DEP_1)
	s_or_b32 exec_lo, exec_lo, s12
	v_and_b32_e32 v9, 0x108, v30
	s_mov_b32 s10, exec_lo
	;;#ASMSTART
	s_wakeup
	;;#ASMEND
                                        ; implicit-def: $vgpr12_vgpr13
	v_cmpx_ne_u32_e32 0x108, v9
	s_xor_b32 s10, exec_lo, s10
; %bb.66:                               ;   in Loop: Header=BB4_49 Depth=1
	v_dual_mov_b32 v13, v19 :: v_dual_bitop2_b32 v12, 7, v8 bitop3:0x40
; %bb.67:                               ;   in Loop: Header=BB4_49 Depth=1
	s_and_not1_saveexec_b32 s10, s10
	s_cbranch_execz .LBB4_69
; %bb.68:                               ;   in Loop: Header=BB4_49 Depth=1
	v_dual_lshlrev_b32 v14, 1, v85 :: v_dual_bitop2_b32 v12, 7, v8 bitop3:0x40
	v_dual_mov_b32 v15, v19 :: v_dual_mov_b32 v13, v19
	s_delay_alu instid0(VALU_DEP_2)
	v_mad_nc_u64_u32 v[8:9], v12, 24, v[6:7]
	flat_store_b64 v[8:9], v[14:15] offset:8
.LBB4_69:                               ;   in Loop: Header=BB4_49 Depth=1
	s_wait_xcnt 0x0
	s_or_b32 exec_lo, exec_lo, s10
	v_and_b32_e32 v8, 0x100, v30
	s_mov_b32 s10, -1
	s_delay_alu instid0(VALU_DEP_1)
	v_cmp_ne_u32_e32 vcc_lo, 0, v8
                                        ; implicit-def: $vgpr8_vgpr9
	s_and_saveexec_b32 s12, vcc_lo
	s_cbranch_execz .LBB4_73
; %bb.70:                               ;   in Loop: Header=BB4_49 Depth=1
	v_mad_nc_u64_u32 v[14:15], v12, 24, v[6:7]
	s_delay_alu instid0(VALU_DEP_1)
	v_mad_u32 v15, v13, 24, v15
	flat_load_b32 v8, v[14:15]
	s_wait_loadcnt_dscnt 0x0
	v_cmp_eq_u32_e64 s10, 1, v8
	v_cmp_ne_u32_e32 vcc_lo, 1, v8
                                        ; implicit-def: $vgpr8_vgpr9
	s_wait_xcnt 0x0
	s_and_saveexec_b32 s13, s10
	s_cbranch_execz .LBB4_72
; %bb.71:                               ;   in Loop: Header=BB4_49 Depth=1
	flat_load_b32 v8, v[14:15] offset:4 scope:SCOPE_SYS
	s_wait_loadcnt_dscnt 0x0
	v_ashrrev_i32_e32 v9, 31, v8
	s_delay_alu instid0(VALU_DEP_1)
	v_lshrrev_b64 v[8:9], 1, v[8:9]
.LBB4_72:                               ;   in Loop: Header=BB4_49 Depth=1
	s_wait_xcnt 0x0
	s_or_b32 exec_lo, exec_lo, s13
	s_delay_alu instid0(SALU_CYCLE_1)
	s_or_not1_b32 s10, vcc_lo, exec_lo
.LBB4_73:                               ;   in Loop: Header=BB4_49 Depth=1
	s_or_b32 exec_lo, exec_lo, s12
	s_and_saveexec_b32 s12, s10
; %bb.74:                               ;   in Loop: Header=BB4_49 Depth=1
	v_mul_u64_e32 v[8:9], v[12:13], v[34:35]
; %bb.75:                               ;   in Loop: Header=BB4_49 Depth=1
	s_or_b32 exec_lo, exec_lo, s12
	v_cmp_eq_u32_e32 vcc_lo, 0, v18
	v_and_b32_e32 v13, 0x2000, v30
	s_delay_alu instid0(VALU_DEP_3) | instskip(SKIP_2) | instid1(VALU_DEP_1)
	v_lshl_add_u64 v[8:9], v[8:9], 1, v[36:37]
	s_mov_b32 s10, exec_lo
	v_cndmask_b32_e32 v12, 0xc8, v119, vcc_lo
	v_add_nc_u32_e32 v12, v0, v12
	ds_store_b64 v12, v[8:9] offset:584
	v_cmpx_ne_u32_e32 0, v13
	s_cbranch_execz .LBB4_77
; %bb.76:                               ;   in Loop: Header=BB4_49 Depth=1
	ds_load_b64 v[8:9], v0 offset:872
	s_wait_dscnt 0x0
	v_add_nc_u64_e32 v[8:9], 1, v[8:9]
	ds_store_b64 v0, v[8:9] offset:872
.LBB4_77:                               ;   in Loop: Header=BB4_49 Depth=1
	s_or_b32 exec_lo, exec_lo, s10
	v_mov_b64_e32 v[8:9], v[10:11]
.LBB4_78:                               ;   in Loop: Header=BB4_49 Depth=1
	s_or_b32 exec_lo, exec_lo, s11
	s_and_saveexec_b32 s10, s2
	s_cbranch_execz .LBB4_97
; %bb.79:                               ;   in Loop: Header=BB4_49 Depth=1
	s_and_saveexec_b32 s11, s3
	s_delay_alu instid0(SALU_CYCLE_1)
	s_xor_b32 s11, exec_lo, s11
	s_cbranch_execz .LBB4_94
; %bb.80:                               ;   in Loop: Header=BB4_49 Depth=1
	s_and_saveexec_b32 s12, s4
	s_cbranch_execz .LBB4_93
; %bb.81:                               ;   in Loop: Header=BB4_49 Depth=1
	s_mov_b32 s14, exec_lo
	s_mov_b32 s13, exec_lo
	v_mbcnt_lo_u32_b32 v10, s14, 0
	global_wb scope:SCOPE_DEV
	s_wait_storecnt 0x0
	s_wait_loadcnt_dscnt 0x0
	global_inv scope:SCOPE_DEV
	v_cmpx_eq_u32_e32 0, v10
	s_cbranch_execz .LBB4_83
; %bb.82:                               ;   in Loop: Header=BB4_49 Depth=1
	s_bcnt1_i32_b32 s14, s14
	s_delay_alu instid0(SALU_CYCLE_1)
	v_mov_b32_e32 v18, s14
	s_wait_loadcnt 0x0
	ds_add_u64 v0, v[18:19]
	s_trap 2
.LBB4_83:                               ;   in Loop: Header=BB4_49 Depth=1
	s_or_b32 exec_lo, exec_lo, s13
	s_trap 2
	ds_load_b64 v[10:11], v0
	s_wait_dscnt 0x0
	v_add_nc_u64_e32 v[48:49], v[48:49], v[20:21]
	s_mov_b32 s13, exec_lo
	s_delay_alu instid0(VALU_DEP_1)
	v_cmpx_lt_u64_e64 v[10:11], v[48:49]
	s_cbranch_execz .LBB4_92
; %bb.84:                               ;   in Loop: Header=BB4_49 Depth=1
	s_mov_b32 s14, 0
	s_mov_b32 s41, 0
                                        ; implicit-def: $sgpr15
                                        ; implicit-def: $sgpr40
	s_branch .LBB4_86
.LBB4_85:                               ;   in Loop: Header=BB4_86 Depth=2
	s_or_b32 exec_lo, exec_lo, s43
	s_delay_alu instid0(SALU_CYCLE_1) | instskip(NEXT) | instid1(SALU_CYCLE_1)
	s_and_b32 s42, exec_lo, s44
	s_or_b32 s14, s42, s14
	s_and_not1_b32 s15, s15, exec_lo
	s_and_b32 s42, s40, exec_lo
	s_delay_alu instid0(SALU_CYCLE_1)
	s_or_b32 s15, s15, s42
	s_and_not1_b32 exec_lo, exec_lo, s14
	s_cbranch_execz .LBB4_90
.LBB4_86:                               ;   Parent Loop BB4_49 Depth=1
                                        ; =>  This Inner Loop Header: Depth=2
	s_add_co_i32 s41, s41, 1
	s_delay_alu instid0(SALU_CYCLE_1) | instskip(SKIP_1) | instid1(SALU_CYCLE_1)
	s_cmp_lg_u32 s41, 0x2710
	s_cselect_b32 s42, -1, 0
	s_and_b32 vcc_lo, exec_lo, s42
	s_cbranch_vccz .LBB4_88
; %bb.87:                               ;   in Loop: Header=BB4_86 Depth=2
	s_mov_b32 s44, -1
	s_or_b32 s40, s40, exec_lo
	s_and_saveexec_b32 s43, s42
	s_cbranch_execz .LBB4_85
	s_branch .LBB4_89
.LBB4_88:                               ;   in Loop: Header=BB4_86 Depth=2
	s_trap 2
	ds_load_b64 v[10:11], v0
	s_and_not1_b32 s42, s42, exec_lo
	s_mov_b32 s41, 0
	s_wait_loadcnt_dscnt 0x0
	flat_load_b32 v10, v[10:11] scope:SCOPE_SYS
	s_wait_loadcnt_dscnt 0x0
	global_inv scope:SCOPE_SYS
	v_cmp_eq_u32_e32 vcc_lo, 0, v10
	s_and_b32 s43, vcc_lo, exec_lo
	s_delay_alu instid0(SALU_CYCLE_1)
	s_or_b32 s42, s42, s43
	s_mov_b32 s44, -1
	s_or_b32 s40, s40, exec_lo
	s_and_saveexec_b32 s43, s42
	s_cbranch_execz .LBB4_85
.LBB4_89:                               ;   in Loop: Header=BB4_86 Depth=2
	s_sleep 1
	s_trap 2
	ds_load_b64 v[10:11], v0
	s_wait_dscnt 0x0
	s_and_not1_b32 s40, s40, exec_lo
	v_cmp_ge_u64_e32 vcc_lo, v[10:11], v[48:49]
	s_or_not1_b32 s44, vcc_lo, exec_lo
	s_branch .LBB4_85
.LBB4_90:                               ;   in Loop: Header=BB4_49 Depth=1
	s_or_b32 exec_lo, exec_lo, s14
	s_and_saveexec_b32 s14, s15
	s_delay_alu instid0(SALU_CYCLE_1)
	s_xor_b32 s14, exec_lo, s14
	s_cbranch_execz .LBB4_92
; %bb.91:                               ;   in Loop: Header=BB4_49 Depth=1
	ds_store_b32 v0, v118
	s_trap 2
.LBB4_92:                               ;   in Loop: Header=BB4_49 Depth=1
	s_or_b32 exec_lo, exec_lo, s13
	;;#ASMSTART
	s_wakeup
	;;#ASMEND
.LBB4_93:                               ;   in Loop: Header=BB4_49 Depth=1
	s_or_b32 exec_lo, exec_lo, s12
.LBB4_94:                               ;   in Loop: Header=BB4_49 Depth=1
	s_and_not1_saveexec_b32 s11, s11
	s_cbranch_execz .LBB4_96
; %bb.95:                               ;   in Loop: Header=BB4_49 Depth=1
	global_wb scope:SCOPE_DEV
	s_wait_storecnt 0x0
	s_wait_loadcnt_dscnt 0x0
	global_inv scope:SCOPE_DEV
	s_barrier_signal -1
	s_barrier_wait -1
.LBB4_96:                               ;   in Loop: Header=BB4_49 Depth=1
	s_or_b32 exec_lo, exec_lo, s11
.LBB4_97:                               ;   in Loop: Header=BB4_49 Depth=1
	s_delay_alu instid0(SALU_CYCLE_1) | instskip(SKIP_3) | instid1(VALU_DEP_1)
	s_or_b32 exec_lo, exec_lo, s10
	s_trap 2
	ds_load_b32 v10, v0
	v_and_b32_e32 v11, 0x4000, v30
	v_cmp_ne_u32_e32 vcc_lo, 0, v11
	s_and_b32 s11, s27, vcc_lo
	s_delay_alu instid0(SALU_CYCLE_1)
	s_and_saveexec_b32 s10, s11
	s_cbranch_execz .LBB4_116
; %bb.98:                               ;   in Loop: Header=BB4_49 Depth=1
	s_and_saveexec_b32 s11, s3
	s_delay_alu instid0(SALU_CYCLE_1)
	s_xor_b32 s11, exec_lo, s11
	s_cbranch_execz .LBB4_113
; %bb.99:                               ;   in Loop: Header=BB4_49 Depth=1
	s_and_saveexec_b32 s12, s4
	s_cbranch_execz .LBB4_112
; %bb.100:                              ;   in Loop: Header=BB4_49 Depth=1
	s_mov_b32 s14, exec_lo
	s_mov_b32 s13, exec_lo
	v_mbcnt_lo_u32_b32 v11, s14, 0
	global_wb scope:SCOPE_DEV
	s_wait_storecnt 0x0
	s_wait_loadcnt_dscnt 0x0
	global_inv scope:SCOPE_DEV
	v_cmpx_eq_u32_e32 0, v11
	s_cbranch_execz .LBB4_102
; %bb.101:                              ;   in Loop: Header=BB4_49 Depth=1
	s_bcnt1_i32_b32 s14, s14
	s_delay_alu instid0(SALU_CYCLE_1)
	v_mov_b32_e32 v18, s14
	s_wait_loadcnt 0x0
	ds_add_u64 v0, v[18:19]
	s_trap 2
.LBB4_102:                              ;   in Loop: Header=BB4_49 Depth=1
	s_or_b32 exec_lo, exec_lo, s13
	s_trap 2
	ds_load_b64 v[12:13], v0
	s_wait_dscnt 0x0
	v_add_nc_u64_e32 v[48:49], v[48:49], v[20:21]
	s_mov_b32 s13, exec_lo
	s_delay_alu instid0(VALU_DEP_1)
	v_cmpx_lt_u64_e64 v[12:13], v[48:49]
	s_cbranch_execz .LBB4_111
; %bb.103:                              ;   in Loop: Header=BB4_49 Depth=1
	s_mov_b32 s14, 0
	s_mov_b32 s41, 0
                                        ; implicit-def: $sgpr15
                                        ; implicit-def: $sgpr40
	s_branch .LBB4_105
.LBB4_104:                              ;   in Loop: Header=BB4_105 Depth=2
	s_or_b32 exec_lo, exec_lo, s43
	s_delay_alu instid0(SALU_CYCLE_1) | instskip(NEXT) | instid1(SALU_CYCLE_1)
	s_and_b32 s42, exec_lo, s44
	s_or_b32 s14, s42, s14
	s_and_not1_b32 s15, s15, exec_lo
	s_and_b32 s42, s40, exec_lo
	s_delay_alu instid0(SALU_CYCLE_1)
	s_or_b32 s15, s15, s42
	s_and_not1_b32 exec_lo, exec_lo, s14
	s_cbranch_execz .LBB4_109
.LBB4_105:                              ;   Parent Loop BB4_49 Depth=1
                                        ; =>  This Inner Loop Header: Depth=2
	s_add_co_i32 s41, s41, 1
	s_delay_alu instid0(SALU_CYCLE_1) | instskip(SKIP_1) | instid1(SALU_CYCLE_1)
	s_cmp_lg_u32 s41, 0x2710
	s_cselect_b32 s42, -1, 0
	s_and_b32 vcc_lo, exec_lo, s42
	s_cbranch_vccz .LBB4_107
; %bb.106:                              ;   in Loop: Header=BB4_105 Depth=2
	s_mov_b32 s44, -1
	s_or_b32 s40, s40, exec_lo
	s_and_saveexec_b32 s43, s42
	s_cbranch_execz .LBB4_104
	s_branch .LBB4_108
.LBB4_107:                              ;   in Loop: Header=BB4_105 Depth=2
	s_trap 2
	ds_load_b64 v[12:13], v0
	s_and_not1_b32 s42, s42, exec_lo
	s_mov_b32 s41, 0
	s_wait_loadcnt_dscnt 0x0
	flat_load_b32 v11, v[12:13] scope:SCOPE_SYS
	s_wait_loadcnt_dscnt 0x0
	global_inv scope:SCOPE_SYS
	v_cmp_eq_u32_e32 vcc_lo, 0, v11
	s_and_b32 s43, vcc_lo, exec_lo
	s_delay_alu instid0(SALU_CYCLE_1)
	s_or_b32 s42, s42, s43
	s_mov_b32 s44, -1
	s_or_b32 s40, s40, exec_lo
	s_and_saveexec_b32 s43, s42
	s_cbranch_execz .LBB4_104
.LBB4_108:                              ;   in Loop: Header=BB4_105 Depth=2
	s_sleep 1
	s_trap 2
	ds_load_b64 v[12:13], v0
	s_wait_dscnt 0x0
	s_and_not1_b32 s40, s40, exec_lo
	v_cmp_ge_u64_e32 vcc_lo, v[12:13], v[48:49]
	s_or_not1_b32 s44, vcc_lo, exec_lo
	s_branch .LBB4_104
.LBB4_109:                              ;   in Loop: Header=BB4_49 Depth=1
	s_or_b32 exec_lo, exec_lo, s14
	s_and_saveexec_b32 s14, s15
	s_delay_alu instid0(SALU_CYCLE_1)
	s_xor_b32 s14, exec_lo, s14
	s_cbranch_execz .LBB4_111
; %bb.110:                              ;   in Loop: Header=BB4_49 Depth=1
	ds_store_b32 v0, v118
	s_trap 2
.LBB4_111:                              ;   in Loop: Header=BB4_49 Depth=1
	s_or_b32 exec_lo, exec_lo, s13
	;;#ASMSTART
	s_wakeup
	;;#ASMEND
.LBB4_112:                              ;   in Loop: Header=BB4_49 Depth=1
	s_or_b32 exec_lo, exec_lo, s12
.LBB4_113:                              ;   in Loop: Header=BB4_49 Depth=1
	s_and_not1_saveexec_b32 s11, s11
	s_cbranch_execz .LBB4_115
; %bb.114:                              ;   in Loop: Header=BB4_49 Depth=1
	global_wb scope:SCOPE_DEV
	s_wait_storecnt 0x0
	s_wait_loadcnt_dscnt 0x0
	global_inv scope:SCOPE_DEV
	s_barrier_signal -1
	s_barrier_wait -1
.LBB4_115:                              ;   in Loop: Header=BB4_49 Depth=1
	s_or_b32 exec_lo, exec_lo, s11
.LBB4_116:                              ;   in Loop: Header=BB4_49 Depth=1
	s_delay_alu instid0(SALU_CYCLE_1)
	s_or_b32 exec_lo, exec_lo, s10
	s_trap 2
	ds_load_b64 v[86:87], v0
	s_wait_dscnt 0x0
	v_cmp_eq_u64_e32 vcc_lo, 0, v[86:87]
	s_cbranch_vccnz .LBB4_124
; %bb.117:                              ;   in Loop: Header=BB4_49 Depth=1
	s_trap 2
	ds_load_b64 v[96:97], v0
	s_wait_dscnt 0x0
	v_cmp_eq_u64_e32 vcc_lo, 0, v[96:97]
	s_cbranch_vccnz .LBB4_124
; %bb.118:                              ;   in Loop: Header=BB4_49 Depth=1
	s_trap 2
	ds_load_b64 v[12:13], v0
	s_mov_b32 s10, -1
	s_wait_dscnt 0x0
	v_readfirstlane_b32 s11, v12
	s_and_saveexec_b32 s12, s5
	s_cbranch_execz .LBB4_120
; %bb.119:                              ;   in Loop: Header=BB4_49 Depth=1
	ds_load_b32 v11, v0 offset:720
	s_wait_dscnt 0x0
	v_and_b32_e32 v11, 15, v11
	s_delay_alu instid0(VALU_DEP_1)
	v_cmp_eq_u32_e32 vcc_lo, 0, v11
	s_or_not1_b32 s10, vcc_lo, exec_lo
.LBB4_120:                              ;   in Loop: Header=BB4_49 Depth=1
	s_or_b32 exec_lo, exec_lo, s12
	s_and_saveexec_b32 s12, s6
	s_cbranch_execz .LBB4_122
; %bb.121:                              ;   in Loop: Header=BB4_49 Depth=1
	ds_load_b32 v11, v0 offset:784
	s_wait_dscnt 0x0
	v_and_b32_e32 v11, 15, v11
	s_delay_alu instid0(VALU_DEP_1) | instskip(SKIP_3) | instid1(SALU_CYCLE_1)
	v_cmp_eq_u32_e32 vcc_lo, 0, v11
	s_and_b32 s13, s10, vcc_lo
	s_and_not1_b32 s10, s10, exec_lo
	s_and_b32 s13, s13, exec_lo
	s_or_b32 s10, s10, s13
.LBB4_122:                              ;   in Loop: Header=BB4_49 Depth=1
	s_or_b32 exec_lo, exec_lo, s12
	s_xor_b32 s10, s10, -1
	s_mov_b32 s12, -1
	v_cndmask_b32_e64 v11, 0, 1, s10
	v_cmp_eq_u32_e64 s10, 0, v10
	s_delay_alu instid0(VALU_DEP_2)
	v_cmp_ne_u32_e32 vcc_lo, 0, v11
	s_cbranch_vccz .LBB4_125
; %bb.123:                              ;   in Loop: Header=BB4_49 Depth=1
	s_and_b32 s40, s11, 1
	s_mov_b32 s12, 0
	s_mov_b32 s41, -1
	s_branch .LBB4_126
.LBB4_124:                              ;   in Loop: Header=BB4_49 Depth=1
	s_mov_b32 s10, 0
	s_and_saveexec_b32 s11, s2
	s_cbranch_execnz .LBB4_439
	s_branch .LBB4_457
.LBB4_125:                              ;   in Loop: Header=BB4_49 Depth=1
	s_mov_b32 s41, 0
                                        ; implicit-def: $sgpr40
.LBB4_126:                              ;   in Loop: Header=BB4_49 Depth=1
	v_dual_cndmask_b32 v18, 0, v85, s10 :: v_dual_mov_b32 v16, 0
	s_and_not1_b32 vcc_lo, exec_lo, s12
	s_delay_alu instid0(VALU_DEP_1)
	v_lshlrev_b32_e32 v40, 1, v18
	s_cbranch_vccnz .LBB4_203
; %bb.127:                              ;   in Loop: Header=BB4_49 Depth=1
	v_lshrrev_b32_e32 v10, 8, v18
	s_trap 2
	ds_load_b64 v[98:99], v0
	v_add_nc_u64_e32 v[100:101], v[96:97], v[24:25]
	v_dual_sub_nc_u32 v45, v40, v24 :: v_dual_lshlrev_b32 v41, 9, v10
	s_and_b32 s40, s11, 1
	s_mov_b32 s11, 0
	s_mov_b32 s42, exec_lo
	s_delay_alu instid0(VALU_DEP_1) | instskip(NEXT) | instid1(VALU_DEP_1)
	v_dual_sub_nc_u32 v42, v40, v41 :: v_dual_sub_nc_u32 v10, v10, v116
	v_cmp_lt_i32_e64 s10, 15, v42
	s_delay_alu instid0(VALU_DEP_1)
	v_add_co_ci_u32_e64 v43, null, 0, v10, s10
	v_cmpx_lt_i32_e32 15, v45
	s_cbranch_execz .LBB4_205
; %bb.128:                              ;   in Loop: Header=BB4_49 Depth=1
	v_add_nc_u64_e32 v[102:103], v[86:87], v[24:25]
	s_wait_dscnt 0x0
	v_add_nc_u64_e32 v[112:113], v[98:99], v[24:25]
	s_and_b32 s11, 0xffff, s40
	s_mov_b32 s45, 0
	s_cmp_eq_u32 s11, 0
	s_mov_b32 s43, 0
	s_cselect_b32 s11, -1, 0
                                        ; implicit-def: $sgpr44
	s_branch .LBB4_130
.LBB4_129:                              ;   in Loop: Header=BB4_130 Depth=2
	s_or_b32 exec_lo, exec_lo, s12
	s_delay_alu instid0(VALU_DEP_1) | instskip(SKIP_3) | instid1(SALU_CYCLE_1)
	v_cmp_gt_i32_e32 vcc_lo, 16, v45
	s_or_b32 s43, vcc_lo, s43
	s_and_not1_b32 s12, s44, exec_lo
	s_and_b32 s13, s45, exec_lo
	s_or_b32 s44, s12, s13
	s_and_not1_b32 exec_lo, exec_lo, s43
	s_cbranch_execz .LBB4_204
.LBB4_130:                              ;   Parent Loop BB4_49 Depth=1
                                        ; =>  This Loop Header: Depth=2
                                        ;       Child Loop BB4_131 Depth 3
                                        ;       Child Loop BB4_168 Depth 3
	s_add_co_i32 s12, s33, 0x50
	s_mov_b64 s[14:15], 0
	s_mov_b32 s46, s12
	s_mov_b32 s47, -1
.LBB4_131:                              ;   Parent Loop BB4_49 Depth=1
                                        ;     Parent Loop BB4_130 Depth=2
                                        ; =>    This Inner Loop Header: Depth=3
	s_cmp_eq_u32 s14, 1
	s_cselect_b32 vcc_lo, -1, 0
	s_cmp_eq_u32 s14, 0
	v_dual_cndmask_b32 v15, v103, v113 :: v_dual_cndmask_b32 v14, v102, v112
	s_cselect_b32 s12, -1, 0
	s_and_b32 s13, exec_lo, s47
	s_mov_b64 s[14:15], 1
	s_mov_b32 s47, 0
	global_load_b128 v[10:13], v[14:15], off th:TH_LOAD_NT
	s_wait_xcnt 0x0
	v_add_nc_u64_e32 v[14:15], 0x200, v[14:15]
	s_delay_alu instid0(VALU_DEP_1)
	v_dual_cndmask_b32 v103, v103, v15, s12 :: v_dual_cndmask_b32 v102, v102, v14, s12
	v_dual_cndmask_b32 v113, v113, v15 :: v_dual_cndmask_b32 v112, v112, v14
	s_mov_b32 vcc_lo, s13
	s_wait_loadcnt 0x0
	scratch_store_b128 off, v[10:13], s46
	s_wait_xcnt 0x0
	s_mov_b32 s46, s24
	s_cbranch_vccnz .LBB4_131
; %bb.132:                              ;   in Loop: Header=BB4_130 Depth=2
	s_and_saveexec_b32 s12, s45
	s_cbranch_execz .LBB4_166
; %bb.133:                              ;   in Loop: Header=BB4_130 Depth=2
	s_clause 0x1
	scratch_load_b128 v[14:17], off, s33 offset:128
	scratch_load_b128 v[10:13], off, s33 offset:112
	s_wait_loadcnt 0x0
	v_lshlrev_b32_e32 v47, 16, v10
	s_delay_alu instid0(VALU_DEP_1) | instskip(NEXT) | instid1(VALU_DEP_1)
	v_dual_max_num_f32 v47, v47, v47 :: v_dual_lshlrev_b32 v46, 16, v14
	v_max_num_f32_e32 v46, v46, v46
	s_delay_alu instid0(VALU_DEP_1) | instskip(NEXT) | instid1(VALU_DEP_1)
	v_dual_min_num_f32 v56, v47, v46 :: v_dual_max_num_f32 v46, v47, v46
	v_cndmask_b32_e64 v47, v46, v56, s11
	s_delay_alu instid0(VALU_DEP_1) | instskip(NEXT) | instid1(VALU_DEP_1)
	v_and_b32_e32 v46, 0x7f800000, v47
	v_cmp_ne_u32_e32 vcc_lo, 0x7f800000, v46
                                        ; implicit-def: $vgpr46
	s_wait_xcnt 0x0
	s_and_saveexec_b32 s13, vcc_lo
	s_delay_alu instid0(SALU_CYCLE_1)
	s_xor_b32 s13, exec_lo, s13
; %bb.134:                              ;   in Loop: Header=BB4_130 Depth=2
	v_bfe_u32 v46, v47, 16, 1
	s_delay_alu instid0(VALU_DEP_1)
	v_add3_u32 v46, v47, v46, 0x7fff
                                        ; implicit-def: $vgpr47
; %bb.135:                              ;   in Loop: Header=BB4_130 Depth=2
	s_and_not1_saveexec_b32 s13, s13
; %bb.136:                              ;   in Loop: Header=BB4_130 Depth=2
	v_and_b32_e32 v46, 0xffff, v47
	v_or_b32_e32 v56, 0x10000, v47
	s_delay_alu instid0(VALU_DEP_2) | instskip(NEXT) | instid1(VALU_DEP_2)
	v_cmp_eq_u32_e32 vcc_lo, 0, v46
	v_cndmask_b32_e32 v46, v56, v47, vcc_lo
; %bb.137:                              ;   in Loop: Header=BB4_130 Depth=2
	s_or_b32 exec_lo, exec_lo, s13
	v_and_b32_e32 v14, 0xffff0000, v14
	v_and_b32_e32 v10, 0xffff0000, v10
	s_delay_alu instid0(VALU_DEP_2) | instskip(NEXT) | instid1(VALU_DEP_2)
	v_max_num_f32_e32 v14, v14, v14
	v_max_num_f32_e32 v10, v10, v10
	s_delay_alu instid0(VALU_DEP_1) | instskip(NEXT) | instid1(VALU_DEP_1)
	v_dual_min_num_f32 v47, v10, v14 :: v_dual_max_num_f32 v10, v10, v14
	v_cndmask_b32_e64 v14, v10, v47, s11
	s_delay_alu instid0(VALU_DEP_1) | instskip(NEXT) | instid1(VALU_DEP_1)
	v_and_b32_e32 v10, 0x7f800000, v14
	v_cmp_ne_u32_e32 vcc_lo, 0x7f800000, v10
                                        ; implicit-def: $vgpr10
	s_and_saveexec_b32 s13, vcc_lo
	s_delay_alu instid0(SALU_CYCLE_1)
	s_xor_b32 s13, exec_lo, s13
; %bb.138:                              ;   in Loop: Header=BB4_130 Depth=2
	v_bfe_u32 v10, v14, 16, 1
	s_delay_alu instid0(VALU_DEP_1)
	v_add3_u32 v10, v14, v10, 0x7fff
                                        ; implicit-def: $vgpr14
; %bb.139:                              ;   in Loop: Header=BB4_130 Depth=2
	s_and_not1_saveexec_b32 s13, s13
; %bb.140:                              ;   in Loop: Header=BB4_130 Depth=2
	v_and_b32_e32 v10, 0xffff, v14
	v_or_b32_e32 v47, 0x10000, v14
	s_delay_alu instid0(VALU_DEP_2) | instskip(NEXT) | instid1(VALU_DEP_2)
	v_cmp_eq_u32_e32 vcc_lo, 0, v10
	v_cndmask_b32_e32 v10, v47, v14, vcc_lo
; %bb.141:                              ;   in Loop: Header=BB4_130 Depth=2
	s_or_b32 exec_lo, exec_lo, s13
	v_lshlrev_b32_e32 v14, 16, v15
	s_delay_alu instid0(VALU_DEP_1) | instskip(NEXT) | instid1(VALU_DEP_1)
	v_dual_max_num_f32 v14, v14, v14 :: v_dual_lshlrev_b32 v47, 16, v11
	v_max_num_f32_e32 v47, v47, v47
	s_delay_alu instid0(VALU_DEP_1) | instskip(NEXT) | instid1(VALU_DEP_1)
	v_dual_min_num_f32 v56, v47, v14 :: v_dual_max_num_f32 v14, v47, v14
	v_cndmask_b32_e64 v47, v14, v56, s11
	s_delay_alu instid0(VALU_DEP_1) | instskip(NEXT) | instid1(VALU_DEP_1)
	v_and_b32_e32 v14, 0x7f800000, v47
	v_cmp_ne_u32_e32 vcc_lo, 0x7f800000, v14
                                        ; implicit-def: $vgpr14
	s_and_saveexec_b32 s13, vcc_lo
	s_delay_alu instid0(SALU_CYCLE_1)
	s_xor_b32 s13, exec_lo, s13
; %bb.142:                              ;   in Loop: Header=BB4_130 Depth=2
	v_bfe_u32 v14, v47, 16, 1
	s_delay_alu instid0(VALU_DEP_1)
	v_add3_u32 v14, v47, v14, 0x7fff
                                        ; implicit-def: $vgpr47
; %bb.143:                              ;   in Loop: Header=BB4_130 Depth=2
	s_and_not1_saveexec_b32 s13, s13
; %bb.144:                              ;   in Loop: Header=BB4_130 Depth=2
	v_and_b32_e32 v14, 0xffff, v47
	v_or_b32_e32 v56, 0x10000, v47
	s_delay_alu instid0(VALU_DEP_2) | instskip(NEXT) | instid1(VALU_DEP_2)
	v_cmp_eq_u32_e32 vcc_lo, 0, v14
	v_cndmask_b32_e32 v14, v56, v47, vcc_lo
; %bb.145:                              ;   in Loop: Header=BB4_130 Depth=2
	s_or_b32 exec_lo, exec_lo, s13
	v_and_b32_e32 v15, 0xffff0000, v15
	v_and_b32_e32 v11, 0xffff0000, v11
	s_delay_alu instid0(VALU_DEP_2) | instskip(NEXT) | instid1(VALU_DEP_2)
	v_max_num_f32_e32 v15, v15, v15
	v_max_num_f32_e32 v11, v11, v11
	s_delay_alu instid0(VALU_DEP_1) | instskip(NEXT) | instid1(VALU_DEP_1)
	v_dual_min_num_f32 v47, v11, v15 :: v_dual_max_num_f32 v11, v11, v15
	v_cndmask_b32_e64 v15, v11, v47, s11
	s_delay_alu instid0(VALU_DEP_1) | instskip(NEXT) | instid1(VALU_DEP_1)
	v_and_b32_e32 v11, 0x7f800000, v15
	v_cmp_ne_u32_e32 vcc_lo, 0x7f800000, v11
                                        ; implicit-def: $vgpr11
	s_and_saveexec_b32 s13, vcc_lo
	s_delay_alu instid0(SALU_CYCLE_1)
	s_xor_b32 s13, exec_lo, s13
; %bb.146:                              ;   in Loop: Header=BB4_130 Depth=2
	v_bfe_u32 v11, v15, 16, 1
	s_delay_alu instid0(VALU_DEP_1)
	v_add3_u32 v11, v15, v11, 0x7fff
                                        ; implicit-def: $vgpr15
; %bb.147:                              ;   in Loop: Header=BB4_130 Depth=2
	s_and_not1_saveexec_b32 s13, s13
; %bb.148:                              ;   in Loop: Header=BB4_130 Depth=2
	v_and_b32_e32 v11, 0xffff, v15
	v_or_b32_e32 v47, 0x10000, v15
	s_delay_alu instid0(VALU_DEP_2) | instskip(NEXT) | instid1(VALU_DEP_2)
	v_cmp_eq_u32_e32 vcc_lo, 0, v11
	v_cndmask_b32_e32 v11, v47, v15, vcc_lo
; %bb.149:                              ;   in Loop: Header=BB4_130 Depth=2
	s_or_b32 exec_lo, exec_lo, s13
	v_lshlrev_b32_e32 v47, 16, v12
	s_delay_alu instid0(VALU_DEP_1) | instskip(NEXT) | instid1(VALU_DEP_1)
	v_dual_lshlrev_b32 v15, 16, v16 :: v_dual_max_num_f32 v47, v47, v47
	v_max_num_f32_e32 v15, v15, v15
	s_delay_alu instid0(VALU_DEP_1) | instskip(NEXT) | instid1(VALU_DEP_1)
	v_dual_min_num_f32 v56, v47, v15 :: v_dual_max_num_f32 v15, v47, v15
	v_cndmask_b32_e64 v47, v15, v56, s11
	s_delay_alu instid0(VALU_DEP_1) | instskip(NEXT) | instid1(VALU_DEP_1)
	v_and_b32_e32 v15, 0x7f800000, v47
	v_cmp_ne_u32_e32 vcc_lo, 0x7f800000, v15
                                        ; implicit-def: $vgpr15
	s_and_saveexec_b32 s13, vcc_lo
	s_delay_alu instid0(SALU_CYCLE_1)
	s_xor_b32 s13, exec_lo, s13
; %bb.150:                              ;   in Loop: Header=BB4_130 Depth=2
	v_bfe_u32 v15, v47, 16, 1
	s_delay_alu instid0(VALU_DEP_1)
	v_add3_u32 v15, v47, v15, 0x7fff
                                        ; implicit-def: $vgpr47
; %bb.151:                              ;   in Loop: Header=BB4_130 Depth=2
	s_and_not1_saveexec_b32 s13, s13
; %bb.152:                              ;   in Loop: Header=BB4_130 Depth=2
	v_and_b32_e32 v15, 0xffff, v47
	v_or_b32_e32 v56, 0x10000, v47
	s_delay_alu instid0(VALU_DEP_2) | instskip(NEXT) | instid1(VALU_DEP_2)
	v_cmp_eq_u32_e32 vcc_lo, 0, v15
	v_cndmask_b32_e32 v15, v56, v47, vcc_lo
; %bb.153:                              ;   in Loop: Header=BB4_130 Depth=2
	s_or_b32 exec_lo, exec_lo, s13
	v_and_b32_e32 v16, 0xffff0000, v16
	v_and_b32_e32 v12, 0xffff0000, v12
	s_delay_alu instid0(VALU_DEP_2) | instskip(NEXT) | instid1(VALU_DEP_2)
	v_max_num_f32_e32 v16, v16, v16
	v_max_num_f32_e32 v12, v12, v12
	s_delay_alu instid0(VALU_DEP_1) | instskip(NEXT) | instid1(VALU_DEP_1)
	v_dual_min_num_f32 v47, v12, v16 :: v_dual_max_num_f32 v12, v12, v16
	v_cndmask_b32_e64 v16, v12, v47, s11
	s_delay_alu instid0(VALU_DEP_1) | instskip(NEXT) | instid1(VALU_DEP_1)
	v_and_b32_e32 v12, 0x7f800000, v16
	v_cmp_ne_u32_e32 vcc_lo, 0x7f800000, v12
                                        ; implicit-def: $vgpr12
	s_and_saveexec_b32 s13, vcc_lo
	s_delay_alu instid0(SALU_CYCLE_1)
	s_xor_b32 s13, exec_lo, s13
; %bb.154:                              ;   in Loop: Header=BB4_130 Depth=2
	v_bfe_u32 v12, v16, 16, 1
	s_delay_alu instid0(VALU_DEP_1)
	v_add3_u32 v12, v16, v12, 0x7fff
                                        ; implicit-def: $vgpr16
; %bb.155:                              ;   in Loop: Header=BB4_130 Depth=2
	s_and_not1_saveexec_b32 s13, s13
; %bb.156:                              ;   in Loop: Header=BB4_130 Depth=2
	v_and_b32_e32 v12, 0xffff, v16
	v_or_b32_e32 v47, 0x10000, v16
	s_delay_alu instid0(VALU_DEP_2) | instskip(NEXT) | instid1(VALU_DEP_2)
	v_cmp_eq_u32_e32 vcc_lo, 0, v12
	v_cndmask_b32_e32 v12, v47, v16, vcc_lo
; %bb.157:                              ;   in Loop: Header=BB4_130 Depth=2
	s_or_b32 exec_lo, exec_lo, s13
	v_lshlrev_b32_e32 v47, 16, v13
	s_delay_alu instid0(VALU_DEP_1) | instskip(NEXT) | instid1(VALU_DEP_1)
	v_dual_max_num_f32 v47, v47, v47 :: v_dual_lshlrev_b32 v16, 16, v17
	v_max_num_f32_e32 v16, v16, v16
	s_delay_alu instid0(VALU_DEP_1) | instskip(NEXT) | instid1(VALU_DEP_1)
	v_dual_min_num_f32 v56, v47, v16 :: v_dual_max_num_f32 v16, v47, v16
	v_cndmask_b32_e64 v47, v16, v56, s11
	s_delay_alu instid0(VALU_DEP_1) | instskip(NEXT) | instid1(VALU_DEP_1)
	v_and_b32_e32 v16, 0x7f800000, v47
	v_cmp_ne_u32_e32 vcc_lo, 0x7f800000, v16
                                        ; implicit-def: $vgpr16
	s_and_saveexec_b32 s13, vcc_lo
	s_delay_alu instid0(SALU_CYCLE_1)
	s_xor_b32 s13, exec_lo, s13
; %bb.158:                              ;   in Loop: Header=BB4_130 Depth=2
	v_bfe_u32 v16, v47, 16, 1
	s_delay_alu instid0(VALU_DEP_1)
	v_add3_u32 v16, v47, v16, 0x7fff
                                        ; implicit-def: $vgpr47
; %bb.159:                              ;   in Loop: Header=BB4_130 Depth=2
	s_and_not1_saveexec_b32 s13, s13
; %bb.160:                              ;   in Loop: Header=BB4_130 Depth=2
	v_and_b32_e32 v16, 0xffff, v47
	v_or_b32_e32 v56, 0x10000, v47
	s_delay_alu instid0(VALU_DEP_2) | instskip(NEXT) | instid1(VALU_DEP_2)
	v_cmp_eq_u32_e32 vcc_lo, 0, v16
	v_cndmask_b32_e32 v16, v56, v47, vcc_lo
; %bb.161:                              ;   in Loop: Header=BB4_130 Depth=2
	s_or_b32 exec_lo, exec_lo, s13
	v_and_b32_e32 v17, 0xffff0000, v17
	v_and_b32_e32 v13, 0xffff0000, v13
	s_delay_alu instid0(VALU_DEP_2) | instskip(NEXT) | instid1(VALU_DEP_2)
	v_max_num_f32_e32 v17, v17, v17
	v_max_num_f32_e32 v13, v13, v13
	s_delay_alu instid0(VALU_DEP_1) | instskip(NEXT) | instid1(VALU_DEP_1)
	v_dual_min_num_f32 v47, v13, v17 :: v_dual_max_num_f32 v13, v13, v17
	v_cndmask_b32_e64 v17, v13, v47, s11
	s_delay_alu instid0(VALU_DEP_1) | instskip(NEXT) | instid1(VALU_DEP_1)
	v_and_b32_e32 v13, 0x7f800000, v17
	v_cmp_ne_u32_e32 vcc_lo, 0x7f800000, v13
                                        ; implicit-def: $vgpr13
	s_and_saveexec_b32 s13, vcc_lo
	s_delay_alu instid0(SALU_CYCLE_1)
	s_xor_b32 s13, exec_lo, s13
; %bb.162:                              ;   in Loop: Header=BB4_130 Depth=2
	v_bfe_u32 v13, v17, 16, 1
	s_delay_alu instid0(VALU_DEP_1)
	v_add3_u32 v13, v17, v13, 0x7fff
                                        ; implicit-def: $vgpr17
; %bb.163:                              ;   in Loop: Header=BB4_130 Depth=2
	s_and_not1_saveexec_b32 s13, s13
; %bb.164:                              ;   in Loop: Header=BB4_130 Depth=2
	v_and_b32_e32 v13, 0xffff, v17
	v_or_b32_e32 v47, 0x10000, v17
	s_delay_alu instid0(VALU_DEP_2) | instskip(NEXT) | instid1(VALU_DEP_2)
	v_cmp_eq_u32_e32 vcc_lo, 0, v13
	v_cndmask_b32_e32 v13, v47, v17, vcc_lo
; %bb.165:                              ;   in Loop: Header=BB4_130 Depth=2
	s_or_b32 exec_lo, exec_lo, s13
	v_dual_lshrrev_b32 v14, 16, v14 :: v_dual_lshrrev_b32 v15, 16, v15
	v_dual_lshrrev_b32 v17, 16, v46 :: v_dual_lshrrev_b32 v16, 16, v16
	s_delay_alu instid0(VALU_DEP_2) | instskip(NEXT) | instid1(VALU_DEP_3)
	v_and_or_b32 v11, 0xffff0000, v11, v14
	v_and_or_b32 v12, 0xffff0000, v12, v15
	s_delay_alu instid0(VALU_DEP_3) | instskip(NEXT) | instid1(VALU_DEP_4)
	v_and_or_b32 v10, 0xffff0000, v10, v17
	v_and_or_b32 v13, 0xffff0000, v13, v16
	global_store_b128 v[100:101], v[10:13], off th:TH_STORE_NT
	s_wait_xcnt 0x0
	v_add_nc_u64_e32 v[100:101], v[66:67], v[100:101]
	scratch_store_b128 off, v[10:13], s33 offset:112
.LBB4_166:                              ;   in Loop: Header=BB4_130 Depth=2
	s_wait_xcnt 0x0
	s_or_b32 exec_lo, exec_lo, s12
	v_sub_nc_u32_e32 v45, v45, v115
	v_add_nc_u64_e32 v[102:103], v[102:103], v[22:23]
	v_add_nc_u64_e32 v[112:113], v[112:113], v[22:23]
	s_delay_alu instid0(VALU_DEP_3)
	v_cmp_lt_i32_e64 s45, 15, v45
	s_and_saveexec_b32 s46, s45
	s_cbranch_execz .LBB4_169
; %bb.167:                              ;   in Loop: Header=BB4_130 Depth=2
	s_add_co_i32 s12, s33, 0x70
	s_mov_b64 s[14:15], 0
	s_mov_b32 s47, s12
	s_mov_b32 s56, -1
.LBB4_168:                              ;   Parent Loop BB4_49 Depth=1
                                        ;     Parent Loop BB4_130 Depth=2
                                        ; =>    This Inner Loop Header: Depth=3
	s_cmp_eq_u32 s14, 1
	s_cselect_b32 vcc_lo, -1, 0
	s_cmp_eq_u32 s14, 0
	v_dual_cndmask_b32 v15, v103, v113 :: v_dual_cndmask_b32 v14, v102, v112
	s_cselect_b32 s12, -1, 0
	s_and_b32 s13, exec_lo, s56
	s_mov_b64 s[14:15], 1
	s_mov_b32 s56, 0
	global_load_b128 v[10:13], v[14:15], off th:TH_LOAD_NT
	s_wait_xcnt 0x0
	v_add_nc_u64_e32 v[14:15], 0x200, v[14:15]
	s_delay_alu instid0(VALU_DEP_1)
	v_dual_cndmask_b32 v103, v103, v15, s12 :: v_dual_cndmask_b32 v102, v102, v14, s12
	v_dual_cndmask_b32 v113, v113, v15 :: v_dual_cndmask_b32 v112, v112, v14
	s_mov_b32 vcc_lo, s13
	s_wait_loadcnt 0x0
	scratch_store_b128 off, v[10:13], s47
	s_wait_xcnt 0x0
	s_mov_b32 s47, s23
	s_cbranch_vccnz .LBB4_168
.LBB4_169:                              ;   in Loop: Header=BB4_130 Depth=2
	s_or_b32 exec_lo, exec_lo, s46
	s_clause 0x1
	scratch_load_b128 v[14:17], off, s33 offset:96
	scratch_load_b128 v[10:13], off, s33 offset:80
	s_wait_loadcnt 0x0
	v_lshlrev_b32_e32 v47, 16, v10
	s_delay_alu instid0(VALU_DEP_1) | instskip(NEXT) | instid1(VALU_DEP_1)
	v_dual_max_num_f32 v47, v47, v47 :: v_dual_lshlrev_b32 v46, 16, v14
	v_max_num_f32_e32 v46, v46, v46
	s_delay_alu instid0(VALU_DEP_1) | instskip(NEXT) | instid1(VALU_DEP_1)
	v_dual_min_num_f32 v56, v47, v46 :: v_dual_max_num_f32 v46, v47, v46
	v_cndmask_b32_e64 v47, v46, v56, s11
	s_delay_alu instid0(VALU_DEP_1) | instskip(NEXT) | instid1(VALU_DEP_1)
	v_and_b32_e32 v46, 0x7f800000, v47
	v_cmp_ne_u32_e32 vcc_lo, 0x7f800000, v46
                                        ; implicit-def: $vgpr46
	s_wait_xcnt 0x0
	s_and_saveexec_b32 s12, vcc_lo
	s_delay_alu instid0(SALU_CYCLE_1)
	s_xor_b32 s12, exec_lo, s12
; %bb.170:                              ;   in Loop: Header=BB4_130 Depth=2
	v_bfe_u32 v46, v47, 16, 1
	s_delay_alu instid0(VALU_DEP_1)
	v_add3_u32 v46, v47, v46, 0x7fff
                                        ; implicit-def: $vgpr47
; %bb.171:                              ;   in Loop: Header=BB4_130 Depth=2
	s_and_not1_saveexec_b32 s12, s12
; %bb.172:                              ;   in Loop: Header=BB4_130 Depth=2
	v_and_b32_e32 v46, 0xffff, v47
	v_or_b32_e32 v56, 0x10000, v47
	s_delay_alu instid0(VALU_DEP_2) | instskip(NEXT) | instid1(VALU_DEP_2)
	v_cmp_eq_u32_e32 vcc_lo, 0, v46
	v_cndmask_b32_e32 v46, v56, v47, vcc_lo
; %bb.173:                              ;   in Loop: Header=BB4_130 Depth=2
	s_or_b32 exec_lo, exec_lo, s12
	v_and_b32_e32 v14, 0xffff0000, v14
	v_and_b32_e32 v10, 0xffff0000, v10
	s_delay_alu instid0(VALU_DEP_2) | instskip(NEXT) | instid1(VALU_DEP_2)
	v_max_num_f32_e32 v14, v14, v14
	v_max_num_f32_e32 v10, v10, v10
	s_delay_alu instid0(VALU_DEP_1) | instskip(NEXT) | instid1(VALU_DEP_1)
	v_dual_min_num_f32 v47, v10, v14 :: v_dual_max_num_f32 v10, v10, v14
	v_cndmask_b32_e64 v14, v10, v47, s11
	s_delay_alu instid0(VALU_DEP_1) | instskip(NEXT) | instid1(VALU_DEP_1)
	v_and_b32_e32 v10, 0x7f800000, v14
	v_cmp_ne_u32_e32 vcc_lo, 0x7f800000, v10
                                        ; implicit-def: $vgpr10
	s_and_saveexec_b32 s12, vcc_lo
	s_delay_alu instid0(SALU_CYCLE_1)
	s_xor_b32 s12, exec_lo, s12
; %bb.174:                              ;   in Loop: Header=BB4_130 Depth=2
	v_bfe_u32 v10, v14, 16, 1
	s_delay_alu instid0(VALU_DEP_1)
	v_add3_u32 v10, v14, v10, 0x7fff
                                        ; implicit-def: $vgpr14
; %bb.175:                              ;   in Loop: Header=BB4_130 Depth=2
	s_and_not1_saveexec_b32 s12, s12
; %bb.176:                              ;   in Loop: Header=BB4_130 Depth=2
	v_and_b32_e32 v10, 0xffff, v14
	v_or_b32_e32 v47, 0x10000, v14
	s_delay_alu instid0(VALU_DEP_2) | instskip(NEXT) | instid1(VALU_DEP_2)
	v_cmp_eq_u32_e32 vcc_lo, 0, v10
	v_cndmask_b32_e32 v10, v47, v14, vcc_lo
; %bb.177:                              ;   in Loop: Header=BB4_130 Depth=2
	s_or_b32 exec_lo, exec_lo, s12
	v_lshlrev_b32_e32 v14, 16, v15
	s_delay_alu instid0(VALU_DEP_1) | instskip(NEXT) | instid1(VALU_DEP_1)
	v_dual_max_num_f32 v14, v14, v14 :: v_dual_lshlrev_b32 v47, 16, v11
	v_max_num_f32_e32 v47, v47, v47
	s_delay_alu instid0(VALU_DEP_1) | instskip(NEXT) | instid1(VALU_DEP_1)
	v_dual_min_num_f32 v56, v47, v14 :: v_dual_max_num_f32 v14, v47, v14
	v_cndmask_b32_e64 v47, v14, v56, s11
	s_delay_alu instid0(VALU_DEP_1) | instskip(NEXT) | instid1(VALU_DEP_1)
	v_and_b32_e32 v14, 0x7f800000, v47
	v_cmp_ne_u32_e32 vcc_lo, 0x7f800000, v14
                                        ; implicit-def: $vgpr14
	s_and_saveexec_b32 s12, vcc_lo
	s_delay_alu instid0(SALU_CYCLE_1)
	s_xor_b32 s12, exec_lo, s12
; %bb.178:                              ;   in Loop: Header=BB4_130 Depth=2
	v_bfe_u32 v14, v47, 16, 1
	s_delay_alu instid0(VALU_DEP_1)
	v_add3_u32 v14, v47, v14, 0x7fff
                                        ; implicit-def: $vgpr47
; %bb.179:                              ;   in Loop: Header=BB4_130 Depth=2
	s_and_not1_saveexec_b32 s12, s12
; %bb.180:                              ;   in Loop: Header=BB4_130 Depth=2
	v_and_b32_e32 v14, 0xffff, v47
	v_or_b32_e32 v56, 0x10000, v47
	s_delay_alu instid0(VALU_DEP_2) | instskip(NEXT) | instid1(VALU_DEP_2)
	v_cmp_eq_u32_e32 vcc_lo, 0, v14
	v_cndmask_b32_e32 v14, v56, v47, vcc_lo
; %bb.181:                              ;   in Loop: Header=BB4_130 Depth=2
	s_or_b32 exec_lo, exec_lo, s12
	v_and_b32_e32 v15, 0xffff0000, v15
	v_and_b32_e32 v11, 0xffff0000, v11
	s_delay_alu instid0(VALU_DEP_2) | instskip(NEXT) | instid1(VALU_DEP_2)
	v_max_num_f32_e32 v15, v15, v15
	v_max_num_f32_e32 v11, v11, v11
	s_delay_alu instid0(VALU_DEP_1) | instskip(NEXT) | instid1(VALU_DEP_1)
	v_dual_min_num_f32 v47, v11, v15 :: v_dual_max_num_f32 v11, v11, v15
	v_cndmask_b32_e64 v15, v11, v47, s11
	s_delay_alu instid0(VALU_DEP_1) | instskip(NEXT) | instid1(VALU_DEP_1)
	v_and_b32_e32 v11, 0x7f800000, v15
	v_cmp_ne_u32_e32 vcc_lo, 0x7f800000, v11
                                        ; implicit-def: $vgpr11
	s_and_saveexec_b32 s12, vcc_lo
	s_delay_alu instid0(SALU_CYCLE_1)
	s_xor_b32 s12, exec_lo, s12
; %bb.182:                              ;   in Loop: Header=BB4_130 Depth=2
	v_bfe_u32 v11, v15, 16, 1
	s_delay_alu instid0(VALU_DEP_1)
	v_add3_u32 v11, v15, v11, 0x7fff
                                        ; implicit-def: $vgpr15
; %bb.183:                              ;   in Loop: Header=BB4_130 Depth=2
	s_and_not1_saveexec_b32 s12, s12
; %bb.184:                              ;   in Loop: Header=BB4_130 Depth=2
	v_and_b32_e32 v11, 0xffff, v15
	v_or_b32_e32 v47, 0x10000, v15
	s_delay_alu instid0(VALU_DEP_2) | instskip(NEXT) | instid1(VALU_DEP_2)
	v_cmp_eq_u32_e32 vcc_lo, 0, v11
	v_cndmask_b32_e32 v11, v47, v15, vcc_lo
; %bb.185:                              ;   in Loop: Header=BB4_130 Depth=2
	s_or_b32 exec_lo, exec_lo, s12
	v_lshlrev_b32_e32 v47, 16, v12
	s_delay_alu instid0(VALU_DEP_1) | instskip(NEXT) | instid1(VALU_DEP_1)
	v_dual_lshlrev_b32 v15, 16, v16 :: v_dual_max_num_f32 v47, v47, v47
	v_max_num_f32_e32 v15, v15, v15
	s_delay_alu instid0(VALU_DEP_1) | instskip(NEXT) | instid1(VALU_DEP_1)
	v_dual_min_num_f32 v56, v47, v15 :: v_dual_max_num_f32 v15, v47, v15
	v_cndmask_b32_e64 v47, v15, v56, s11
	s_delay_alu instid0(VALU_DEP_1) | instskip(NEXT) | instid1(VALU_DEP_1)
	v_and_b32_e32 v15, 0x7f800000, v47
	v_cmp_ne_u32_e32 vcc_lo, 0x7f800000, v15
                                        ; implicit-def: $vgpr15
	s_and_saveexec_b32 s12, vcc_lo
	s_delay_alu instid0(SALU_CYCLE_1)
	s_xor_b32 s12, exec_lo, s12
; %bb.186:                              ;   in Loop: Header=BB4_130 Depth=2
	v_bfe_u32 v15, v47, 16, 1
	s_delay_alu instid0(VALU_DEP_1)
	v_add3_u32 v15, v47, v15, 0x7fff
                                        ; implicit-def: $vgpr47
; %bb.187:                              ;   in Loop: Header=BB4_130 Depth=2
	s_and_not1_saveexec_b32 s12, s12
; %bb.188:                              ;   in Loop: Header=BB4_130 Depth=2
	v_and_b32_e32 v15, 0xffff, v47
	v_or_b32_e32 v56, 0x10000, v47
	s_delay_alu instid0(VALU_DEP_2) | instskip(NEXT) | instid1(VALU_DEP_2)
	v_cmp_eq_u32_e32 vcc_lo, 0, v15
	v_cndmask_b32_e32 v15, v56, v47, vcc_lo
; %bb.189:                              ;   in Loop: Header=BB4_130 Depth=2
	s_or_b32 exec_lo, exec_lo, s12
	v_and_b32_e32 v16, 0xffff0000, v16
	v_and_b32_e32 v12, 0xffff0000, v12
	s_delay_alu instid0(VALU_DEP_2) | instskip(NEXT) | instid1(VALU_DEP_2)
	v_max_num_f32_e32 v16, v16, v16
	v_max_num_f32_e32 v12, v12, v12
	s_delay_alu instid0(VALU_DEP_1) | instskip(NEXT) | instid1(VALU_DEP_1)
	v_dual_min_num_f32 v47, v12, v16 :: v_dual_max_num_f32 v12, v12, v16
	v_cndmask_b32_e64 v16, v12, v47, s11
	s_delay_alu instid0(VALU_DEP_1) | instskip(NEXT) | instid1(VALU_DEP_1)
	v_and_b32_e32 v12, 0x7f800000, v16
	v_cmp_ne_u32_e32 vcc_lo, 0x7f800000, v12
                                        ; implicit-def: $vgpr12
	s_and_saveexec_b32 s12, vcc_lo
	s_delay_alu instid0(SALU_CYCLE_1)
	s_xor_b32 s12, exec_lo, s12
; %bb.190:                              ;   in Loop: Header=BB4_130 Depth=2
	v_bfe_u32 v12, v16, 16, 1
	s_delay_alu instid0(VALU_DEP_1)
	v_add3_u32 v12, v16, v12, 0x7fff
                                        ; implicit-def: $vgpr16
; %bb.191:                              ;   in Loop: Header=BB4_130 Depth=2
	s_and_not1_saveexec_b32 s12, s12
; %bb.192:                              ;   in Loop: Header=BB4_130 Depth=2
	v_and_b32_e32 v12, 0xffff, v16
	v_or_b32_e32 v47, 0x10000, v16
	s_delay_alu instid0(VALU_DEP_2) | instskip(NEXT) | instid1(VALU_DEP_2)
	v_cmp_eq_u32_e32 vcc_lo, 0, v12
	v_cndmask_b32_e32 v12, v47, v16, vcc_lo
; %bb.193:                              ;   in Loop: Header=BB4_130 Depth=2
	s_or_b32 exec_lo, exec_lo, s12
	v_lshlrev_b32_e32 v47, 16, v13
	s_delay_alu instid0(VALU_DEP_1) | instskip(NEXT) | instid1(VALU_DEP_1)
	v_dual_max_num_f32 v47, v47, v47 :: v_dual_lshlrev_b32 v16, 16, v17
	v_max_num_f32_e32 v16, v16, v16
	s_delay_alu instid0(VALU_DEP_1) | instskip(NEXT) | instid1(VALU_DEP_1)
	v_dual_min_num_f32 v56, v47, v16 :: v_dual_max_num_f32 v16, v47, v16
	v_cndmask_b32_e64 v47, v16, v56, s11
	s_delay_alu instid0(VALU_DEP_1) | instskip(NEXT) | instid1(VALU_DEP_1)
	v_and_b32_e32 v16, 0x7f800000, v47
	v_cmp_ne_u32_e32 vcc_lo, 0x7f800000, v16
                                        ; implicit-def: $vgpr16
	s_and_saveexec_b32 s12, vcc_lo
	s_delay_alu instid0(SALU_CYCLE_1)
	s_xor_b32 s12, exec_lo, s12
; %bb.194:                              ;   in Loop: Header=BB4_130 Depth=2
	v_bfe_u32 v16, v47, 16, 1
	s_delay_alu instid0(VALU_DEP_1)
	v_add3_u32 v16, v47, v16, 0x7fff
                                        ; implicit-def: $vgpr47
; %bb.195:                              ;   in Loop: Header=BB4_130 Depth=2
	s_and_not1_saveexec_b32 s12, s12
; %bb.196:                              ;   in Loop: Header=BB4_130 Depth=2
	v_and_b32_e32 v16, 0xffff, v47
	v_or_b32_e32 v56, 0x10000, v47
	s_delay_alu instid0(VALU_DEP_2) | instskip(NEXT) | instid1(VALU_DEP_2)
	v_cmp_eq_u32_e32 vcc_lo, 0, v16
	v_cndmask_b32_e32 v16, v56, v47, vcc_lo
; %bb.197:                              ;   in Loop: Header=BB4_130 Depth=2
	s_or_b32 exec_lo, exec_lo, s12
	v_and_b32_e32 v17, 0xffff0000, v17
	v_and_b32_e32 v13, 0xffff0000, v13
	s_delay_alu instid0(VALU_DEP_2) | instskip(NEXT) | instid1(VALU_DEP_2)
	v_max_num_f32_e32 v17, v17, v17
	v_max_num_f32_e32 v13, v13, v13
	s_delay_alu instid0(VALU_DEP_1) | instskip(NEXT) | instid1(VALU_DEP_1)
	v_dual_min_num_f32 v47, v13, v17 :: v_dual_max_num_f32 v13, v13, v17
	v_cndmask_b32_e64 v17, v13, v47, s11
	s_delay_alu instid0(VALU_DEP_1) | instskip(NEXT) | instid1(VALU_DEP_1)
	v_and_b32_e32 v13, 0x7f800000, v17
	v_cmp_ne_u32_e32 vcc_lo, 0x7f800000, v13
                                        ; implicit-def: $vgpr13
	s_and_saveexec_b32 s12, vcc_lo
	s_delay_alu instid0(SALU_CYCLE_1)
	s_xor_b32 s12, exec_lo, s12
; %bb.198:                              ;   in Loop: Header=BB4_130 Depth=2
	v_bfe_u32 v13, v17, 16, 1
	s_delay_alu instid0(VALU_DEP_1)
	v_add3_u32 v13, v17, v13, 0x7fff
                                        ; implicit-def: $vgpr17
; %bb.199:                              ;   in Loop: Header=BB4_130 Depth=2
	s_and_not1_saveexec_b32 s12, s12
; %bb.200:                              ;   in Loop: Header=BB4_130 Depth=2
	v_and_b32_e32 v13, 0xffff, v17
	v_or_b32_e32 v47, 0x10000, v17
	s_delay_alu instid0(VALU_DEP_2) | instskip(NEXT) | instid1(VALU_DEP_2)
	v_cmp_eq_u32_e32 vcc_lo, 0, v13
	v_cndmask_b32_e32 v13, v47, v17, vcc_lo
; %bb.201:                              ;   in Loop: Header=BB4_130 Depth=2
	s_or_b32 exec_lo, exec_lo, s12
	v_dual_lshrrev_b32 v14, 16, v14 :: v_dual_lshrrev_b32 v15, 16, v15
	v_dual_lshrrev_b32 v17, 16, v46 :: v_dual_lshrrev_b32 v16, 16, v16
	v_sub_nc_u32_e32 v43, v43, v20
	s_delay_alu instid0(VALU_DEP_3) | instskip(NEXT) | instid1(VALU_DEP_4)
	v_and_or_b32 v11, 0xffff0000, v11, v14
	v_and_or_b32 v12, 0xffff0000, v12, v15
	s_delay_alu instid0(VALU_DEP_4)
	v_and_or_b32 v10, 0xffff0000, v10, v17
	v_and_or_b32 v13, 0xffff0000, v13, v16
	global_store_b128 v[100:101], v[10:13], off th:TH_STORE_NT
	s_wait_xcnt 0x0
	v_add_nc_u64_e32 v[100:101], 0x200, v[100:101]
	scratch_store_b128 off, v[10:13], s33 offset:80
	s_wait_xcnt 0x0
	s_and_saveexec_b32 s12, s45
	s_cbranch_execz .LBB4_129
; %bb.202:                              ;   in Loop: Header=BB4_130 Depth=2
	v_add_nc_u64_e32 v[102:103], v[102:103], v[22:23]
	v_add_nc_u64_e32 v[112:113], v[112:113], v[22:23]
	;; [unrolled: 1-line block ×3, first 2 shown]
	v_dual_sub_nc_u32 v45, v45, v115 :: v_dual_sub_nc_u32 v43, v43, v20
	s_branch .LBB4_129
.LBB4_203:                              ;   in Loop: Header=BB4_49 Depth=1
	v_dual_mov_b32 v10, v0 :: v_dual_mov_b32 v17, v114
	s_and_saveexec_b32 s13, s41
	s_cbranch_execnz .LBB4_355
	s_branch .LBB4_438
.LBB4_204:                              ;   in Loop: Header=BB4_49 Depth=1
	s_or_b32 exec_lo, exec_lo, s43
	s_delay_alu instid0(SALU_CYCLE_1)
	s_and_b32 s11, s44, exec_lo
.LBB4_205:                              ;   in Loop: Header=BB4_49 Depth=1
	s_or_b32 exec_lo, exec_lo, s42
	s_and_saveexec_b32 s12, s11
	s_cbranch_execz .LBB4_239
; %bb.206:                              ;   in Loop: Header=BB4_49 Depth=1
	s_clause 0x1
	scratch_load_b128 v[14:17], off, s33 offset:128
	scratch_load_b128 v[10:13], off, s33 offset:112
	s_and_b32 s11, 0xffff, s40
	s_delay_alu instid0(SALU_CYCLE_1) | instskip(SKIP_3) | instid1(VALU_DEP_1)
	s_cmp_eq_u32 s11, 0
	s_cselect_b32 vcc_lo, -1, 0
	s_wait_loadcnt 0x0
	v_lshlrev_b32_e32 v103, 16, v10
	v_dual_max_num_f32 v103, v103, v103 :: v_dual_lshlrev_b32 v102, 16, v14
	s_delay_alu instid0(VALU_DEP_1) | instskip(NEXT) | instid1(VALU_DEP_1)
	v_max_num_f32_e32 v102, v102, v102
	v_dual_min_num_f32 v112, v103, v102 :: v_dual_max_num_f32 v102, v103, v102
	s_delay_alu instid0(VALU_DEP_1) | instskip(NEXT) | instid1(VALU_DEP_1)
	v_cndmask_b32_e32 v103, v102, v112, vcc_lo
	v_and_b32_e32 v102, 0x7f800000, v103
	s_delay_alu instid0(VALU_DEP_1) | instskip(SKIP_2) | instid1(SALU_CYCLE_1)
	v_cmp_ne_u32_e64 s11, 0x7f800000, v102
                                        ; implicit-def: $vgpr102
	s_wait_xcnt 0x0
	s_and_saveexec_b32 s13, s11
	s_xor_b32 s11, exec_lo, s13
; %bb.207:                              ;   in Loop: Header=BB4_49 Depth=1
	v_bfe_u32 v102, v103, 16, 1
	s_delay_alu instid0(VALU_DEP_1)
	v_add3_u32 v102, v103, v102, 0x7fff
                                        ; implicit-def: $vgpr103
; %bb.208:                              ;   in Loop: Header=BB4_49 Depth=1
	s_and_not1_saveexec_b32 s13, s11
; %bb.209:                              ;   in Loop: Header=BB4_49 Depth=1
	v_and_b32_e32 v102, 0xffff, v103
	v_or_b32_e32 v112, 0x10000, v103
	s_delay_alu instid0(VALU_DEP_2) | instskip(NEXT) | instid1(VALU_DEP_1)
	v_cmp_eq_u32_e64 s11, 0, v102
	v_cndmask_b32_e64 v102, v112, v103, s11
; %bb.210:                              ;   in Loop: Header=BB4_49 Depth=1
	s_or_b32 exec_lo, exec_lo, s13
	v_and_b32_e32 v14, 0xffff0000, v14
	v_and_b32_e32 v10, 0xffff0000, v10
	s_delay_alu instid0(VALU_DEP_2) | instskip(NEXT) | instid1(VALU_DEP_2)
	v_max_num_f32_e32 v14, v14, v14
	v_max_num_f32_e32 v10, v10, v10
	s_delay_alu instid0(VALU_DEP_1) | instskip(NEXT) | instid1(VALU_DEP_1)
	v_dual_min_num_f32 v103, v10, v14 :: v_dual_max_num_f32 v10, v10, v14
	v_cndmask_b32_e32 v14, v10, v103, vcc_lo
	s_delay_alu instid0(VALU_DEP_1) | instskip(NEXT) | instid1(VALU_DEP_1)
	v_and_b32_e32 v10, 0x7f800000, v14
	v_cmp_ne_u32_e64 s11, 0x7f800000, v10
                                        ; implicit-def: $vgpr10
	s_and_saveexec_b32 s13, s11
	s_delay_alu instid0(SALU_CYCLE_1)
	s_xor_b32 s11, exec_lo, s13
; %bb.211:                              ;   in Loop: Header=BB4_49 Depth=1
	v_bfe_u32 v10, v14, 16, 1
	s_delay_alu instid0(VALU_DEP_1)
	v_add3_u32 v10, v14, v10, 0x7fff
                                        ; implicit-def: $vgpr14
; %bb.212:                              ;   in Loop: Header=BB4_49 Depth=1
	s_and_not1_saveexec_b32 s13, s11
; %bb.213:                              ;   in Loop: Header=BB4_49 Depth=1
	v_and_b32_e32 v10, 0xffff, v14
	v_or_b32_e32 v103, 0x10000, v14
	s_delay_alu instid0(VALU_DEP_2) | instskip(NEXT) | instid1(VALU_DEP_1)
	v_cmp_eq_u32_e64 s11, 0, v10
	v_cndmask_b32_e64 v10, v103, v14, s11
; %bb.214:                              ;   in Loop: Header=BB4_49 Depth=1
	s_or_b32 exec_lo, exec_lo, s13
	v_lshlrev_b32_e32 v14, 16, v15
	s_delay_alu instid0(VALU_DEP_1) | instskip(NEXT) | instid1(VALU_DEP_1)
	v_dual_max_num_f32 v14, v14, v14 :: v_dual_lshlrev_b32 v103, 16, v11
	v_max_num_f32_e32 v103, v103, v103
	s_delay_alu instid0(VALU_DEP_1) | instskip(NEXT) | instid1(VALU_DEP_1)
	v_dual_min_num_f32 v112, v103, v14 :: v_dual_max_num_f32 v14, v103, v14
	v_cndmask_b32_e32 v103, v14, v112, vcc_lo
	s_delay_alu instid0(VALU_DEP_1) | instskip(NEXT) | instid1(VALU_DEP_1)
	v_and_b32_e32 v14, 0x7f800000, v103
	v_cmp_ne_u32_e64 s11, 0x7f800000, v14
                                        ; implicit-def: $vgpr14
	s_and_saveexec_b32 s13, s11
	s_delay_alu instid0(SALU_CYCLE_1)
	s_xor_b32 s11, exec_lo, s13
; %bb.215:                              ;   in Loop: Header=BB4_49 Depth=1
	v_bfe_u32 v14, v103, 16, 1
	s_delay_alu instid0(VALU_DEP_1)
	v_add3_u32 v14, v103, v14, 0x7fff
                                        ; implicit-def: $vgpr103
; %bb.216:                              ;   in Loop: Header=BB4_49 Depth=1
	s_and_not1_saveexec_b32 s13, s11
; %bb.217:                              ;   in Loop: Header=BB4_49 Depth=1
	v_and_b32_e32 v14, 0xffff, v103
	v_or_b32_e32 v112, 0x10000, v103
	s_delay_alu instid0(VALU_DEP_2) | instskip(NEXT) | instid1(VALU_DEP_1)
	v_cmp_eq_u32_e64 s11, 0, v14
	v_cndmask_b32_e64 v14, v112, v103, s11
; %bb.218:                              ;   in Loop: Header=BB4_49 Depth=1
	s_or_b32 exec_lo, exec_lo, s13
	v_and_b32_e32 v15, 0xffff0000, v15
	v_and_b32_e32 v11, 0xffff0000, v11
	s_delay_alu instid0(VALU_DEP_2) | instskip(NEXT) | instid1(VALU_DEP_2)
	v_max_num_f32_e32 v15, v15, v15
	v_max_num_f32_e32 v11, v11, v11
	s_delay_alu instid0(VALU_DEP_1) | instskip(NEXT) | instid1(VALU_DEP_1)
	v_dual_min_num_f32 v103, v11, v15 :: v_dual_max_num_f32 v11, v11, v15
	v_cndmask_b32_e32 v15, v11, v103, vcc_lo
	s_delay_alu instid0(VALU_DEP_1) | instskip(NEXT) | instid1(VALU_DEP_1)
	v_and_b32_e32 v11, 0x7f800000, v15
	v_cmp_ne_u32_e64 s11, 0x7f800000, v11
                                        ; implicit-def: $vgpr11
	s_and_saveexec_b32 s13, s11
	s_delay_alu instid0(SALU_CYCLE_1)
	s_xor_b32 s11, exec_lo, s13
; %bb.219:                              ;   in Loop: Header=BB4_49 Depth=1
	v_bfe_u32 v11, v15, 16, 1
	s_delay_alu instid0(VALU_DEP_1)
	v_add3_u32 v11, v15, v11, 0x7fff
                                        ; implicit-def: $vgpr15
; %bb.220:                              ;   in Loop: Header=BB4_49 Depth=1
	s_and_not1_saveexec_b32 s13, s11
; %bb.221:                              ;   in Loop: Header=BB4_49 Depth=1
	v_and_b32_e32 v11, 0xffff, v15
	v_or_b32_e32 v103, 0x10000, v15
	s_delay_alu instid0(VALU_DEP_2) | instskip(NEXT) | instid1(VALU_DEP_1)
	v_cmp_eq_u32_e64 s11, 0, v11
	v_cndmask_b32_e64 v11, v103, v15, s11
; %bb.222:                              ;   in Loop: Header=BB4_49 Depth=1
	s_or_b32 exec_lo, exec_lo, s13
	v_lshlrev_b32_e32 v103, 16, v12
	s_delay_alu instid0(VALU_DEP_1) | instskip(NEXT) | instid1(VALU_DEP_1)
	v_dual_lshlrev_b32 v15, 16, v16 :: v_dual_max_num_f32 v103, v103, v103
	v_max_num_f32_e32 v15, v15, v15
	s_delay_alu instid0(VALU_DEP_1) | instskip(NEXT) | instid1(VALU_DEP_1)
	v_dual_min_num_f32 v112, v103, v15 :: v_dual_max_num_f32 v15, v103, v15
	v_cndmask_b32_e32 v103, v15, v112, vcc_lo
	s_delay_alu instid0(VALU_DEP_1) | instskip(NEXT) | instid1(VALU_DEP_1)
	v_and_b32_e32 v15, 0x7f800000, v103
	v_cmp_ne_u32_e64 s11, 0x7f800000, v15
                                        ; implicit-def: $vgpr15
	s_and_saveexec_b32 s13, s11
	s_delay_alu instid0(SALU_CYCLE_1)
	s_xor_b32 s11, exec_lo, s13
; %bb.223:                              ;   in Loop: Header=BB4_49 Depth=1
	v_bfe_u32 v15, v103, 16, 1
	s_delay_alu instid0(VALU_DEP_1)
	v_add3_u32 v15, v103, v15, 0x7fff
                                        ; implicit-def: $vgpr103
; %bb.224:                              ;   in Loop: Header=BB4_49 Depth=1
	s_and_not1_saveexec_b32 s13, s11
; %bb.225:                              ;   in Loop: Header=BB4_49 Depth=1
	v_and_b32_e32 v15, 0xffff, v103
	v_or_b32_e32 v112, 0x10000, v103
	s_delay_alu instid0(VALU_DEP_2) | instskip(NEXT) | instid1(VALU_DEP_1)
	v_cmp_eq_u32_e64 s11, 0, v15
	v_cndmask_b32_e64 v15, v112, v103, s11
; %bb.226:                              ;   in Loop: Header=BB4_49 Depth=1
	s_or_b32 exec_lo, exec_lo, s13
	v_and_b32_e32 v16, 0xffff0000, v16
	v_and_b32_e32 v12, 0xffff0000, v12
	s_delay_alu instid0(VALU_DEP_2) | instskip(NEXT) | instid1(VALU_DEP_2)
	v_max_num_f32_e32 v16, v16, v16
	v_max_num_f32_e32 v12, v12, v12
	s_delay_alu instid0(VALU_DEP_1) | instskip(NEXT) | instid1(VALU_DEP_1)
	v_dual_min_num_f32 v103, v12, v16 :: v_dual_max_num_f32 v12, v12, v16
	v_cndmask_b32_e32 v16, v12, v103, vcc_lo
	s_delay_alu instid0(VALU_DEP_1) | instskip(NEXT) | instid1(VALU_DEP_1)
	v_and_b32_e32 v12, 0x7f800000, v16
	v_cmp_ne_u32_e64 s11, 0x7f800000, v12
                                        ; implicit-def: $vgpr12
	s_and_saveexec_b32 s13, s11
	s_delay_alu instid0(SALU_CYCLE_1)
	s_xor_b32 s11, exec_lo, s13
; %bb.227:                              ;   in Loop: Header=BB4_49 Depth=1
	v_bfe_u32 v12, v16, 16, 1
	s_delay_alu instid0(VALU_DEP_1)
	v_add3_u32 v12, v16, v12, 0x7fff
                                        ; implicit-def: $vgpr16
; %bb.228:                              ;   in Loop: Header=BB4_49 Depth=1
	s_and_not1_saveexec_b32 s13, s11
; %bb.229:                              ;   in Loop: Header=BB4_49 Depth=1
	v_and_b32_e32 v12, 0xffff, v16
	v_or_b32_e32 v103, 0x10000, v16
	s_delay_alu instid0(VALU_DEP_2) | instskip(NEXT) | instid1(VALU_DEP_1)
	v_cmp_eq_u32_e64 s11, 0, v12
	v_cndmask_b32_e64 v12, v103, v16, s11
; %bb.230:                              ;   in Loop: Header=BB4_49 Depth=1
	s_or_b32 exec_lo, exec_lo, s13
	v_lshlrev_b32_e32 v103, 16, v13
	s_delay_alu instid0(VALU_DEP_1) | instskip(NEXT) | instid1(VALU_DEP_1)
	v_dual_max_num_f32 v103, v103, v103 :: v_dual_lshlrev_b32 v16, 16, v17
	v_max_num_f32_e32 v16, v16, v16
	s_delay_alu instid0(VALU_DEP_1) | instskip(NEXT) | instid1(VALU_DEP_1)
	v_dual_min_num_f32 v112, v103, v16 :: v_dual_max_num_f32 v16, v103, v16
	v_cndmask_b32_e32 v103, v16, v112, vcc_lo
	s_delay_alu instid0(VALU_DEP_1) | instskip(NEXT) | instid1(VALU_DEP_1)
	v_and_b32_e32 v16, 0x7f800000, v103
	v_cmp_ne_u32_e64 s11, 0x7f800000, v16
                                        ; implicit-def: $vgpr16
	s_and_saveexec_b32 s13, s11
	s_delay_alu instid0(SALU_CYCLE_1)
	s_xor_b32 s11, exec_lo, s13
; %bb.231:                              ;   in Loop: Header=BB4_49 Depth=1
	v_bfe_u32 v16, v103, 16, 1
	s_delay_alu instid0(VALU_DEP_1)
	v_add3_u32 v16, v103, v16, 0x7fff
                                        ; implicit-def: $vgpr103
; %bb.232:                              ;   in Loop: Header=BB4_49 Depth=1
	s_and_not1_saveexec_b32 s13, s11
; %bb.233:                              ;   in Loop: Header=BB4_49 Depth=1
	v_and_b32_e32 v16, 0xffff, v103
	v_or_b32_e32 v112, 0x10000, v103
	s_delay_alu instid0(VALU_DEP_2) | instskip(NEXT) | instid1(VALU_DEP_1)
	v_cmp_eq_u32_e64 s11, 0, v16
	v_cndmask_b32_e64 v16, v112, v103, s11
; %bb.234:                              ;   in Loop: Header=BB4_49 Depth=1
	s_or_b32 exec_lo, exec_lo, s13
	v_and_b32_e32 v17, 0xffff0000, v17
	v_and_b32_e32 v13, 0xffff0000, v13
	s_delay_alu instid0(VALU_DEP_2) | instskip(NEXT) | instid1(VALU_DEP_2)
	v_max_num_f32_e32 v17, v17, v17
	v_max_num_f32_e32 v13, v13, v13
	s_delay_alu instid0(VALU_DEP_1) | instskip(NEXT) | instid1(VALU_DEP_1)
	v_dual_min_num_f32 v103, v13, v17 :: v_dual_max_num_f32 v13, v13, v17
	v_cndmask_b32_e32 v17, v13, v103, vcc_lo
	s_delay_alu instid0(VALU_DEP_1) | instskip(NEXT) | instid1(VALU_DEP_1)
	v_and_b32_e32 v13, 0x7f800000, v17
	v_cmp_ne_u32_e32 vcc_lo, 0x7f800000, v13
                                        ; implicit-def: $vgpr13
	s_and_saveexec_b32 s11, vcc_lo
	s_delay_alu instid0(SALU_CYCLE_1)
	s_xor_b32 s11, exec_lo, s11
; %bb.235:                              ;   in Loop: Header=BB4_49 Depth=1
	v_bfe_u32 v13, v17, 16, 1
	s_delay_alu instid0(VALU_DEP_1)
	v_add3_u32 v13, v17, v13, 0x7fff
                                        ; implicit-def: $vgpr17
; %bb.236:                              ;   in Loop: Header=BB4_49 Depth=1
	s_and_not1_saveexec_b32 s11, s11
; %bb.237:                              ;   in Loop: Header=BB4_49 Depth=1
	v_and_b32_e32 v13, 0xffff, v17
	v_or_b32_e32 v103, 0x10000, v17
	s_delay_alu instid0(VALU_DEP_2) | instskip(NEXT) | instid1(VALU_DEP_2)
	v_cmp_eq_u32_e32 vcc_lo, 0, v13
	v_cndmask_b32_e32 v13, v103, v17, vcc_lo
; %bb.238:                              ;   in Loop: Header=BB4_49 Depth=1
	s_or_b32 exec_lo, exec_lo, s11
	v_dual_lshrrev_b32 v14, 16, v14 :: v_dual_lshrrev_b32 v15, 16, v15
	v_dual_lshrrev_b32 v17, 16, v102 :: v_dual_lshrrev_b32 v16, 16, v16
	s_delay_alu instid0(VALU_DEP_2) | instskip(NEXT) | instid1(VALU_DEP_3)
	v_and_or_b32 v11, 0xffff0000, v11, v14
	v_and_or_b32 v12, 0xffff0000, v12, v15
	s_delay_alu instid0(VALU_DEP_3) | instskip(NEXT) | instid1(VALU_DEP_4)
	v_and_or_b32 v10, 0xffff0000, v10, v17
	v_and_or_b32 v13, 0xffff0000, v13, v16
	global_store_b128 v[100:101], v[10:13], off th:TH_STORE_NT
.LBB4_239:                              ;   in Loop: Header=BB4_49 Depth=1
	s_wait_xcnt 0x0
	s_or_b32 exec_lo, exec_lo, s12
	v_and_b32_e32 v11, 14, v40
	s_mov_b32 s42, exec_lo
                                        ; implicit-def: $vgpr40
                                        ; implicit-def: $vgpr16
                                        ; implicit-def: $vgpr10
                                        ; implicit-def: $vgpr17
	s_delay_alu instid0(VALU_DEP_1) | instskip(NEXT) | instid1(VALU_DEP_1)
	v_cndmask_b32_e64 v112, v42, v11, s10
	v_cmpx_ne_u32_e32 0, v112
	s_cbranch_execz .LBB4_354
; %bb.240:                              ;   in Loop: Header=BB4_49 Depth=1
	v_cmp_lt_i32_e32 vcc_lo, 0, v43
	s_mov_b32 s11, 0
	s_mov_b32 s43, exec_lo
	v_dual_sub_nc_u32 v11, v42, v11 :: v_dual_ashrrev_i32 v14, 31, v112
	s_delay_alu instid0(VALU_DEP_1) | instskip(NEXT) | instid1(VALU_DEP_1)
	v_dual_cndmask_b32 v10, 0, v20, vcc_lo :: v_dual_cndmask_b32 v11, 0, v11, s10
	v_dual_sub_nc_u32 v10, v10, v43 :: v_dual_add_nc_u32 v113, v11, v41
	s_delay_alu instid0(VALU_DEP_1) | instskip(NEXT) | instid1(VALU_DEP_1)
	v_lshl_or_b32 v10, v10, 5, v114
	v_ashrrev_i32_e32 v12, 31, v10
	s_delay_alu instid0(VALU_DEP_1) | instskip(NEXT) | instid1(VALU_DEP_1)
	v_lshrrev_b32_e32 v12, 27, v12
	v_add_nc_u32_e32 v12, v10, v12
	s_delay_alu instid0(VALU_DEP_1) | instskip(NEXT) | instid1(VALU_DEP_1)
	v_and_b32_e32 v13, 0xffffffe0, v12
	v_dual_sub_nc_u32 v42, v10, v13 :: v_dual_lshrrev_b32 v10, 23, v14
	s_delay_alu instid0(VALU_DEP_1) | instskip(NEXT) | instid1(VALU_DEP_2)
	v_dual_ashrrev_i32 v12, 5, v12 :: v_dual_lshlrev_b32 v13, 4, v42
	v_add_nc_u32_e32 v14, v112, v10
	s_delay_alu instid0(VALU_DEP_2) | instskip(NEXT) | instid1(VALU_DEP_2)
	v_lshl_add_u32 v13, v12, 9, v13
	v_and_b32_e32 v41, 0xfffffe00, v14
	s_delay_alu instid0(VALU_DEP_2) | instskip(NEXT) | instid1(VALU_DEP_1)
	v_dual_ashrrev_i32 v14, 9, v14 :: v_dual_add_nc_u32 v10, v13, v113
	v_dual_sub_nc_u32 v43, v112, v41 :: v_dual_ashrrev_i32 v11, 31, v10
	s_delay_alu instid0(VALU_DEP_1) | instskip(NEXT) | instid1(VALU_DEP_2)
	v_cmp_lt_i32_e64 s10, 15, v43
	v_add_nc_u64_e32 v[100:101], v[10:11], v[96:97]
	s_delay_alu instid0(VALU_DEP_2) | instskip(NEXT) | instid1(VALU_DEP_1)
	v_add_co_ci_u32_e64 v14, null, 0, v14, s10
	v_dual_sub_nc_u32 v40, v112, v13 :: v_dual_sub_nc_u32 v45, v14, v12
	s_delay_alu instid0(VALU_DEP_1)
	v_cmpx_lt_i32_e32 15, v40
	s_cbranch_execz .LBB4_317
; %bb.241:                              ;   in Loop: Header=BB4_49 Depth=1
	v_add_nc_u64_e32 v[102:103], v[10:11], v[86:87]
	s_wait_dscnt 0x0
	v_add_nc_u64_e32 v[98:99], v[10:11], v[98:99]
	s_and_b32 s11, 0xffff, s40
	s_mov_b32 s46, 0
	s_cmp_eq_u32 s11, 0
	s_mov_b32 s44, 0
	s_cselect_b32 s11, -1, 0
                                        ; implicit-def: $sgpr45
	s_branch .LBB4_243
.LBB4_242:                              ;   in Loop: Header=BB4_243 Depth=2
	s_or_b32 exec_lo, exec_lo, s12
	s_delay_alu instid0(VALU_DEP_1) | instskip(SKIP_3) | instid1(SALU_CYCLE_1)
	v_cmp_gt_i32_e32 vcc_lo, 16, v40
	s_or_b32 s44, vcc_lo, s44
	s_and_not1_b32 s12, s45, exec_lo
	s_and_b32 s13, s46, exec_lo
	s_or_b32 s45, s12, s13
	s_and_not1_b32 exec_lo, exec_lo, s44
	s_cbranch_execz .LBB4_316
.LBB4_243:                              ;   Parent Loop BB4_49 Depth=1
                                        ; =>  This Loop Header: Depth=2
                                        ;       Child Loop BB4_244 Depth 3
                                        ;       Child Loop BB4_281 Depth 3
	s_add_co_i32 s12, s33, 0x50
	s_mov_b64 s[14:15], 0
	s_mov_b32 s47, s12
	s_mov_b32 s56, -1
.LBB4_244:                              ;   Parent Loop BB4_49 Depth=1
                                        ;     Parent Loop BB4_243 Depth=2
                                        ; =>    This Inner Loop Header: Depth=3
	s_cmp_eq_u32 s14, 1
	s_cselect_b32 vcc_lo, -1, 0
	s_cmp_eq_u32 s14, 0
	v_dual_cndmask_b32 v15, v103, v99 :: v_dual_cndmask_b32 v14, v102, v98
	s_cselect_b32 s12, -1, 0
	s_and_b32 s13, exec_lo, s56
	s_mov_b64 s[14:15], 1
	s_mov_b32 s56, 0
	global_load_b128 v[10:13], v[14:15], off th:TH_LOAD_NT
	s_wait_xcnt 0x0
	v_add_nc_u64_e32 v[14:15], 0x200, v[14:15]
	s_delay_alu instid0(VALU_DEP_1)
	v_dual_cndmask_b32 v103, v103, v15, s12 :: v_dual_cndmask_b32 v102, v102, v14, s12
	v_dual_cndmask_b32 v99, v99, v15 :: v_dual_cndmask_b32 v98, v98, v14
	s_mov_b32 vcc_lo, s13
	s_wait_loadcnt 0x0
	scratch_store_b128 off, v[10:13], s47
	s_wait_xcnt 0x0
	s_mov_b32 s47, s26
	s_cbranch_vccnz .LBB4_244
; %bb.245:                              ;   in Loop: Header=BB4_243 Depth=2
	s_and_saveexec_b32 s12, s46
	s_cbranch_execz .LBB4_279
; %bb.246:                              ;   in Loop: Header=BB4_243 Depth=2
	s_clause 0x1
	scratch_load_b128 v[14:17], off, s33 offset:128
	scratch_load_b128 v[10:13], off, s33 offset:112
	s_wait_loadcnt 0x0
	v_lshlrev_b32_e32 v47, 16, v10
	s_delay_alu instid0(VALU_DEP_1) | instskip(NEXT) | instid1(VALU_DEP_1)
	v_dual_max_num_f32 v47, v47, v47 :: v_dual_lshlrev_b32 v46, 16, v14
	v_max_num_f32_e32 v46, v46, v46
	s_delay_alu instid0(VALU_DEP_1) | instskip(NEXT) | instid1(VALU_DEP_1)
	v_dual_min_num_f32 v56, v47, v46 :: v_dual_max_num_f32 v46, v47, v46
	v_cndmask_b32_e64 v47, v46, v56, s11
	s_delay_alu instid0(VALU_DEP_1) | instskip(NEXT) | instid1(VALU_DEP_1)
	v_and_b32_e32 v46, 0x7f800000, v47
	v_cmp_ne_u32_e32 vcc_lo, 0x7f800000, v46
                                        ; implicit-def: $vgpr46
	s_wait_xcnt 0x0
	s_and_saveexec_b32 s13, vcc_lo
	s_delay_alu instid0(SALU_CYCLE_1)
	s_xor_b32 s13, exec_lo, s13
; %bb.247:                              ;   in Loop: Header=BB4_243 Depth=2
	v_bfe_u32 v46, v47, 16, 1
	s_delay_alu instid0(VALU_DEP_1)
	v_add3_u32 v46, v47, v46, 0x7fff
                                        ; implicit-def: $vgpr47
; %bb.248:                              ;   in Loop: Header=BB4_243 Depth=2
	s_and_not1_saveexec_b32 s13, s13
; %bb.249:                              ;   in Loop: Header=BB4_243 Depth=2
	v_and_b32_e32 v46, 0xffff, v47
	v_or_b32_e32 v56, 0x10000, v47
	s_delay_alu instid0(VALU_DEP_2) | instskip(NEXT) | instid1(VALU_DEP_2)
	v_cmp_eq_u32_e32 vcc_lo, 0, v46
	v_cndmask_b32_e32 v46, v56, v47, vcc_lo
; %bb.250:                              ;   in Loop: Header=BB4_243 Depth=2
	s_or_b32 exec_lo, exec_lo, s13
	v_and_b32_e32 v14, 0xffff0000, v14
	v_and_b32_e32 v10, 0xffff0000, v10
	s_delay_alu instid0(VALU_DEP_2) | instskip(NEXT) | instid1(VALU_DEP_2)
	v_max_num_f32_e32 v14, v14, v14
	v_max_num_f32_e32 v10, v10, v10
	s_delay_alu instid0(VALU_DEP_1) | instskip(NEXT) | instid1(VALU_DEP_1)
	v_dual_min_num_f32 v47, v10, v14 :: v_dual_max_num_f32 v10, v10, v14
	v_cndmask_b32_e64 v14, v10, v47, s11
	s_delay_alu instid0(VALU_DEP_1) | instskip(NEXT) | instid1(VALU_DEP_1)
	v_and_b32_e32 v10, 0x7f800000, v14
	v_cmp_ne_u32_e32 vcc_lo, 0x7f800000, v10
                                        ; implicit-def: $vgpr10
	s_and_saveexec_b32 s13, vcc_lo
	s_delay_alu instid0(SALU_CYCLE_1)
	s_xor_b32 s13, exec_lo, s13
; %bb.251:                              ;   in Loop: Header=BB4_243 Depth=2
	v_bfe_u32 v10, v14, 16, 1
	s_delay_alu instid0(VALU_DEP_1)
	v_add3_u32 v10, v14, v10, 0x7fff
                                        ; implicit-def: $vgpr14
; %bb.252:                              ;   in Loop: Header=BB4_243 Depth=2
	s_and_not1_saveexec_b32 s13, s13
; %bb.253:                              ;   in Loop: Header=BB4_243 Depth=2
	v_and_b32_e32 v10, 0xffff, v14
	v_or_b32_e32 v47, 0x10000, v14
	s_delay_alu instid0(VALU_DEP_2) | instskip(NEXT) | instid1(VALU_DEP_2)
	v_cmp_eq_u32_e32 vcc_lo, 0, v10
	v_cndmask_b32_e32 v10, v47, v14, vcc_lo
; %bb.254:                              ;   in Loop: Header=BB4_243 Depth=2
	s_or_b32 exec_lo, exec_lo, s13
	v_lshlrev_b32_e32 v14, 16, v15
	s_delay_alu instid0(VALU_DEP_1) | instskip(NEXT) | instid1(VALU_DEP_1)
	v_dual_max_num_f32 v14, v14, v14 :: v_dual_lshlrev_b32 v47, 16, v11
	v_max_num_f32_e32 v47, v47, v47
	s_delay_alu instid0(VALU_DEP_1) | instskip(NEXT) | instid1(VALU_DEP_1)
	v_dual_min_num_f32 v56, v47, v14 :: v_dual_max_num_f32 v14, v47, v14
	v_cndmask_b32_e64 v47, v14, v56, s11
	s_delay_alu instid0(VALU_DEP_1) | instskip(NEXT) | instid1(VALU_DEP_1)
	v_and_b32_e32 v14, 0x7f800000, v47
	v_cmp_ne_u32_e32 vcc_lo, 0x7f800000, v14
                                        ; implicit-def: $vgpr14
	s_and_saveexec_b32 s13, vcc_lo
	s_delay_alu instid0(SALU_CYCLE_1)
	s_xor_b32 s13, exec_lo, s13
; %bb.255:                              ;   in Loop: Header=BB4_243 Depth=2
	v_bfe_u32 v14, v47, 16, 1
	s_delay_alu instid0(VALU_DEP_1)
	v_add3_u32 v14, v47, v14, 0x7fff
                                        ; implicit-def: $vgpr47
; %bb.256:                              ;   in Loop: Header=BB4_243 Depth=2
	s_and_not1_saveexec_b32 s13, s13
; %bb.257:                              ;   in Loop: Header=BB4_243 Depth=2
	v_and_b32_e32 v14, 0xffff, v47
	v_or_b32_e32 v56, 0x10000, v47
	s_delay_alu instid0(VALU_DEP_2) | instskip(NEXT) | instid1(VALU_DEP_2)
	v_cmp_eq_u32_e32 vcc_lo, 0, v14
	v_cndmask_b32_e32 v14, v56, v47, vcc_lo
; %bb.258:                              ;   in Loop: Header=BB4_243 Depth=2
	s_or_b32 exec_lo, exec_lo, s13
	v_and_b32_e32 v15, 0xffff0000, v15
	v_and_b32_e32 v11, 0xffff0000, v11
	s_delay_alu instid0(VALU_DEP_2) | instskip(NEXT) | instid1(VALU_DEP_2)
	v_max_num_f32_e32 v15, v15, v15
	v_max_num_f32_e32 v11, v11, v11
	s_delay_alu instid0(VALU_DEP_1) | instskip(NEXT) | instid1(VALU_DEP_1)
	v_dual_min_num_f32 v47, v11, v15 :: v_dual_max_num_f32 v11, v11, v15
	v_cndmask_b32_e64 v15, v11, v47, s11
	s_delay_alu instid0(VALU_DEP_1) | instskip(NEXT) | instid1(VALU_DEP_1)
	v_and_b32_e32 v11, 0x7f800000, v15
	v_cmp_ne_u32_e32 vcc_lo, 0x7f800000, v11
                                        ; implicit-def: $vgpr11
	s_and_saveexec_b32 s13, vcc_lo
	s_delay_alu instid0(SALU_CYCLE_1)
	s_xor_b32 s13, exec_lo, s13
; %bb.259:                              ;   in Loop: Header=BB4_243 Depth=2
	v_bfe_u32 v11, v15, 16, 1
	s_delay_alu instid0(VALU_DEP_1)
	v_add3_u32 v11, v15, v11, 0x7fff
                                        ; implicit-def: $vgpr15
; %bb.260:                              ;   in Loop: Header=BB4_243 Depth=2
	s_and_not1_saveexec_b32 s13, s13
; %bb.261:                              ;   in Loop: Header=BB4_243 Depth=2
	v_and_b32_e32 v11, 0xffff, v15
	v_or_b32_e32 v47, 0x10000, v15
	s_delay_alu instid0(VALU_DEP_2) | instskip(NEXT) | instid1(VALU_DEP_2)
	v_cmp_eq_u32_e32 vcc_lo, 0, v11
	v_cndmask_b32_e32 v11, v47, v15, vcc_lo
; %bb.262:                              ;   in Loop: Header=BB4_243 Depth=2
	s_or_b32 exec_lo, exec_lo, s13
	v_lshlrev_b32_e32 v47, 16, v12
	s_delay_alu instid0(VALU_DEP_1) | instskip(NEXT) | instid1(VALU_DEP_1)
	v_dual_lshlrev_b32 v15, 16, v16 :: v_dual_max_num_f32 v47, v47, v47
	v_max_num_f32_e32 v15, v15, v15
	s_delay_alu instid0(VALU_DEP_1) | instskip(NEXT) | instid1(VALU_DEP_1)
	v_dual_min_num_f32 v56, v47, v15 :: v_dual_max_num_f32 v15, v47, v15
	v_cndmask_b32_e64 v47, v15, v56, s11
	s_delay_alu instid0(VALU_DEP_1) | instskip(NEXT) | instid1(VALU_DEP_1)
	v_and_b32_e32 v15, 0x7f800000, v47
	v_cmp_ne_u32_e32 vcc_lo, 0x7f800000, v15
                                        ; implicit-def: $vgpr15
	s_and_saveexec_b32 s13, vcc_lo
	s_delay_alu instid0(SALU_CYCLE_1)
	s_xor_b32 s13, exec_lo, s13
; %bb.263:                              ;   in Loop: Header=BB4_243 Depth=2
	v_bfe_u32 v15, v47, 16, 1
	s_delay_alu instid0(VALU_DEP_1)
	v_add3_u32 v15, v47, v15, 0x7fff
                                        ; implicit-def: $vgpr47
; %bb.264:                              ;   in Loop: Header=BB4_243 Depth=2
	s_and_not1_saveexec_b32 s13, s13
; %bb.265:                              ;   in Loop: Header=BB4_243 Depth=2
	v_and_b32_e32 v15, 0xffff, v47
	v_or_b32_e32 v56, 0x10000, v47
	s_delay_alu instid0(VALU_DEP_2) | instskip(NEXT) | instid1(VALU_DEP_2)
	v_cmp_eq_u32_e32 vcc_lo, 0, v15
	v_cndmask_b32_e32 v15, v56, v47, vcc_lo
; %bb.266:                              ;   in Loop: Header=BB4_243 Depth=2
	s_or_b32 exec_lo, exec_lo, s13
	v_and_b32_e32 v16, 0xffff0000, v16
	v_and_b32_e32 v12, 0xffff0000, v12
	s_delay_alu instid0(VALU_DEP_2) | instskip(NEXT) | instid1(VALU_DEP_2)
	v_max_num_f32_e32 v16, v16, v16
	v_max_num_f32_e32 v12, v12, v12
	s_delay_alu instid0(VALU_DEP_1) | instskip(NEXT) | instid1(VALU_DEP_1)
	v_dual_min_num_f32 v47, v12, v16 :: v_dual_max_num_f32 v12, v12, v16
	v_cndmask_b32_e64 v16, v12, v47, s11
	s_delay_alu instid0(VALU_DEP_1) | instskip(NEXT) | instid1(VALU_DEP_1)
	v_and_b32_e32 v12, 0x7f800000, v16
	v_cmp_ne_u32_e32 vcc_lo, 0x7f800000, v12
                                        ; implicit-def: $vgpr12
	s_and_saveexec_b32 s13, vcc_lo
	s_delay_alu instid0(SALU_CYCLE_1)
	s_xor_b32 s13, exec_lo, s13
; %bb.267:                              ;   in Loop: Header=BB4_243 Depth=2
	v_bfe_u32 v12, v16, 16, 1
	s_delay_alu instid0(VALU_DEP_1)
	v_add3_u32 v12, v16, v12, 0x7fff
                                        ; implicit-def: $vgpr16
; %bb.268:                              ;   in Loop: Header=BB4_243 Depth=2
	s_and_not1_saveexec_b32 s13, s13
; %bb.269:                              ;   in Loop: Header=BB4_243 Depth=2
	v_and_b32_e32 v12, 0xffff, v16
	v_or_b32_e32 v47, 0x10000, v16
	s_delay_alu instid0(VALU_DEP_2) | instskip(NEXT) | instid1(VALU_DEP_2)
	v_cmp_eq_u32_e32 vcc_lo, 0, v12
	v_cndmask_b32_e32 v12, v47, v16, vcc_lo
; %bb.270:                              ;   in Loop: Header=BB4_243 Depth=2
	s_or_b32 exec_lo, exec_lo, s13
	v_lshlrev_b32_e32 v47, 16, v13
	s_delay_alu instid0(VALU_DEP_1) | instskip(NEXT) | instid1(VALU_DEP_1)
	v_dual_max_num_f32 v47, v47, v47 :: v_dual_lshlrev_b32 v16, 16, v17
	v_max_num_f32_e32 v16, v16, v16
	s_delay_alu instid0(VALU_DEP_1) | instskip(NEXT) | instid1(VALU_DEP_1)
	v_dual_min_num_f32 v56, v47, v16 :: v_dual_max_num_f32 v16, v47, v16
	v_cndmask_b32_e64 v47, v16, v56, s11
	s_delay_alu instid0(VALU_DEP_1) | instskip(NEXT) | instid1(VALU_DEP_1)
	v_and_b32_e32 v16, 0x7f800000, v47
	v_cmp_ne_u32_e32 vcc_lo, 0x7f800000, v16
                                        ; implicit-def: $vgpr16
	s_and_saveexec_b32 s13, vcc_lo
	s_delay_alu instid0(SALU_CYCLE_1)
	s_xor_b32 s13, exec_lo, s13
; %bb.271:                              ;   in Loop: Header=BB4_243 Depth=2
	v_bfe_u32 v16, v47, 16, 1
	s_delay_alu instid0(VALU_DEP_1)
	v_add3_u32 v16, v47, v16, 0x7fff
                                        ; implicit-def: $vgpr47
; %bb.272:                              ;   in Loop: Header=BB4_243 Depth=2
	s_and_not1_saveexec_b32 s13, s13
; %bb.273:                              ;   in Loop: Header=BB4_243 Depth=2
	v_and_b32_e32 v16, 0xffff, v47
	v_or_b32_e32 v56, 0x10000, v47
	s_delay_alu instid0(VALU_DEP_2) | instskip(NEXT) | instid1(VALU_DEP_2)
	v_cmp_eq_u32_e32 vcc_lo, 0, v16
	v_cndmask_b32_e32 v16, v56, v47, vcc_lo
; %bb.274:                              ;   in Loop: Header=BB4_243 Depth=2
	s_or_b32 exec_lo, exec_lo, s13
	v_and_b32_e32 v17, 0xffff0000, v17
	v_and_b32_e32 v13, 0xffff0000, v13
	s_delay_alu instid0(VALU_DEP_2) | instskip(NEXT) | instid1(VALU_DEP_2)
	v_max_num_f32_e32 v17, v17, v17
	v_max_num_f32_e32 v13, v13, v13
	s_delay_alu instid0(VALU_DEP_1) | instskip(NEXT) | instid1(VALU_DEP_1)
	v_dual_min_num_f32 v47, v13, v17 :: v_dual_max_num_f32 v13, v13, v17
	v_cndmask_b32_e64 v17, v13, v47, s11
	s_delay_alu instid0(VALU_DEP_1) | instskip(NEXT) | instid1(VALU_DEP_1)
	v_and_b32_e32 v13, 0x7f800000, v17
	v_cmp_ne_u32_e32 vcc_lo, 0x7f800000, v13
                                        ; implicit-def: $vgpr13
	s_and_saveexec_b32 s13, vcc_lo
	s_delay_alu instid0(SALU_CYCLE_1)
	s_xor_b32 s13, exec_lo, s13
; %bb.275:                              ;   in Loop: Header=BB4_243 Depth=2
	v_bfe_u32 v13, v17, 16, 1
	s_delay_alu instid0(VALU_DEP_1)
	v_add3_u32 v13, v17, v13, 0x7fff
                                        ; implicit-def: $vgpr17
; %bb.276:                              ;   in Loop: Header=BB4_243 Depth=2
	s_and_not1_saveexec_b32 s13, s13
; %bb.277:                              ;   in Loop: Header=BB4_243 Depth=2
	v_and_b32_e32 v13, 0xffff, v17
	v_or_b32_e32 v47, 0x10000, v17
	s_delay_alu instid0(VALU_DEP_2) | instskip(NEXT) | instid1(VALU_DEP_2)
	v_cmp_eq_u32_e32 vcc_lo, 0, v13
	v_cndmask_b32_e32 v13, v47, v17, vcc_lo
; %bb.278:                              ;   in Loop: Header=BB4_243 Depth=2
	s_or_b32 exec_lo, exec_lo, s13
	v_dual_lshrrev_b32 v14, 16, v14 :: v_dual_lshrrev_b32 v15, 16, v15
	v_dual_lshrrev_b32 v17, 16, v46 :: v_dual_lshrrev_b32 v16, 16, v16
	s_delay_alu instid0(VALU_DEP_2) | instskip(NEXT) | instid1(VALU_DEP_3)
	v_and_or_b32 v11, 0xffff0000, v11, v14
	v_and_or_b32 v12, 0xffff0000, v12, v15
	s_delay_alu instid0(VALU_DEP_3) | instskip(NEXT) | instid1(VALU_DEP_4)
	v_and_or_b32 v10, 0xffff0000, v10, v17
	v_and_or_b32 v13, 0xffff0000, v13, v16
	global_store_b128 v[100:101], v[10:13], off th:TH_STORE_NT
	s_wait_xcnt 0x0
	v_add_nc_u64_e32 v[100:101], v[66:67], v[100:101]
	scratch_store_b128 off, v[10:13], s33 offset:112
.LBB4_279:                              ;   in Loop: Header=BB4_243 Depth=2
	s_wait_xcnt 0x0
	s_or_b32 exec_lo, exec_lo, s12
	v_sub_nc_u32_e32 v40, v40, v115
	v_add_nc_u64_e32 v[102:103], v[102:103], v[22:23]
	v_add_nc_u64_e32 v[98:99], v[98:99], v[22:23]
	s_delay_alu instid0(VALU_DEP_3)
	v_cmp_lt_i32_e64 s46, 15, v40
	s_and_saveexec_b32 s47, s46
	s_cbranch_execz .LBB4_282
; %bb.280:                              ;   in Loop: Header=BB4_243 Depth=2
	s_add_co_i32 s12, s33, 0x70
	s_mov_b64 s[14:15], 0
	s_mov_b32 s56, s12
	s_mov_b32 s57, -1
.LBB4_281:                              ;   Parent Loop BB4_49 Depth=1
                                        ;     Parent Loop BB4_243 Depth=2
                                        ; =>    This Inner Loop Header: Depth=3
	s_cmp_eq_u32 s14, 1
	s_cselect_b32 vcc_lo, -1, 0
	s_cmp_eq_u32 s14, 0
	v_dual_cndmask_b32 v15, v103, v99 :: v_dual_cndmask_b32 v14, v102, v98
	s_cselect_b32 s12, -1, 0
	s_and_b32 s13, exec_lo, s57
	s_mov_b64 s[14:15], 1
	s_mov_b32 s57, 0
	global_load_b128 v[10:13], v[14:15], off th:TH_LOAD_NT
	s_wait_xcnt 0x0
	v_add_nc_u64_e32 v[14:15], 0x200, v[14:15]
	s_delay_alu instid0(VALU_DEP_1)
	v_dual_cndmask_b32 v103, v103, v15, s12 :: v_dual_cndmask_b32 v102, v102, v14, s12
	v_dual_cndmask_b32 v99, v99, v15 :: v_dual_cndmask_b32 v98, v98, v14
	s_mov_b32 vcc_lo, s13
	s_wait_loadcnt 0x0
	scratch_store_b128 off, v[10:13], s56
	s_wait_xcnt 0x0
	s_mov_b32 s56, s25
	s_cbranch_vccnz .LBB4_281
.LBB4_282:                              ;   in Loop: Header=BB4_243 Depth=2
	s_or_b32 exec_lo, exec_lo, s47
	s_clause 0x1
	scratch_load_b128 v[14:17], off, s33 offset:96
	scratch_load_b128 v[10:13], off, s33 offset:80
	s_wait_loadcnt 0x0
	v_lshlrev_b32_e32 v47, 16, v10
	s_delay_alu instid0(VALU_DEP_1) | instskip(NEXT) | instid1(VALU_DEP_1)
	v_dual_max_num_f32 v47, v47, v47 :: v_dual_lshlrev_b32 v46, 16, v14
	v_max_num_f32_e32 v46, v46, v46
	s_delay_alu instid0(VALU_DEP_1) | instskip(NEXT) | instid1(VALU_DEP_1)
	v_dual_min_num_f32 v56, v47, v46 :: v_dual_max_num_f32 v46, v47, v46
	v_cndmask_b32_e64 v47, v46, v56, s11
	s_delay_alu instid0(VALU_DEP_1) | instskip(NEXT) | instid1(VALU_DEP_1)
	v_and_b32_e32 v46, 0x7f800000, v47
	v_cmp_ne_u32_e32 vcc_lo, 0x7f800000, v46
                                        ; implicit-def: $vgpr46
	s_wait_xcnt 0x0
	s_and_saveexec_b32 s12, vcc_lo
	s_delay_alu instid0(SALU_CYCLE_1)
	s_xor_b32 s12, exec_lo, s12
; %bb.283:                              ;   in Loop: Header=BB4_243 Depth=2
	v_bfe_u32 v46, v47, 16, 1
	s_delay_alu instid0(VALU_DEP_1)
	v_add3_u32 v46, v47, v46, 0x7fff
                                        ; implicit-def: $vgpr47
; %bb.284:                              ;   in Loop: Header=BB4_243 Depth=2
	s_and_not1_saveexec_b32 s12, s12
; %bb.285:                              ;   in Loop: Header=BB4_243 Depth=2
	v_and_b32_e32 v46, 0xffff, v47
	v_or_b32_e32 v56, 0x10000, v47
	s_delay_alu instid0(VALU_DEP_2) | instskip(NEXT) | instid1(VALU_DEP_2)
	v_cmp_eq_u32_e32 vcc_lo, 0, v46
	v_cndmask_b32_e32 v46, v56, v47, vcc_lo
; %bb.286:                              ;   in Loop: Header=BB4_243 Depth=2
	s_or_b32 exec_lo, exec_lo, s12
	v_and_b32_e32 v14, 0xffff0000, v14
	v_and_b32_e32 v10, 0xffff0000, v10
	s_delay_alu instid0(VALU_DEP_2) | instskip(NEXT) | instid1(VALU_DEP_2)
	v_max_num_f32_e32 v14, v14, v14
	v_max_num_f32_e32 v10, v10, v10
	s_delay_alu instid0(VALU_DEP_1) | instskip(NEXT) | instid1(VALU_DEP_1)
	v_dual_min_num_f32 v47, v10, v14 :: v_dual_max_num_f32 v10, v10, v14
	v_cndmask_b32_e64 v14, v10, v47, s11
	s_delay_alu instid0(VALU_DEP_1) | instskip(NEXT) | instid1(VALU_DEP_1)
	v_and_b32_e32 v10, 0x7f800000, v14
	v_cmp_ne_u32_e32 vcc_lo, 0x7f800000, v10
                                        ; implicit-def: $vgpr10
	s_and_saveexec_b32 s12, vcc_lo
	s_delay_alu instid0(SALU_CYCLE_1)
	s_xor_b32 s12, exec_lo, s12
; %bb.287:                              ;   in Loop: Header=BB4_243 Depth=2
	v_bfe_u32 v10, v14, 16, 1
	s_delay_alu instid0(VALU_DEP_1)
	v_add3_u32 v10, v14, v10, 0x7fff
                                        ; implicit-def: $vgpr14
; %bb.288:                              ;   in Loop: Header=BB4_243 Depth=2
	s_and_not1_saveexec_b32 s12, s12
; %bb.289:                              ;   in Loop: Header=BB4_243 Depth=2
	v_and_b32_e32 v10, 0xffff, v14
	v_or_b32_e32 v47, 0x10000, v14
	s_delay_alu instid0(VALU_DEP_2) | instskip(NEXT) | instid1(VALU_DEP_2)
	v_cmp_eq_u32_e32 vcc_lo, 0, v10
	v_cndmask_b32_e32 v10, v47, v14, vcc_lo
; %bb.290:                              ;   in Loop: Header=BB4_243 Depth=2
	s_or_b32 exec_lo, exec_lo, s12
	v_lshlrev_b32_e32 v14, 16, v15
	s_delay_alu instid0(VALU_DEP_1) | instskip(NEXT) | instid1(VALU_DEP_1)
	v_dual_max_num_f32 v14, v14, v14 :: v_dual_lshlrev_b32 v47, 16, v11
	v_max_num_f32_e32 v47, v47, v47
	s_delay_alu instid0(VALU_DEP_1) | instskip(NEXT) | instid1(VALU_DEP_1)
	v_dual_min_num_f32 v56, v47, v14 :: v_dual_max_num_f32 v14, v47, v14
	v_cndmask_b32_e64 v47, v14, v56, s11
	s_delay_alu instid0(VALU_DEP_1) | instskip(NEXT) | instid1(VALU_DEP_1)
	v_and_b32_e32 v14, 0x7f800000, v47
	v_cmp_ne_u32_e32 vcc_lo, 0x7f800000, v14
                                        ; implicit-def: $vgpr14
	s_and_saveexec_b32 s12, vcc_lo
	s_delay_alu instid0(SALU_CYCLE_1)
	s_xor_b32 s12, exec_lo, s12
; %bb.291:                              ;   in Loop: Header=BB4_243 Depth=2
	v_bfe_u32 v14, v47, 16, 1
	s_delay_alu instid0(VALU_DEP_1)
	v_add3_u32 v14, v47, v14, 0x7fff
                                        ; implicit-def: $vgpr47
; %bb.292:                              ;   in Loop: Header=BB4_243 Depth=2
	s_and_not1_saveexec_b32 s12, s12
; %bb.293:                              ;   in Loop: Header=BB4_243 Depth=2
	v_and_b32_e32 v14, 0xffff, v47
	v_or_b32_e32 v56, 0x10000, v47
	s_delay_alu instid0(VALU_DEP_2) | instskip(NEXT) | instid1(VALU_DEP_2)
	v_cmp_eq_u32_e32 vcc_lo, 0, v14
	v_cndmask_b32_e32 v14, v56, v47, vcc_lo
; %bb.294:                              ;   in Loop: Header=BB4_243 Depth=2
	s_or_b32 exec_lo, exec_lo, s12
	v_and_b32_e32 v15, 0xffff0000, v15
	v_and_b32_e32 v11, 0xffff0000, v11
	s_delay_alu instid0(VALU_DEP_2) | instskip(NEXT) | instid1(VALU_DEP_2)
	v_max_num_f32_e32 v15, v15, v15
	v_max_num_f32_e32 v11, v11, v11
	s_delay_alu instid0(VALU_DEP_1) | instskip(NEXT) | instid1(VALU_DEP_1)
	v_dual_min_num_f32 v47, v11, v15 :: v_dual_max_num_f32 v11, v11, v15
	v_cndmask_b32_e64 v15, v11, v47, s11
	s_delay_alu instid0(VALU_DEP_1) | instskip(NEXT) | instid1(VALU_DEP_1)
	v_and_b32_e32 v11, 0x7f800000, v15
	v_cmp_ne_u32_e32 vcc_lo, 0x7f800000, v11
                                        ; implicit-def: $vgpr11
	s_and_saveexec_b32 s12, vcc_lo
	s_delay_alu instid0(SALU_CYCLE_1)
	s_xor_b32 s12, exec_lo, s12
; %bb.295:                              ;   in Loop: Header=BB4_243 Depth=2
	v_bfe_u32 v11, v15, 16, 1
	s_delay_alu instid0(VALU_DEP_1)
	v_add3_u32 v11, v15, v11, 0x7fff
                                        ; implicit-def: $vgpr15
; %bb.296:                              ;   in Loop: Header=BB4_243 Depth=2
	s_and_not1_saveexec_b32 s12, s12
; %bb.297:                              ;   in Loop: Header=BB4_243 Depth=2
	v_and_b32_e32 v11, 0xffff, v15
	v_or_b32_e32 v47, 0x10000, v15
	s_delay_alu instid0(VALU_DEP_2) | instskip(NEXT) | instid1(VALU_DEP_2)
	v_cmp_eq_u32_e32 vcc_lo, 0, v11
	v_cndmask_b32_e32 v11, v47, v15, vcc_lo
; %bb.298:                              ;   in Loop: Header=BB4_243 Depth=2
	s_or_b32 exec_lo, exec_lo, s12
	v_lshlrev_b32_e32 v47, 16, v12
	s_delay_alu instid0(VALU_DEP_1) | instskip(NEXT) | instid1(VALU_DEP_1)
	v_dual_lshlrev_b32 v15, 16, v16 :: v_dual_max_num_f32 v47, v47, v47
	v_max_num_f32_e32 v15, v15, v15
	s_delay_alu instid0(VALU_DEP_1) | instskip(NEXT) | instid1(VALU_DEP_1)
	v_dual_min_num_f32 v56, v47, v15 :: v_dual_max_num_f32 v15, v47, v15
	v_cndmask_b32_e64 v47, v15, v56, s11
	s_delay_alu instid0(VALU_DEP_1) | instskip(NEXT) | instid1(VALU_DEP_1)
	v_and_b32_e32 v15, 0x7f800000, v47
	v_cmp_ne_u32_e32 vcc_lo, 0x7f800000, v15
                                        ; implicit-def: $vgpr15
	s_and_saveexec_b32 s12, vcc_lo
	s_delay_alu instid0(SALU_CYCLE_1)
	s_xor_b32 s12, exec_lo, s12
; %bb.299:                              ;   in Loop: Header=BB4_243 Depth=2
	v_bfe_u32 v15, v47, 16, 1
	s_delay_alu instid0(VALU_DEP_1)
	v_add3_u32 v15, v47, v15, 0x7fff
                                        ; implicit-def: $vgpr47
; %bb.300:                              ;   in Loop: Header=BB4_243 Depth=2
	s_and_not1_saveexec_b32 s12, s12
; %bb.301:                              ;   in Loop: Header=BB4_243 Depth=2
	v_and_b32_e32 v15, 0xffff, v47
	v_or_b32_e32 v56, 0x10000, v47
	s_delay_alu instid0(VALU_DEP_2) | instskip(NEXT) | instid1(VALU_DEP_2)
	v_cmp_eq_u32_e32 vcc_lo, 0, v15
	v_cndmask_b32_e32 v15, v56, v47, vcc_lo
; %bb.302:                              ;   in Loop: Header=BB4_243 Depth=2
	s_or_b32 exec_lo, exec_lo, s12
	v_and_b32_e32 v16, 0xffff0000, v16
	v_and_b32_e32 v12, 0xffff0000, v12
	s_delay_alu instid0(VALU_DEP_2) | instskip(NEXT) | instid1(VALU_DEP_2)
	v_max_num_f32_e32 v16, v16, v16
	v_max_num_f32_e32 v12, v12, v12
	s_delay_alu instid0(VALU_DEP_1) | instskip(NEXT) | instid1(VALU_DEP_1)
	v_dual_min_num_f32 v47, v12, v16 :: v_dual_max_num_f32 v12, v12, v16
	v_cndmask_b32_e64 v16, v12, v47, s11
	s_delay_alu instid0(VALU_DEP_1) | instskip(NEXT) | instid1(VALU_DEP_1)
	v_and_b32_e32 v12, 0x7f800000, v16
	v_cmp_ne_u32_e32 vcc_lo, 0x7f800000, v12
                                        ; implicit-def: $vgpr12
	s_and_saveexec_b32 s12, vcc_lo
	s_delay_alu instid0(SALU_CYCLE_1)
	s_xor_b32 s12, exec_lo, s12
; %bb.303:                              ;   in Loop: Header=BB4_243 Depth=2
	v_bfe_u32 v12, v16, 16, 1
	s_delay_alu instid0(VALU_DEP_1)
	v_add3_u32 v12, v16, v12, 0x7fff
                                        ; implicit-def: $vgpr16
; %bb.304:                              ;   in Loop: Header=BB4_243 Depth=2
	s_and_not1_saveexec_b32 s12, s12
; %bb.305:                              ;   in Loop: Header=BB4_243 Depth=2
	v_and_b32_e32 v12, 0xffff, v16
	v_or_b32_e32 v47, 0x10000, v16
	s_delay_alu instid0(VALU_DEP_2) | instskip(NEXT) | instid1(VALU_DEP_2)
	v_cmp_eq_u32_e32 vcc_lo, 0, v12
	v_cndmask_b32_e32 v12, v47, v16, vcc_lo
; %bb.306:                              ;   in Loop: Header=BB4_243 Depth=2
	s_or_b32 exec_lo, exec_lo, s12
	v_lshlrev_b32_e32 v47, 16, v13
	s_delay_alu instid0(VALU_DEP_1) | instskip(NEXT) | instid1(VALU_DEP_1)
	v_dual_max_num_f32 v47, v47, v47 :: v_dual_lshlrev_b32 v16, 16, v17
	v_max_num_f32_e32 v16, v16, v16
	s_delay_alu instid0(VALU_DEP_1) | instskip(NEXT) | instid1(VALU_DEP_1)
	v_dual_min_num_f32 v56, v47, v16 :: v_dual_max_num_f32 v16, v47, v16
	v_cndmask_b32_e64 v47, v16, v56, s11
	s_delay_alu instid0(VALU_DEP_1) | instskip(NEXT) | instid1(VALU_DEP_1)
	v_and_b32_e32 v16, 0x7f800000, v47
	v_cmp_ne_u32_e32 vcc_lo, 0x7f800000, v16
                                        ; implicit-def: $vgpr16
	s_and_saveexec_b32 s12, vcc_lo
	s_delay_alu instid0(SALU_CYCLE_1)
	s_xor_b32 s12, exec_lo, s12
; %bb.307:                              ;   in Loop: Header=BB4_243 Depth=2
	v_bfe_u32 v16, v47, 16, 1
	s_delay_alu instid0(VALU_DEP_1)
	v_add3_u32 v16, v47, v16, 0x7fff
                                        ; implicit-def: $vgpr47
; %bb.308:                              ;   in Loop: Header=BB4_243 Depth=2
	s_and_not1_saveexec_b32 s12, s12
; %bb.309:                              ;   in Loop: Header=BB4_243 Depth=2
	v_and_b32_e32 v16, 0xffff, v47
	v_or_b32_e32 v56, 0x10000, v47
	s_delay_alu instid0(VALU_DEP_2) | instskip(NEXT) | instid1(VALU_DEP_2)
	v_cmp_eq_u32_e32 vcc_lo, 0, v16
	v_cndmask_b32_e32 v16, v56, v47, vcc_lo
; %bb.310:                              ;   in Loop: Header=BB4_243 Depth=2
	s_or_b32 exec_lo, exec_lo, s12
	v_and_b32_e32 v17, 0xffff0000, v17
	v_and_b32_e32 v13, 0xffff0000, v13
	s_delay_alu instid0(VALU_DEP_2) | instskip(NEXT) | instid1(VALU_DEP_2)
	v_max_num_f32_e32 v17, v17, v17
	v_max_num_f32_e32 v13, v13, v13
	s_delay_alu instid0(VALU_DEP_1) | instskip(NEXT) | instid1(VALU_DEP_1)
	v_dual_min_num_f32 v47, v13, v17 :: v_dual_max_num_f32 v13, v13, v17
	v_cndmask_b32_e64 v17, v13, v47, s11
	s_delay_alu instid0(VALU_DEP_1) | instskip(NEXT) | instid1(VALU_DEP_1)
	v_and_b32_e32 v13, 0x7f800000, v17
	v_cmp_ne_u32_e32 vcc_lo, 0x7f800000, v13
                                        ; implicit-def: $vgpr13
	s_and_saveexec_b32 s12, vcc_lo
	s_delay_alu instid0(SALU_CYCLE_1)
	s_xor_b32 s12, exec_lo, s12
; %bb.311:                              ;   in Loop: Header=BB4_243 Depth=2
	v_bfe_u32 v13, v17, 16, 1
	s_delay_alu instid0(VALU_DEP_1)
	v_add3_u32 v13, v17, v13, 0x7fff
                                        ; implicit-def: $vgpr17
; %bb.312:                              ;   in Loop: Header=BB4_243 Depth=2
	s_and_not1_saveexec_b32 s12, s12
; %bb.313:                              ;   in Loop: Header=BB4_243 Depth=2
	v_and_b32_e32 v13, 0xffff, v17
	v_or_b32_e32 v47, 0x10000, v17
	s_delay_alu instid0(VALU_DEP_2) | instskip(NEXT) | instid1(VALU_DEP_2)
	v_cmp_eq_u32_e32 vcc_lo, 0, v13
	v_cndmask_b32_e32 v13, v47, v17, vcc_lo
; %bb.314:                              ;   in Loop: Header=BB4_243 Depth=2
	s_or_b32 exec_lo, exec_lo, s12
	v_dual_lshrrev_b32 v14, 16, v14 :: v_dual_lshrrev_b32 v15, 16, v15
	v_dual_lshrrev_b32 v17, 16, v46 :: v_dual_lshrrev_b32 v16, 16, v16
	v_sub_nc_u32_e32 v45, v45, v20
	s_delay_alu instid0(VALU_DEP_3) | instskip(NEXT) | instid1(VALU_DEP_4)
	v_and_or_b32 v11, 0xffff0000, v11, v14
	v_and_or_b32 v12, 0xffff0000, v12, v15
	s_delay_alu instid0(VALU_DEP_4)
	v_and_or_b32 v10, 0xffff0000, v10, v17
	v_and_or_b32 v13, 0xffff0000, v13, v16
	global_store_b128 v[100:101], v[10:13], off th:TH_STORE_NT
	s_wait_xcnt 0x0
	v_add_nc_u64_e32 v[100:101], 0x200, v[100:101]
	scratch_store_b128 off, v[10:13], s33 offset:80
	s_wait_xcnt 0x0
	s_and_saveexec_b32 s12, s46
	s_cbranch_execz .LBB4_242
; %bb.315:                              ;   in Loop: Header=BB4_243 Depth=2
	v_add_nc_u64_e32 v[102:103], v[102:103], v[22:23]
	v_add_nc_u64_e32 v[98:99], v[98:99], v[22:23]
	;; [unrolled: 1-line block ×3, first 2 shown]
	v_dual_sub_nc_u32 v40, v40, v115 :: v_dual_sub_nc_u32 v45, v45, v20
	s_branch .LBB4_242
.LBB4_316:                              ;   in Loop: Header=BB4_49 Depth=1
	s_or_b32 exec_lo, exec_lo, s44
	s_delay_alu instid0(SALU_CYCLE_1)
	s_and_b32 s11, s45, exec_lo
.LBB4_317:                              ;   in Loop: Header=BB4_49 Depth=1
	s_or_b32 exec_lo, exec_lo, s43
	s_and_saveexec_b32 s12, s11
	s_cbranch_execz .LBB4_351
; %bb.318:                              ;   in Loop: Header=BB4_49 Depth=1
	s_clause 0x1
	scratch_load_b128 v[14:17], off, s33 offset:128
	scratch_load_b128 v[10:13], off, s33 offset:112
	s_and_b32 s11, 0xffff, s40
	s_delay_alu instid0(SALU_CYCLE_1) | instskip(SKIP_3) | instid1(VALU_DEP_1)
	s_cmp_eq_u32 s11, 0
	s_cselect_b32 vcc_lo, -1, 0
	s_wait_loadcnt_dscnt 0x0
	v_lshlrev_b32_e32 v99, 16, v10
	v_dual_max_num_f32 v99, v99, v99 :: v_dual_lshlrev_b32 v98, 16, v14
	s_delay_alu instid0(VALU_DEP_1) | instskip(NEXT) | instid1(VALU_DEP_1)
	v_max_num_f32_e32 v98, v98, v98
	v_dual_min_num_f32 v102, v99, v98 :: v_dual_max_num_f32 v98, v99, v98
	s_delay_alu instid0(VALU_DEP_1) | instskip(NEXT) | instid1(VALU_DEP_1)
	v_cndmask_b32_e32 v99, v98, v102, vcc_lo
	v_and_b32_e32 v98, 0x7f800000, v99
	s_delay_alu instid0(VALU_DEP_1) | instskip(SKIP_2) | instid1(SALU_CYCLE_1)
	v_cmp_ne_u32_e64 s11, 0x7f800000, v98
                                        ; implicit-def: $vgpr98
	s_wait_xcnt 0x0
	s_and_saveexec_b32 s13, s11
	s_xor_b32 s11, exec_lo, s13
; %bb.319:                              ;   in Loop: Header=BB4_49 Depth=1
	v_bfe_u32 v98, v99, 16, 1
	s_delay_alu instid0(VALU_DEP_1)
	v_add3_u32 v98, v99, v98, 0x7fff
                                        ; implicit-def: $vgpr99
; %bb.320:                              ;   in Loop: Header=BB4_49 Depth=1
	s_and_not1_saveexec_b32 s13, s11
; %bb.321:                              ;   in Loop: Header=BB4_49 Depth=1
	v_and_b32_e32 v98, 0xffff, v99
	v_or_b32_e32 v102, 0x10000, v99
	s_delay_alu instid0(VALU_DEP_2) | instskip(NEXT) | instid1(VALU_DEP_1)
	v_cmp_eq_u32_e64 s11, 0, v98
	v_cndmask_b32_e64 v98, v102, v99, s11
; %bb.322:                              ;   in Loop: Header=BB4_49 Depth=1
	s_or_b32 exec_lo, exec_lo, s13
	v_and_b32_e32 v14, 0xffff0000, v14
	v_and_b32_e32 v10, 0xffff0000, v10
	s_delay_alu instid0(VALU_DEP_2) | instskip(NEXT) | instid1(VALU_DEP_2)
	v_max_num_f32_e32 v14, v14, v14
	v_max_num_f32_e32 v10, v10, v10
	s_delay_alu instid0(VALU_DEP_1) | instskip(NEXT) | instid1(VALU_DEP_1)
	v_dual_min_num_f32 v99, v10, v14 :: v_dual_max_num_f32 v10, v10, v14
	v_cndmask_b32_e32 v14, v10, v99, vcc_lo
	s_delay_alu instid0(VALU_DEP_1) | instskip(NEXT) | instid1(VALU_DEP_1)
	v_and_b32_e32 v10, 0x7f800000, v14
	v_cmp_ne_u32_e64 s11, 0x7f800000, v10
                                        ; implicit-def: $vgpr10
	s_and_saveexec_b32 s13, s11
	s_delay_alu instid0(SALU_CYCLE_1)
	s_xor_b32 s11, exec_lo, s13
; %bb.323:                              ;   in Loop: Header=BB4_49 Depth=1
	v_bfe_u32 v10, v14, 16, 1
	s_delay_alu instid0(VALU_DEP_1)
	v_add3_u32 v10, v14, v10, 0x7fff
                                        ; implicit-def: $vgpr14
; %bb.324:                              ;   in Loop: Header=BB4_49 Depth=1
	s_and_not1_saveexec_b32 s13, s11
; %bb.325:                              ;   in Loop: Header=BB4_49 Depth=1
	v_and_b32_e32 v10, 0xffff, v14
	v_or_b32_e32 v99, 0x10000, v14
	s_delay_alu instid0(VALU_DEP_2) | instskip(NEXT) | instid1(VALU_DEP_1)
	v_cmp_eq_u32_e64 s11, 0, v10
	v_cndmask_b32_e64 v10, v99, v14, s11
; %bb.326:                              ;   in Loop: Header=BB4_49 Depth=1
	s_or_b32 exec_lo, exec_lo, s13
	v_lshlrev_b32_e32 v14, 16, v15
	s_delay_alu instid0(VALU_DEP_1) | instskip(NEXT) | instid1(VALU_DEP_1)
	v_dual_max_num_f32 v14, v14, v14 :: v_dual_lshlrev_b32 v99, 16, v11
	v_max_num_f32_e32 v99, v99, v99
	s_delay_alu instid0(VALU_DEP_1) | instskip(NEXT) | instid1(VALU_DEP_1)
	v_dual_min_num_f32 v102, v99, v14 :: v_dual_max_num_f32 v14, v99, v14
	v_cndmask_b32_e32 v99, v14, v102, vcc_lo
	s_delay_alu instid0(VALU_DEP_1) | instskip(NEXT) | instid1(VALU_DEP_1)
	v_and_b32_e32 v14, 0x7f800000, v99
	v_cmp_ne_u32_e64 s11, 0x7f800000, v14
                                        ; implicit-def: $vgpr14
	s_and_saveexec_b32 s13, s11
	s_delay_alu instid0(SALU_CYCLE_1)
	s_xor_b32 s11, exec_lo, s13
; %bb.327:                              ;   in Loop: Header=BB4_49 Depth=1
	v_bfe_u32 v14, v99, 16, 1
	s_delay_alu instid0(VALU_DEP_1)
	v_add3_u32 v14, v99, v14, 0x7fff
                                        ; implicit-def: $vgpr99
; %bb.328:                              ;   in Loop: Header=BB4_49 Depth=1
	s_and_not1_saveexec_b32 s13, s11
; %bb.329:                              ;   in Loop: Header=BB4_49 Depth=1
	v_and_b32_e32 v14, 0xffff, v99
	v_or_b32_e32 v102, 0x10000, v99
	s_delay_alu instid0(VALU_DEP_2) | instskip(NEXT) | instid1(VALU_DEP_1)
	v_cmp_eq_u32_e64 s11, 0, v14
	v_cndmask_b32_e64 v14, v102, v99, s11
; %bb.330:                              ;   in Loop: Header=BB4_49 Depth=1
	s_or_b32 exec_lo, exec_lo, s13
	v_and_b32_e32 v15, 0xffff0000, v15
	v_and_b32_e32 v11, 0xffff0000, v11
	s_delay_alu instid0(VALU_DEP_2) | instskip(NEXT) | instid1(VALU_DEP_2)
	v_max_num_f32_e32 v15, v15, v15
	v_max_num_f32_e32 v11, v11, v11
	s_delay_alu instid0(VALU_DEP_1) | instskip(NEXT) | instid1(VALU_DEP_1)
	v_dual_min_num_f32 v99, v11, v15 :: v_dual_max_num_f32 v11, v11, v15
	v_cndmask_b32_e32 v15, v11, v99, vcc_lo
	s_delay_alu instid0(VALU_DEP_1) | instskip(NEXT) | instid1(VALU_DEP_1)
	v_and_b32_e32 v11, 0x7f800000, v15
	v_cmp_ne_u32_e64 s11, 0x7f800000, v11
                                        ; implicit-def: $vgpr11
	s_and_saveexec_b32 s13, s11
	s_delay_alu instid0(SALU_CYCLE_1)
	s_xor_b32 s11, exec_lo, s13
; %bb.331:                              ;   in Loop: Header=BB4_49 Depth=1
	v_bfe_u32 v11, v15, 16, 1
	s_delay_alu instid0(VALU_DEP_1)
	v_add3_u32 v11, v15, v11, 0x7fff
                                        ; implicit-def: $vgpr15
; %bb.332:                              ;   in Loop: Header=BB4_49 Depth=1
	s_and_not1_saveexec_b32 s13, s11
; %bb.333:                              ;   in Loop: Header=BB4_49 Depth=1
	v_and_b32_e32 v11, 0xffff, v15
	v_or_b32_e32 v99, 0x10000, v15
	s_delay_alu instid0(VALU_DEP_2) | instskip(NEXT) | instid1(VALU_DEP_1)
	v_cmp_eq_u32_e64 s11, 0, v11
	v_cndmask_b32_e64 v11, v99, v15, s11
; %bb.334:                              ;   in Loop: Header=BB4_49 Depth=1
	s_or_b32 exec_lo, exec_lo, s13
	v_lshlrev_b32_e32 v99, 16, v12
	s_delay_alu instid0(VALU_DEP_1) | instskip(NEXT) | instid1(VALU_DEP_1)
	v_dual_lshlrev_b32 v15, 16, v16 :: v_dual_max_num_f32 v99, v99, v99
	v_max_num_f32_e32 v15, v15, v15
	s_delay_alu instid0(VALU_DEP_1) | instskip(NEXT) | instid1(VALU_DEP_1)
	v_dual_min_num_f32 v102, v99, v15 :: v_dual_max_num_f32 v15, v99, v15
	v_cndmask_b32_e32 v99, v15, v102, vcc_lo
	s_delay_alu instid0(VALU_DEP_1) | instskip(NEXT) | instid1(VALU_DEP_1)
	v_and_b32_e32 v15, 0x7f800000, v99
	v_cmp_ne_u32_e64 s11, 0x7f800000, v15
                                        ; implicit-def: $vgpr15
	s_and_saveexec_b32 s13, s11
	s_delay_alu instid0(SALU_CYCLE_1)
	s_xor_b32 s11, exec_lo, s13
; %bb.335:                              ;   in Loop: Header=BB4_49 Depth=1
	v_bfe_u32 v15, v99, 16, 1
	s_delay_alu instid0(VALU_DEP_1)
	v_add3_u32 v15, v99, v15, 0x7fff
                                        ; implicit-def: $vgpr99
; %bb.336:                              ;   in Loop: Header=BB4_49 Depth=1
	s_and_not1_saveexec_b32 s13, s11
; %bb.337:                              ;   in Loop: Header=BB4_49 Depth=1
	v_and_b32_e32 v15, 0xffff, v99
	v_or_b32_e32 v102, 0x10000, v99
	s_delay_alu instid0(VALU_DEP_2) | instskip(NEXT) | instid1(VALU_DEP_1)
	v_cmp_eq_u32_e64 s11, 0, v15
	v_cndmask_b32_e64 v15, v102, v99, s11
; %bb.338:                              ;   in Loop: Header=BB4_49 Depth=1
	s_or_b32 exec_lo, exec_lo, s13
	v_and_b32_e32 v16, 0xffff0000, v16
	v_and_b32_e32 v12, 0xffff0000, v12
	s_delay_alu instid0(VALU_DEP_2) | instskip(NEXT) | instid1(VALU_DEP_2)
	v_max_num_f32_e32 v16, v16, v16
	v_max_num_f32_e32 v12, v12, v12
	s_delay_alu instid0(VALU_DEP_1) | instskip(NEXT) | instid1(VALU_DEP_1)
	v_dual_min_num_f32 v99, v12, v16 :: v_dual_max_num_f32 v12, v12, v16
	v_cndmask_b32_e32 v16, v12, v99, vcc_lo
	s_delay_alu instid0(VALU_DEP_1) | instskip(NEXT) | instid1(VALU_DEP_1)
	v_and_b32_e32 v12, 0x7f800000, v16
	v_cmp_ne_u32_e64 s11, 0x7f800000, v12
                                        ; implicit-def: $vgpr12
	s_and_saveexec_b32 s13, s11
	s_delay_alu instid0(SALU_CYCLE_1)
	s_xor_b32 s11, exec_lo, s13
; %bb.339:                              ;   in Loop: Header=BB4_49 Depth=1
	v_bfe_u32 v12, v16, 16, 1
	s_delay_alu instid0(VALU_DEP_1)
	v_add3_u32 v12, v16, v12, 0x7fff
                                        ; implicit-def: $vgpr16
; %bb.340:                              ;   in Loop: Header=BB4_49 Depth=1
	s_and_not1_saveexec_b32 s13, s11
; %bb.341:                              ;   in Loop: Header=BB4_49 Depth=1
	v_and_b32_e32 v12, 0xffff, v16
	v_or_b32_e32 v99, 0x10000, v16
	s_delay_alu instid0(VALU_DEP_2) | instskip(NEXT) | instid1(VALU_DEP_1)
	v_cmp_eq_u32_e64 s11, 0, v12
	v_cndmask_b32_e64 v12, v99, v16, s11
; %bb.342:                              ;   in Loop: Header=BB4_49 Depth=1
	s_or_b32 exec_lo, exec_lo, s13
	v_lshlrev_b32_e32 v99, 16, v13
	s_delay_alu instid0(VALU_DEP_1) | instskip(NEXT) | instid1(VALU_DEP_1)
	v_dual_max_num_f32 v99, v99, v99 :: v_dual_lshlrev_b32 v16, 16, v17
	v_max_num_f32_e32 v16, v16, v16
	s_delay_alu instid0(VALU_DEP_1) | instskip(NEXT) | instid1(VALU_DEP_1)
	v_dual_min_num_f32 v102, v99, v16 :: v_dual_max_num_f32 v16, v99, v16
	v_cndmask_b32_e32 v99, v16, v102, vcc_lo
	s_delay_alu instid0(VALU_DEP_1) | instskip(NEXT) | instid1(VALU_DEP_1)
	v_and_b32_e32 v16, 0x7f800000, v99
	v_cmp_ne_u32_e64 s11, 0x7f800000, v16
                                        ; implicit-def: $vgpr16
	s_and_saveexec_b32 s13, s11
	s_delay_alu instid0(SALU_CYCLE_1)
	s_xor_b32 s11, exec_lo, s13
; %bb.343:                              ;   in Loop: Header=BB4_49 Depth=1
	v_bfe_u32 v16, v99, 16, 1
	s_delay_alu instid0(VALU_DEP_1)
	v_add3_u32 v16, v99, v16, 0x7fff
                                        ; implicit-def: $vgpr99
; %bb.344:                              ;   in Loop: Header=BB4_49 Depth=1
	s_and_not1_saveexec_b32 s13, s11
; %bb.345:                              ;   in Loop: Header=BB4_49 Depth=1
	v_and_b32_e32 v16, 0xffff, v99
	v_or_b32_e32 v102, 0x10000, v99
	s_delay_alu instid0(VALU_DEP_2) | instskip(NEXT) | instid1(VALU_DEP_1)
	v_cmp_eq_u32_e64 s11, 0, v16
	v_cndmask_b32_e64 v16, v102, v99, s11
; %bb.346:                              ;   in Loop: Header=BB4_49 Depth=1
	s_or_b32 exec_lo, exec_lo, s13
	v_and_b32_e32 v17, 0xffff0000, v17
	v_and_b32_e32 v13, 0xffff0000, v13
	s_delay_alu instid0(VALU_DEP_2) | instskip(NEXT) | instid1(VALU_DEP_2)
	v_max_num_f32_e32 v17, v17, v17
	v_max_num_f32_e32 v13, v13, v13
	s_delay_alu instid0(VALU_DEP_1) | instskip(NEXT) | instid1(VALU_DEP_1)
	v_dual_min_num_f32 v99, v13, v17 :: v_dual_max_num_f32 v13, v13, v17
	v_cndmask_b32_e32 v17, v13, v99, vcc_lo
	s_delay_alu instid0(VALU_DEP_1) | instskip(NEXT) | instid1(VALU_DEP_1)
	v_and_b32_e32 v13, 0x7f800000, v17
	v_cmp_ne_u32_e32 vcc_lo, 0x7f800000, v13
                                        ; implicit-def: $vgpr13
	s_and_saveexec_b32 s11, vcc_lo
	s_delay_alu instid0(SALU_CYCLE_1)
	s_xor_b32 s11, exec_lo, s11
; %bb.347:                              ;   in Loop: Header=BB4_49 Depth=1
	v_bfe_u32 v13, v17, 16, 1
	s_delay_alu instid0(VALU_DEP_1)
	v_add3_u32 v13, v17, v13, 0x7fff
                                        ; implicit-def: $vgpr17
; %bb.348:                              ;   in Loop: Header=BB4_49 Depth=1
	s_and_not1_saveexec_b32 s11, s11
; %bb.349:                              ;   in Loop: Header=BB4_49 Depth=1
	v_and_b32_e32 v13, 0xffff, v17
	v_or_b32_e32 v99, 0x10000, v17
	s_delay_alu instid0(VALU_DEP_2) | instskip(NEXT) | instid1(VALU_DEP_2)
	v_cmp_eq_u32_e32 vcc_lo, 0, v13
	v_cndmask_b32_e32 v13, v99, v17, vcc_lo
; %bb.350:                              ;   in Loop: Header=BB4_49 Depth=1
	s_or_b32 exec_lo, exec_lo, s11
	v_dual_lshrrev_b32 v14, 16, v14 :: v_dual_lshrrev_b32 v15, 16, v15
	v_dual_lshrrev_b32 v17, 16, v98 :: v_dual_lshrrev_b32 v16, 16, v16
	s_delay_alu instid0(VALU_DEP_2) | instskip(NEXT) | instid1(VALU_DEP_3)
	v_and_or_b32 v11, 0xffff0000, v11, v14
	v_and_or_b32 v12, 0xffff0000, v12, v15
	s_delay_alu instid0(VALU_DEP_3) | instskip(NEXT) | instid1(VALU_DEP_4)
	v_and_or_b32 v10, 0xffff0000, v10, v17
	v_and_or_b32 v13, 0xffff0000, v13, v16
	global_store_b128 v[100:101], v[10:13], off th:TH_STORE_NT
.LBB4_351:                              ;   in Loop: Header=BB4_49 Depth=1
	s_wait_xcnt 0x0
	s_or_b32 exec_lo, exec_lo, s12
	v_and_b32_e32 v11, 14, v112
	s_mov_b32 s12, s41
	s_mov_b32 s11, exec_lo
                                        ; implicit-def: $vgpr16
                                        ; implicit-def: $vgpr10
                                        ; implicit-def: $vgpr17
	s_delay_alu instid0(VALU_DEP_1) | instskip(NEXT) | instid1(VALU_DEP_1)
	v_cndmask_b32_e64 v40, v43, v11, s10
	v_cmpx_ne_u32_e32 0, v40
	s_cbranch_execz .LBB4_353
; %bb.352:                              ;   in Loop: Header=BB4_49 Depth=1
	v_cmp_lt_i32_e32 vcc_lo, 0, v45
	s_or_b32 s12, s41, exec_lo
	v_dual_cndmask_b32 v10, 0, v20 :: v_dual_sub_nc_u32 v11, v43, v11
	s_delay_alu instid0(VALU_DEP_1) | instskip(NEXT) | instid1(VALU_DEP_1)
	v_dual_cndmask_b32 v11, 0, v11, s10 :: v_dual_sub_nc_u32 v10, v10, v45
	v_add3_u32 v16, v41, v113, v11
	s_delay_alu instid0(VALU_DEP_2) | instskip(NEXT) | instid1(VALU_DEP_1)
	v_lshl_add_u32 v10, v10, 5, v42
	v_ashrrev_i32_e32 v12, 31, v10
	s_delay_alu instid0(VALU_DEP_1) | instskip(NEXT) | instid1(VALU_DEP_1)
	v_lshrrev_b32_e32 v12, 27, v12
	v_add_nc_u32_e32 v12, v10, v12
	s_delay_alu instid0(VALU_DEP_1) | instskip(NEXT) | instid1(VALU_DEP_1)
	v_and_b32_e32 v12, 0xffffffe0, v12
	v_sub_nc_u32_e32 v17, v10, v12
.LBB4_353:                              ;   in Loop: Header=BB4_49 Depth=1
	s_or_b32 exec_lo, exec_lo, s11
	s_delay_alu instid0(SALU_CYCLE_1) | instskip(SKIP_1) | instid1(SALU_CYCLE_1)
	s_and_not1_b32 s10, s41, exec_lo
	s_and_b32 s11, s12, exec_lo
	s_or_b32 s41, s10, s11
.LBB4_354:                              ;   in Loop: Header=BB4_49 Depth=1
	s_or_b32 exec_lo, exec_lo, s42
	s_and_saveexec_b32 s13, s41
	s_cbranch_execz .LBB4_438
.LBB4_355:                              ;   in Loop: Header=BB4_49 Depth=1
	s_delay_alu instid0(VALU_DEP_1) | instskip(SKIP_2) | instid1(VALU_DEP_3)
	v_dual_ashrrev_i32 v11, 31, v10 :: v_dual_ashrrev_i32 v12, 31, v40
	v_dual_mov_b32 v43, 0 :: v_dual_mov_b32 v41, 0
	v_dual_mov_b32 v45, 0 :: v_dual_mov_b32 v42, 0
	v_dual_lshrrev_b32 v11, 27, v11 :: v_dual_mov_b32 v101, 0
	s_mov_b32 s10, 0
	s_mov_b32 s11, exec_lo
	s_delay_alu instid0(VALU_DEP_1) | instskip(SKIP_1) | instid1(VALU_DEP_1)
	v_dual_mov_b32 v100, 0 :: v_dual_add_nc_u32 v10, v10, v11
	v_dual_lshrrev_b32 v11, 24, v12 :: v_dual_lshlrev_b32 v12, 1, v17
	v_dual_ashrrev_i32 v10, 5, v10 :: v_dual_add_nc_u32 v11, v40, v11
	s_wait_dscnt 0x0
	s_delay_alu instid0(VALU_DEP_1) | instskip(NEXT) | instid1(VALU_DEP_1)
	v_dual_lshlrev_b32 v13, 8, v10 :: v_dual_ashrrev_i32 v98, 8, v11
	v_add3_u32 v14, v16, v12, v13
	s_delay_alu instid0(VALU_DEP_2) | instskip(NEXT) | instid1(VALU_DEP_2)
	v_dual_sub_nc_u32 v99, v98, v10 :: v_dual_mov_b32 v13, 0
	v_dual_mov_b32 v12, 0 :: v_dual_ashrrev_i32 v15, 31, v14
	s_delay_alu instid0(VALU_DEP_1) | instskip(NEXT) | instid1(VALU_DEP_3)
	v_add_nc_u64_e32 v[10:11], v[96:97], v[14:15]
	v_cmpx_lt_i32_e32 0, v99
	s_cbranch_execz .LBB4_395
; %bb.356:                              ;   in Loop: Header=BB4_49 Depth=1
	s_trap 2
	ds_load_b64 v[100:101], v0
	v_add_nc_u64_e32 v[12:13], v[14:15], v[86:87]
	s_and_b32 s10, s40, 0xff
	s_mov_b32 s15, 0
	s_cmp_eq_u32 s10, 0
	s_mov_b32 s14, 0
	s_cselect_b32 vcc_lo, -1, 0
                                        ; implicit-def: $sgpr12
                                        ; implicit-def: $vgpr46
                                        ; implicit-def: $vgpr42
                                        ; implicit-def: $vgpr113
                                        ; implicit-def: $vgpr112
                                        ; implicit-def: $vgpr102
                                        ; implicit-def: $vgpr103
	s_wait_dscnt 0x0
	v_add_nc_u64_e32 v[14:15], v[100:101], v[14:15]
                                        ; implicit-def: $vgpr100
                                        ; implicit-def: $vgpr101
	s_branch .LBB4_358
.LBB4_357:                              ;   in Loop: Header=BB4_358 Depth=2
	s_or_b32 exec_lo, exec_lo, s41
	v_dual_cndmask_b32 v43, 0, v20, s15 :: v_dual_cndmask_b32 v73, 0, v71, s15
	v_add_nc_u64_e32 v[60:61], v[12:13], v[54:55]
	v_add_nc_u64_e32 v[62:63], v[14:15], v[54:55]
	v_cndmask_b32_e64 v72, 0x100, v70, s15
	s_delay_alu instid0(VALU_DEP_4)
	v_sub_nc_u32_e32 v99, v99, v43
	s_clause 0x3
	flat_store_d16_hi_b16 v[10:11], v58 th:TH_STORE_NT
	flat_store_d16_hi_b16 v[10:11], v56 offset:64 th:TH_STORE_NT
	flat_store_d16_hi_b16 v[10:11], v45 offset:128 th:TH_STORE_NT
	;; [unrolled: 1-line block ×3, first 2 shown]
	v_cndmask_b32_e64 v13, v13, v61, s15
	v_cmp_gt_i32_e64 s10, 1, v99
	s_wait_xcnt 0x0
	v_add_nc_u64_e32 v[10:11], v[10:11], v[72:73]
	v_dual_cndmask_b32 v12, v12, v60, s15 :: v_dual_cndmask_b32 v15, v15, v63, s15
	v_cndmask_b32_e64 v14, v14, v62, s15
	s_or_b32 s14, s10, s14
	s_and_not1_b32 s10, s12, exec_lo
	s_and_b32 s12, s15, exec_lo
	s_delay_alu instid0(SALU_CYCLE_1)
	s_or_b32 s12, s10, s12
	s_and_not1_b32 exec_lo, exec_lo, s14
	s_cbranch_execz .LBB4_394
.LBB4_358:                              ;   Parent Loop BB4_49 Depth=1
                                        ; =>  This Inner Loop Header: Depth=2
	s_clause 0x3
	flat_load_u16 v58, v[12:13] th:TH_LOAD_NT
	flat_load_u16 v56, v[12:13] offset:64 th:TH_LOAD_NT
	flat_load_u16 v45, v[12:13] offset:128 th:TH_LOAD_NT
	;; [unrolled: 1-line block ×3, first 2 shown]
	s_clause 0x3
	flat_load_u16 v59, v[14:15] th:TH_LOAD_NT
	flat_load_u16 v57, v[14:15] offset:64 th:TH_LOAD_NT
	flat_load_u16 v47, v[14:15] offset:128 th:TH_LOAD_NT
	;; [unrolled: 1-line block ×3, first 2 shown]
	s_wait_xcnt 0x0
	s_and_saveexec_b32 s41, s15
	s_cbranch_execz .LBB4_376
; %bb.359:                              ;   in Loop: Header=BB4_358 Depth=2
	v_dual_lshlrev_b32 v60, 16, v100 :: v_dual_lshlrev_b32 v46, 16, v46
	s_delay_alu instid0(VALU_DEP_1) | instskip(NEXT) | instid1(VALU_DEP_1)
	v_dual_max_num_f32 v60, v60, v60 :: v_dual_max_num_f32 v46, v46, v46
	v_dual_min_num_f32 v61, v46, v60 :: v_dual_max_num_f32 v46, v46, v60
	s_delay_alu instid0(VALU_DEP_1) | instskip(NEXT) | instid1(VALU_DEP_1)
	v_cndmask_b32_e32 v60, v46, v61, vcc_lo
	v_and_b32_e32 v46, 0x7f800000, v60
	s_delay_alu instid0(VALU_DEP_1) | instskip(SKIP_1) | instid1(SALU_CYCLE_1)
	v_cmp_ne_u32_e64 s10, 0x7f800000, v46
                                        ; implicit-def: $vgpr46
	s_and_saveexec_b32 s15, s10
	s_xor_b32 s10, exec_lo, s15
; %bb.360:                              ;   in Loop: Header=BB4_358 Depth=2
	v_bfe_u32 v46, v60, 16, 1
	s_delay_alu instid0(VALU_DEP_1)
	v_add3_u32 v46, v60, v46, 0x7fff
                                        ; implicit-def: $vgpr60
; %bb.361:                              ;   in Loop: Header=BB4_358 Depth=2
	s_and_not1_saveexec_b32 s15, s10
; %bb.362:                              ;   in Loop: Header=BB4_358 Depth=2
	v_and_b32_e32 v46, 0xffff, v60
	v_or_b32_e32 v61, 0x10000, v60
	s_delay_alu instid0(VALU_DEP_2) | instskip(NEXT) | instid1(VALU_DEP_1)
	v_cmp_eq_u32_e64 s10, 0, v46
	v_cndmask_b32_e64 v46, v61, v60, s10
; %bb.363:                              ;   in Loop: Header=BB4_358 Depth=2
	s_or_b32 exec_lo, exec_lo, s15
	v_dual_lshlrev_b32 v60, 16, v101 :: v_dual_lshlrev_b32 v42, 16, v42
	s_delay_alu instid0(VALU_DEP_1) | instskip(NEXT) | instid1(VALU_DEP_1)
	v_dual_max_num_f32 v60, v60, v60 :: v_dual_max_num_f32 v42, v42, v42
	v_dual_min_num_f32 v61, v42, v60 :: v_dual_max_num_f32 v42, v42, v60
	s_delay_alu instid0(VALU_DEP_1) | instskip(NEXT) | instid1(VALU_DEP_1)
	v_cndmask_b32_e32 v60, v42, v61, vcc_lo
	v_and_b32_e32 v42, 0x7f800000, v60
	s_delay_alu instid0(VALU_DEP_1) | instskip(SKIP_1) | instid1(SALU_CYCLE_1)
	v_cmp_ne_u32_e64 s10, 0x7f800000, v42
                                        ; implicit-def: $vgpr42
	s_and_saveexec_b32 s15, s10
	s_xor_b32 s10, exec_lo, s15
; %bb.364:                              ;   in Loop: Header=BB4_358 Depth=2
	v_bfe_u32 v42, v60, 16, 1
	s_delay_alu instid0(VALU_DEP_1)
	v_add3_u32 v42, v60, v42, 0x7fff
                                        ; implicit-def: $vgpr60
; %bb.365:                              ;   in Loop: Header=BB4_358 Depth=2
	s_and_not1_saveexec_b32 s15, s10
; %bb.366:                              ;   in Loop: Header=BB4_358 Depth=2
	v_and_b32_e32 v42, 0xffff, v60
	v_or_b32_e32 v61, 0x10000, v60
	s_delay_alu instid0(VALU_DEP_2) | instskip(NEXT) | instid1(VALU_DEP_1)
	v_cmp_eq_u32_e64 s10, 0, v42
	v_cndmask_b32_e64 v42, v61, v60, s10
; %bb.367:                              ;   in Loop: Header=BB4_358 Depth=2
	s_or_b32 exec_lo, exec_lo, s15
	v_dual_lshlrev_b32 v60, 16, v102 :: v_dual_lshlrev_b32 v113, 16, v113
	s_delay_alu instid0(VALU_DEP_1) | instskip(NEXT) | instid1(VALU_DEP_1)
	v_dual_max_num_f32 v60, v60, v60 :: v_dual_max_num_f32 v113, v113, v113
	v_dual_min_num_f32 v61, v113, v60 :: v_dual_max_num_f32 v113, v113, v60
	s_delay_alu instid0(VALU_DEP_1) | instskip(NEXT) | instid1(VALU_DEP_1)
	v_cndmask_b32_e32 v60, v113, v61, vcc_lo
	v_and_b32_e32 v113, 0x7f800000, v60
	s_delay_alu instid0(VALU_DEP_1) | instskip(SKIP_1) | instid1(SALU_CYCLE_1)
	v_cmp_ne_u32_e64 s10, 0x7f800000, v113
                                        ; implicit-def: $vgpr113
	s_and_saveexec_b32 s15, s10
	s_xor_b32 s10, exec_lo, s15
; %bb.368:                              ;   in Loop: Header=BB4_358 Depth=2
	v_bfe_u32 v113, v60, 16, 1
	s_delay_alu instid0(VALU_DEP_1)
	v_add3_u32 v113, v60, v113, 0x7fff
                                        ; implicit-def: $vgpr60
; %bb.369:                              ;   in Loop: Header=BB4_358 Depth=2
	s_and_not1_saveexec_b32 s15, s10
; %bb.370:                              ;   in Loop: Header=BB4_358 Depth=2
	v_and_b32_e32 v113, 0xffff, v60
	v_or_b32_e32 v61, 0x10000, v60
	s_delay_alu instid0(VALU_DEP_2) | instskip(NEXT) | instid1(VALU_DEP_1)
	v_cmp_eq_u32_e64 s10, 0, v113
	v_cndmask_b32_e64 v113, v61, v60, s10
; %bb.371:                              ;   in Loop: Header=BB4_358 Depth=2
	s_or_b32 exec_lo, exec_lo, s15
	v_dual_lshlrev_b32 v60, 16, v103 :: v_dual_lshlrev_b32 v112, 16, v112
	s_delay_alu instid0(VALU_DEP_1) | instskip(NEXT) | instid1(VALU_DEP_2)
	v_max_num_f32_e32 v60, v60, v60
	v_max_num_f32_e32 v112, v112, v112
	s_delay_alu instid0(VALU_DEP_1) | instskip(NEXT) | instid1(VALU_DEP_1)
	v_dual_min_num_f32 v61, v112, v60 :: v_dual_max_num_f32 v112, v112, v60
	v_cndmask_b32_e32 v60, v112, v61, vcc_lo
	s_delay_alu instid0(VALU_DEP_1) | instskip(NEXT) | instid1(VALU_DEP_1)
	v_and_b32_e32 v112, 0x7f800000, v60
	v_cmp_ne_u32_e64 s10, 0x7f800000, v112
                                        ; implicit-def: $vgpr112
	s_and_saveexec_b32 s15, s10
	s_delay_alu instid0(SALU_CYCLE_1)
	s_xor_b32 s10, exec_lo, s15
; %bb.372:                              ;   in Loop: Header=BB4_358 Depth=2
	v_bfe_u32 v112, v60, 16, 1
	s_delay_alu instid0(VALU_DEP_1)
	v_add3_u32 v112, v60, v112, 0x7fff
                                        ; implicit-def: $vgpr60
; %bb.373:                              ;   in Loop: Header=BB4_358 Depth=2
	s_and_not1_saveexec_b32 s15, s10
; %bb.374:                              ;   in Loop: Header=BB4_358 Depth=2
	v_and_b32_e32 v112, 0xffff, v60
	v_or_b32_e32 v61, 0x10000, v60
	s_delay_alu instid0(VALU_DEP_2) | instskip(NEXT) | instid1(VALU_DEP_1)
	v_cmp_eq_u32_e64 s10, 0, v112
	v_cndmask_b32_e64 v112, v61, v60, s10
; %bb.375:                              ;   in Loop: Header=BB4_358 Depth=2
	s_or_b32 exec_lo, exec_lo, s15
	v_dual_lshrrev_b32 v46, 16, v46 :: v_dual_lshrrev_b32 v113, 16, v113
	s_delay_alu instid0(VALU_DEP_2)
	v_dual_lshrrev_b32 v42, 16, v42 :: v_dual_lshrrev_b32 v112, 16, v112
	s_clause 0x3
	flat_store_b16 v[10:11], v46 th:TH_STORE_NT
	flat_store_b16 v[10:11], v42 offset:64 th:TH_STORE_NT
	flat_store_b16 v[10:11], v113 offset:128 th:TH_STORE_NT
	;; [unrolled: 1-line block ×3, first 2 shown]
	s_wait_xcnt 0x0
	v_add_nc_u64_e32 v[10:11], v[10:11], v[70:71]
.LBB4_376:                              ;   in Loop: Header=BB4_358 Depth=2
	s_or_b32 exec_lo, exec_lo, s41
	v_sub_nc_u32_e32 v99, v99, v20
	v_add_nc_u64_e32 v[12:13], v[12:13], v[70:71]
	v_add_nc_u64_e32 v[14:15], v[14:15], v[70:71]
	s_delay_alu instid0(VALU_DEP_3)
	v_cmp_lt_i32_e64 s15, 0, v99
	s_and_saveexec_b32 s10, s15
	s_cbranch_execz .LBB4_378
; %bb.377:                              ;   in Loop: Header=BB4_358 Depth=2
	s_clause 0x3
	flat_load_u16 v46, v[12:13] th:TH_LOAD_NT
	flat_load_u16 v42, v[12:13] offset:64 th:TH_LOAD_NT
	flat_load_u16 v113, v[12:13] offset:128 th:TH_LOAD_NT
	;; [unrolled: 1-line block ×3, first 2 shown]
	s_clause 0x3
	flat_load_u16 v100, v[14:15] th:TH_LOAD_NT
	flat_load_u16 v101, v[14:15] offset:64 th:TH_LOAD_NT
	flat_load_u16 v102, v[14:15] offset:128 th:TH_LOAD_NT
	;; [unrolled: 1-line block ×3, first 2 shown]
	s_wait_xcnt 0x4
	v_add_nc_u64_e32 v[12:13], 0x100, v[12:13]
	s_wait_xcnt 0x0
	v_add_nc_u64_e32 v[14:15], 0x100, v[14:15]
.LBB4_378:                              ;   in Loop: Header=BB4_358 Depth=2
	s_or_b32 exec_lo, exec_lo, s10
	s_wait_loadcnt_dscnt 0x303
	v_dual_lshlrev_b32 v59, 16, v59 :: v_dual_lshlrev_b32 v58, 16, v58
	s_delay_alu instid0(VALU_DEP_1) | instskip(NEXT) | instid1(VALU_DEP_1)
	v_dual_max_num_f32 v59, v59, v59 :: v_dual_max_num_f32 v58, v58, v58
	v_dual_min_num_f32 v60, v58, v59 :: v_dual_max_num_f32 v58, v58, v59
	s_delay_alu instid0(VALU_DEP_1) | instskip(NEXT) | instid1(VALU_DEP_1)
	v_cndmask_b32_e32 v59, v58, v60, vcc_lo
	v_and_b32_e32 v58, 0x7f800000, v59
	s_delay_alu instid0(VALU_DEP_1) | instskip(SKIP_1) | instid1(SALU_CYCLE_1)
	v_cmp_ne_u32_e64 s10, 0x7f800000, v58
                                        ; implicit-def: $vgpr58
	s_and_saveexec_b32 s41, s10
	s_xor_b32 s10, exec_lo, s41
; %bb.379:                              ;   in Loop: Header=BB4_358 Depth=2
	v_bfe_u32 v58, v59, 16, 1
	s_delay_alu instid0(VALU_DEP_1)
	v_add3_u32 v58, v59, v58, 0x7fff
                                        ; implicit-def: $vgpr59
; %bb.380:                              ;   in Loop: Header=BB4_358 Depth=2
	s_and_not1_saveexec_b32 s41, s10
; %bb.381:                              ;   in Loop: Header=BB4_358 Depth=2
	v_and_b32_e32 v58, 0xffff, v59
	v_or_b32_e32 v60, 0x10000, v59
	s_delay_alu instid0(VALU_DEP_2) | instskip(NEXT) | instid1(VALU_DEP_1)
	v_cmp_eq_u32_e64 s10, 0, v58
	v_cndmask_b32_e64 v58, v60, v59, s10
; %bb.382:                              ;   in Loop: Header=BB4_358 Depth=2
	s_or_b32 exec_lo, exec_lo, s41
	s_wait_loadcnt_dscnt 0x202
	v_dual_lshlrev_b32 v57, 16, v57 :: v_dual_lshlrev_b32 v56, 16, v56
	s_delay_alu instid0(VALU_DEP_1) | instskip(NEXT) | instid1(VALU_DEP_1)
	v_dual_max_num_f32 v57, v57, v57 :: v_dual_max_num_f32 v56, v56, v56
	v_dual_min_num_f32 v59, v56, v57 :: v_dual_max_num_f32 v56, v56, v57
	s_delay_alu instid0(VALU_DEP_1) | instskip(NEXT) | instid1(VALU_DEP_1)
	v_cndmask_b32_e32 v57, v56, v59, vcc_lo
	v_and_b32_e32 v56, 0x7f800000, v57
	s_delay_alu instid0(VALU_DEP_1) | instskip(SKIP_1) | instid1(SALU_CYCLE_1)
	v_cmp_ne_u32_e64 s10, 0x7f800000, v56
                                        ; implicit-def: $vgpr56
	s_and_saveexec_b32 s41, s10
	s_xor_b32 s10, exec_lo, s41
; %bb.383:                              ;   in Loop: Header=BB4_358 Depth=2
	v_bfe_u32 v56, v57, 16, 1
	s_delay_alu instid0(VALU_DEP_1)
	v_add3_u32 v56, v57, v56, 0x7fff
                                        ; implicit-def: $vgpr57
; %bb.384:                              ;   in Loop: Header=BB4_358 Depth=2
	s_and_not1_saveexec_b32 s41, s10
; %bb.385:                              ;   in Loop: Header=BB4_358 Depth=2
	v_and_b32_e32 v56, 0xffff, v57
	v_or_b32_e32 v59, 0x10000, v57
	s_delay_alu instid0(VALU_DEP_2) | instskip(NEXT) | instid1(VALU_DEP_1)
	v_cmp_eq_u32_e64 s10, 0, v56
	v_cndmask_b32_e64 v56, v59, v57, s10
; %bb.386:                              ;   in Loop: Header=BB4_358 Depth=2
	s_or_b32 exec_lo, exec_lo, s41
	s_wait_loadcnt_dscnt 0x101
	v_dual_lshlrev_b32 v47, 16, v47 :: v_dual_lshlrev_b32 v45, 16, v45
	s_delay_alu instid0(VALU_DEP_1) | instskip(NEXT) | instid1(VALU_DEP_1)
	v_dual_max_num_f32 v47, v47, v47 :: v_dual_max_num_f32 v45, v45, v45
	v_dual_min_num_f32 v57, v45, v47 :: v_dual_max_num_f32 v45, v45, v47
	s_delay_alu instid0(VALU_DEP_1) | instskip(NEXT) | instid1(VALU_DEP_1)
	v_cndmask_b32_e32 v47, v45, v57, vcc_lo
	v_and_b32_e32 v45, 0x7f800000, v47
	s_delay_alu instid0(VALU_DEP_1) | instskip(SKIP_1) | instid1(SALU_CYCLE_1)
	v_cmp_ne_u32_e64 s10, 0x7f800000, v45
                                        ; implicit-def: $vgpr45
	s_and_saveexec_b32 s41, s10
	s_xor_b32 s10, exec_lo, s41
; %bb.387:                              ;   in Loop: Header=BB4_358 Depth=2
	v_bfe_u32 v45, v47, 16, 1
	s_delay_alu instid0(VALU_DEP_1)
	v_add3_u32 v45, v47, v45, 0x7fff
                                        ; implicit-def: $vgpr47
; %bb.388:                              ;   in Loop: Header=BB4_358 Depth=2
	s_and_not1_saveexec_b32 s41, s10
; %bb.389:                              ;   in Loop: Header=BB4_358 Depth=2
	v_and_b32_e32 v45, 0xffff, v47
	v_or_b32_e32 v57, 0x10000, v47
	s_delay_alu instid0(VALU_DEP_2) | instskip(NEXT) | instid1(VALU_DEP_1)
	v_cmp_eq_u32_e64 s10, 0, v45
	v_cndmask_b32_e64 v45, v57, v47, s10
; %bb.390:                              ;   in Loop: Header=BB4_358 Depth=2
	s_or_b32 exec_lo, exec_lo, s41
	s_wait_loadcnt_dscnt 0x0
	v_dual_lshlrev_b32 v43, 16, v43 :: v_dual_lshlrev_b32 v41, 16, v41
	s_delay_alu instid0(VALU_DEP_1) | instskip(NEXT) | instid1(VALU_DEP_1)
	v_dual_max_num_f32 v43, v43, v43 :: v_dual_max_num_f32 v41, v41, v41
	v_dual_min_num_f32 v47, v41, v43 :: v_dual_max_num_f32 v41, v41, v43
	s_delay_alu instid0(VALU_DEP_1) | instskip(NEXT) | instid1(VALU_DEP_1)
	v_cndmask_b32_e32 v43, v41, v47, vcc_lo
	v_and_b32_e32 v41, 0x7f800000, v43
	s_delay_alu instid0(VALU_DEP_1) | instskip(SKIP_1) | instid1(SALU_CYCLE_1)
	v_cmp_ne_u32_e64 s10, 0x7f800000, v41
                                        ; implicit-def: $vgpr41
	s_and_saveexec_b32 s41, s10
	s_xor_b32 s10, exec_lo, s41
; %bb.391:                              ;   in Loop: Header=BB4_358 Depth=2
	v_bfe_u32 v41, v43, 16, 1
	s_delay_alu instid0(VALU_DEP_1)
	v_add3_u32 v41, v43, v41, 0x7fff
                                        ; implicit-def: $vgpr43
; %bb.392:                              ;   in Loop: Header=BB4_358 Depth=2
	s_and_not1_saveexec_b32 s41, s10
	s_cbranch_execz .LBB4_357
; %bb.393:                              ;   in Loop: Header=BB4_358 Depth=2
	v_and_b32_e32 v41, 0xffff, v43
	v_or_b32_e32 v47, 0x10000, v43
	s_delay_alu instid0(VALU_DEP_2) | instskip(NEXT) | instid1(VALU_DEP_1)
	v_cmp_eq_u32_e64 s10, 0, v41
	v_cndmask_b32_e64 v41, v47, v43, s10
	s_branch .LBB4_357
.LBB4_394:                              ;   in Loop: Header=BB4_49 Depth=1
	s_or_b32 exec_lo, exec_lo, s14
	v_dual_lshlrev_b32 v43, 16, v46 :: v_dual_lshlrev_b32 v45, 16, v100
	v_dual_lshlrev_b32 v41, 16, v42 :: v_dual_lshlrev_b32 v42, 16, v101
	;; [unrolled: 1-line block ×4, first 2 shown]
	s_and_b32 s10, s12, exec_lo
.LBB4_395:                              ;   in Loop: Header=BB4_49 Depth=1
	s_or_b32 exec_lo, exec_lo, s11
	s_and_saveexec_b32 s11, s10
	s_cbranch_execz .LBB4_413
; %bb.396:                              ;   in Loop: Header=BB4_49 Depth=1
	v_dual_max_num_f32 v14, v45, v45 :: v_dual_max_num_f32 v15, v43, v43
	s_and_b32 s10, s40, 0xff
	s_delay_alu instid0(SALU_CYCLE_1) | instskip(NEXT) | instid1(VALU_DEP_1)
	s_cmp_eq_u32 s10, 0
	v_dual_min_num_f32 v102, v15, v14 :: v_dual_max_num_f32 v14, v15, v14
	s_cselect_b32 vcc_lo, -1, 0
	s_delay_alu instid0(VALU_DEP_1) | instskip(NEXT) | instid1(VALU_DEP_1)
	v_cndmask_b32_e32 v15, v14, v102, vcc_lo
	v_and_b32_e32 v14, 0x7f800000, v15
	s_delay_alu instid0(VALU_DEP_1) | instskip(SKIP_1) | instid1(SALU_CYCLE_1)
	v_cmp_ne_u32_e64 s10, 0x7f800000, v14
                                        ; implicit-def: $vgpr14
	s_and_saveexec_b32 s12, s10
	s_xor_b32 s10, exec_lo, s12
; %bb.397:                              ;   in Loop: Header=BB4_49 Depth=1
	v_bfe_u32 v14, v15, 16, 1
	s_delay_alu instid0(VALU_DEP_1)
	v_add3_u32 v14, v15, v14, 0x7fff
                                        ; implicit-def: $vgpr15
; %bb.398:                              ;   in Loop: Header=BB4_49 Depth=1
	s_and_not1_saveexec_b32 s12, s10
; %bb.399:                              ;   in Loop: Header=BB4_49 Depth=1
	v_and_b32_e32 v14, 0xffff, v15
	v_or_b32_e32 v102, 0x10000, v15
	s_delay_alu instid0(VALU_DEP_2) | instskip(NEXT) | instid1(VALU_DEP_1)
	v_cmp_eq_u32_e64 s10, 0, v14
	v_cndmask_b32_e64 v14, v102, v15, s10
; %bb.400:                              ;   in Loop: Header=BB4_49 Depth=1
	s_or_b32 exec_lo, exec_lo, s12
	v_dual_max_num_f32 v15, v42, v42 :: v_dual_max_num_f32 v102, v41, v41
	s_delay_alu instid0(VALU_DEP_1) | instskip(NEXT) | instid1(VALU_DEP_1)
	v_dual_min_num_f32 v103, v102, v15 :: v_dual_max_num_f32 v15, v102, v15
	v_cndmask_b32_e32 v102, v15, v103, vcc_lo
	s_delay_alu instid0(VALU_DEP_1) | instskip(NEXT) | instid1(VALU_DEP_1)
	v_and_b32_e32 v15, 0x7f800000, v102
	v_cmp_ne_u32_e64 s10, 0x7f800000, v15
                                        ; implicit-def: $vgpr15
	s_and_saveexec_b32 s12, s10
	s_delay_alu instid0(SALU_CYCLE_1)
	s_xor_b32 s10, exec_lo, s12
; %bb.401:                              ;   in Loop: Header=BB4_49 Depth=1
	v_bfe_u32 v15, v102, 16, 1
	s_delay_alu instid0(VALU_DEP_1)
	v_add3_u32 v15, v102, v15, 0x7fff
                                        ; implicit-def: $vgpr102
; %bb.402:                              ;   in Loop: Header=BB4_49 Depth=1
	s_and_not1_saveexec_b32 s12, s10
; %bb.403:                              ;   in Loop: Header=BB4_49 Depth=1
	v_and_b32_e32 v15, 0xffff, v102
	v_or_b32_e32 v103, 0x10000, v102
	s_delay_alu instid0(VALU_DEP_2) | instskip(NEXT) | instid1(VALU_DEP_1)
	v_cmp_eq_u32_e64 s10, 0, v15
	v_cndmask_b32_e64 v15, v103, v102, s10
; %bb.404:                              ;   in Loop: Header=BB4_49 Depth=1
	s_or_b32 exec_lo, exec_lo, s12
	v_dual_max_num_f32 v101, v101, v101 :: v_dual_max_num_f32 v100, v100, v100
	s_delay_alu instid0(VALU_DEP_1) | instskip(NEXT) | instid1(VALU_DEP_1)
	v_dual_min_num_f32 v102, v100, v101 :: v_dual_max_num_f32 v100, v100, v101
	v_cndmask_b32_e32 v101, v100, v102, vcc_lo
	s_delay_alu instid0(VALU_DEP_1) | instskip(NEXT) | instid1(VALU_DEP_1)
	v_and_b32_e32 v100, 0x7f800000, v101
	v_cmp_ne_u32_e64 s10, 0x7f800000, v100
                                        ; implicit-def: $vgpr100
	s_and_saveexec_b32 s12, s10
	s_delay_alu instid0(SALU_CYCLE_1)
	s_xor_b32 s10, exec_lo, s12
; %bb.405:                              ;   in Loop: Header=BB4_49 Depth=1
	v_bfe_u32 v100, v101, 16, 1
	s_delay_alu instid0(VALU_DEP_1)
	v_add3_u32 v100, v101, v100, 0x7fff
                                        ; implicit-def: $vgpr101
; %bb.406:                              ;   in Loop: Header=BB4_49 Depth=1
	s_and_not1_saveexec_b32 s12, s10
; %bb.407:                              ;   in Loop: Header=BB4_49 Depth=1
	v_and_b32_e32 v100, 0xffff, v101
	v_or_b32_e32 v102, 0x10000, v101
	s_delay_alu instid0(VALU_DEP_2) | instskip(NEXT) | instid1(VALU_DEP_1)
	v_cmp_eq_u32_e64 s10, 0, v100
	v_cndmask_b32_e64 v100, v102, v101, s10
; %bb.408:                              ;   in Loop: Header=BB4_49 Depth=1
	s_or_b32 exec_lo, exec_lo, s12
	v_dual_max_num_f32 v13, v13, v13 :: v_dual_max_num_f32 v12, v12, v12
	s_delay_alu instid0(VALU_DEP_1) | instskip(NEXT) | instid1(VALU_DEP_1)
	v_dual_min_num_f32 v101, v12, v13 :: v_dual_max_num_f32 v12, v12, v13
	v_cndmask_b32_e32 v12, v12, v101, vcc_lo
	s_delay_alu instid0(VALU_DEP_1) | instskip(NEXT) | instid1(VALU_DEP_1)
	v_and_b32_e32 v13, 0x7f800000, v12
	v_cmp_ne_u32_e32 vcc_lo, 0x7f800000, v13
                                        ; implicit-def: $vgpr13
	s_and_saveexec_b32 s10, vcc_lo
	s_delay_alu instid0(SALU_CYCLE_1)
	s_xor_b32 s10, exec_lo, s10
; %bb.409:                              ;   in Loop: Header=BB4_49 Depth=1
	v_bfe_u32 v13, v12, 16, 1
	s_delay_alu instid0(VALU_DEP_1)
	v_add3_u32 v13, v12, v13, 0x7fff
                                        ; implicit-def: $vgpr12
; %bb.410:                              ;   in Loop: Header=BB4_49 Depth=1
	s_and_not1_saveexec_b32 s10, s10
; %bb.411:                              ;   in Loop: Header=BB4_49 Depth=1
	v_and_b32_e32 v13, 0xffff, v12
	v_or_b32_e32 v101, 0x10000, v12
	s_delay_alu instid0(VALU_DEP_2) | instskip(NEXT) | instid1(VALU_DEP_2)
	v_cmp_eq_u32_e32 vcc_lo, 0, v13
	v_cndmask_b32_e32 v13, v101, v12, vcc_lo
; %bb.412:                              ;   in Loop: Header=BB4_49 Depth=1
	s_or_b32 exec_lo, exec_lo, s10
	s_clause 0x3
	flat_store_d16_hi_b16 v[10:11], v14 th:TH_STORE_NT
	flat_store_d16_hi_b16 v[10:11], v15 offset:64 th:TH_STORE_NT
	flat_store_d16_hi_b16 v[10:11], v100 offset:128 th:TH_STORE_NT
	;; [unrolled: 1-line block ×3, first 2 shown]
.LBB4_413:                              ;   in Loop: Header=BB4_49 Depth=1
	s_wait_xcnt 0x0
	s_or_b32 exec_lo, exec_lo, s11
	v_lshlrev_b32_e32 v10, 8, v98
	s_delay_alu instid0(VALU_DEP_1)
	v_cmp_ne_u32_e32 vcc_lo, v40, v10
	s_and_b32 exec_lo, exec_lo, vcc_lo
	s_cbranch_execz .LBB4_438
; %bb.414:                              ;   in Loop: Header=BB4_49 Depth=1
	v_lshlrev_b32_e32 v11, 5, v99
	s_delay_alu instid0(VALU_DEP_1) | instskip(NEXT) | instid1(VALU_DEP_1)
	v_sub_nc_u32_e32 v11, v17, v11
	v_ashrrev_i32_e32 v12, 31, v11
	s_delay_alu instid0(VALU_DEP_1) | instskip(NEXT) | instid1(VALU_DEP_1)
	v_lshrrev_b32_e32 v12, 27, v12
	v_add_nc_u32_e32 v12, v11, v12
	s_delay_alu instid0(VALU_DEP_1) | instskip(NEXT) | instid1(VALU_DEP_1)
	v_and_b32_e32 v13, 0x7fffffe0, v12
	v_dual_lshlrev_b32 v12, 1, v12 :: v_dual_sub_nc_u32 v11, v11, v13
	s_delay_alu instid0(VALU_DEP_1) | instskip(NEXT) | instid1(VALU_DEP_2)
	v_and_b32_e32 v12, 0xffffffc0, v12
	v_lshlrev_b32_e32 v11, 1, v11
	s_delay_alu instid0(VALU_DEP_1) | instskip(NEXT) | instid1(VALU_DEP_1)
	v_add3_u32 v10, v12, v11, v10
	v_sub_nc_u32_e32 v17, v40, v10
	s_delay_alu instid0(VALU_DEP_1)
	v_cmp_lt_i32_e32 vcc_lo, 1, v17
	s_and_b32 exec_lo, exec_lo, vcc_lo
	s_cbranch_execz .LBB4_438
; %bb.415:                              ;   in Loop: Header=BB4_49 Depth=1
	s_trap 2
	ds_load_b64 v[12:13], v0
	v_add_nc_u32_e32 v98, v10, v16
	s_and_b32 s10, s40, 0xff
	s_mov_b32 s42, 0
	s_cmp_eq_u32 s10, 0
	s_mov_b32 s40, 0
	v_ashrrev_i32_e32 v99, 31, v98
	s_cselect_b32 s10, -1, 0
                                        ; implicit-def: $sgpr41
	s_delay_alu instid0(VALU_DEP_1)
	v_add_nc_u64_e32 v[10:11], v[96:97], v[98:99]
	v_add_nc_u64_e32 v[14:15], v[98:99], v[86:87]
	s_wait_dscnt 0x0
	v_add_nc_u64_e32 v[12:13], v[12:13], v[98:99]
	s_branch .LBB4_417
.LBB4_416:                              ;   in Loop: Header=BB4_417 Depth=2
	s_or_b32 exec_lo, exec_lo, s11
	v_dual_cndmask_b32 v98, 0, v117, s42 :: v_dual_cndmask_b32 v96, 64, v80, s42
	s_delay_alu instid0(VALU_DEP_2) | instskip(SKIP_1) | instid1(VALU_DEP_3)
	v_lshrrev_b32_e32 v100, 16, v17
	v_add_nc_u64_e32 v[86:87], v[12:13], v[64:65]
	v_dual_cndmask_b32 v97, 0, v81, s42 :: v_dual_sub_nc_u32 v17, v16, v98
	v_add_nc_u64_e32 v[98:99], v[14:15], v[64:65]
	flat_store_b16 v[10:11], v100 th:TH_STORE_NT
	scratch_store_b16 off, v100, s33 offset:80
	v_cndmask_b32_e64 v13, v13, v87, s42
	v_cmp_gt_i32_e32 vcc_lo, 2, v17
	s_wait_xcnt 0x1
	v_add_nc_u64_e32 v[10:11], v[10:11], v[96:97]
	v_dual_cndmask_b32 v12, v12, v86, s42 :: v_dual_cndmask_b32 v15, v15, v99, s42
	v_cndmask_b32_e64 v14, v14, v98, s42
	s_or_b32 s40, vcc_lo, s40
	s_and_not1_b32 s11, s41, exec_lo
	s_and_b32 s12, s42, exec_lo
	s_delay_alu instid0(SALU_CYCLE_1)
	s_or_b32 s41, s11, s12
	s_wait_xcnt 0x0
	s_and_not1_b32 exec_lo, exec_lo, s40
	s_cbranch_execz .LBB4_432
.LBB4_417:                              ;   Parent Loop BB4_49 Depth=1
                                        ; =>  This Loop Header: Depth=2
                                        ;       Child Loop BB4_418 Depth 3
                                        ;       Child Loop BB4_427 Depth 3
	s_add_co_i32 s11, s33, 0x50
	s_mov_b64 s[14:15], 0
	s_mov_b32 s43, s11
	s_mov_b32 s44, -1
.LBB4_418:                              ;   Parent Loop BB4_49 Depth=1
                                        ;     Parent Loop BB4_417 Depth=2
                                        ; =>    This Inner Loop Header: Depth=3
	s_cmp_eq_u32 s14, 1
	s_cselect_b32 vcc_lo, -1, 0
	s_cmp_eq_u32 s14, 0
	v_dual_cndmask_b32 v87, v15, v13 :: v_dual_cndmask_b32 v86, v14, v12
	s_cselect_b32 s11, -1, 0
	s_and_b32 s12, exec_lo, s44
	s_mov_b64 s[14:15], 1
	s_mov_b32 s44, 0
	flat_load_u16 v16, v[86:87] th:TH_LOAD_NT
	s_wait_xcnt 0x0
	v_add_nc_u64_e32 v[86:87], 64, v[86:87]
	s_delay_alu instid0(VALU_DEP_1)
	v_dual_cndmask_b32 v13, v13, v87 :: v_dual_cndmask_b32 v12, v12, v86
	v_dual_cndmask_b32 v15, v15, v87, s11 :: v_dual_cndmask_b32 v14, v14, v86, s11
	s_add_co_i32 s11, s33, 0x70
	s_mov_b32 vcc_lo, s12
	s_wait_loadcnt_dscnt 0x0
	scratch_store_b16 off, v16, s43
	s_wait_xcnt 0x0
	s_mov_b32 s43, s11
	s_cbranch_vccnz .LBB4_418
; %bb.419:                              ;   in Loop: Header=BB4_417 Depth=2
	s_and_saveexec_b32 s11, s42
	s_cbranch_execz .LBB4_425
; %bb.420:                              ;   in Loop: Header=BB4_417 Depth=2
	s_clause 0x1
	scratch_load_u16 v16, off, s33 offset:74
	scratch_load_u16 v86, off, s33 offset:72
	s_wait_loadcnt 0x0
	v_dual_lshlrev_b32 v16, 16, v16 :: v_dual_lshlrev_b32 v86, 16, v86
	s_delay_alu instid0(VALU_DEP_1) | instskip(NEXT) | instid1(VALU_DEP_1)
	v_dual_max_num_f32 v16, v16, v16 :: v_dual_max_num_f32 v86, v86, v86
	v_dual_min_num_f32 v87, v86, v16 :: v_dual_max_num_f32 v16, v86, v16
	s_delay_alu instid0(VALU_DEP_1) | instskip(NEXT) | instid1(VALU_DEP_1)
	v_cndmask_b32_e64 v16, v16, v87, s10
	v_and_b32_e32 v86, 0x7f800000, v16
	s_delay_alu instid0(VALU_DEP_1) | instskip(SKIP_2) | instid1(SALU_CYCLE_1)
	v_cmp_ne_u32_e32 vcc_lo, 0x7f800000, v86
                                        ; implicit-def: $vgpr86
	s_wait_xcnt 0x0
	s_and_saveexec_b32 s12, vcc_lo
	s_xor_b32 s12, exec_lo, s12
; %bb.421:                              ;   in Loop: Header=BB4_417 Depth=2
	v_bfe_u32 v86, v16, 16, 1
	s_delay_alu instid0(VALU_DEP_1)
	v_add3_u32 v86, v16, v86, 0x7fff
                                        ; implicit-def: $vgpr16
; %bb.422:                              ;   in Loop: Header=BB4_417 Depth=2
	s_and_not1_saveexec_b32 s12, s12
; %bb.423:                              ;   in Loop: Header=BB4_417 Depth=2
	v_and_b32_e32 v86, 0xffff, v16
	v_or_b32_e32 v87, 0x10000, v16
	s_delay_alu instid0(VALU_DEP_2) | instskip(NEXT) | instid1(VALU_DEP_2)
	v_cmp_eq_u32_e32 vcc_lo, 0, v86
	v_cndmask_b32_e32 v86, v87, v16, vcc_lo
; %bb.424:                              ;   in Loop: Header=BB4_417 Depth=2
	s_or_b32 exec_lo, exec_lo, s12
	s_delay_alu instid0(VALU_DEP_1)
	v_lshrrev_b32_e32 v16, 16, v86
	flat_store_b16 v[10:11], v16 th:TH_STORE_NT
	s_wait_xcnt 0x0
	v_add_nc_u64_e32 v[10:11], v[10:11], v[80:81]
	scratch_store_b16 off, v16, s33 offset:72
.LBB4_425:                              ;   in Loop: Header=BB4_417 Depth=2
	s_wait_xcnt 0x0
	s_or_b32 exec_lo, exec_lo, s11
	v_sub_nc_u32_e32 v16, v17, v117
	v_add_nc_u64_e32 v[14:15], v[14:15], v[64:65]
	v_add_nc_u64_e32 v[12:13], v[12:13], v[64:65]
	s_delay_alu instid0(VALU_DEP_3)
	v_cmp_lt_i32_e64 s42, 1, v16
	s_and_saveexec_b32 s43, s42
	s_cbranch_execz .LBB4_428
; %bb.426:                              ;   in Loop: Header=BB4_417 Depth=2
	s_add_co_i32 s11, s33, 0x48
	s_mov_b64 s[14:15], 0
	s_mov_b32 s44, s11
	s_mov_b32 s45, -1
.LBB4_427:                              ;   Parent Loop BB4_49 Depth=1
                                        ;     Parent Loop BB4_417 Depth=2
                                        ; =>    This Inner Loop Header: Depth=3
	s_cmp_eq_u32 s14, 1
	s_cselect_b32 vcc_lo, -1, 0
	s_cmp_eq_u32 s14, 0
	v_dual_cndmask_b32 v87, v15, v13 :: v_dual_cndmask_b32 v86, v14, v12
	s_cselect_b32 s11, -1, 0
	s_and_b32 s12, exec_lo, s45
	s_mov_b64 s[14:15], 1
	s_mov_b32 s45, 0
	flat_load_u16 v17, v[86:87] th:TH_LOAD_NT
	s_wait_xcnt 0x0
	v_add_nc_u64_e32 v[86:87], 64, v[86:87]
	s_delay_alu instid0(VALU_DEP_1)
	v_dual_cndmask_b32 v15, v15, v87, s11 :: v_dual_cndmask_b32 v14, v14, v86, s11
	v_dual_cndmask_b32 v13, v13, v87 :: v_dual_cndmask_b32 v12, v12, v86
	s_add_co_i32 s11, s33, 0x4a
	s_mov_b32 vcc_lo, s12
	s_wait_loadcnt_dscnt 0x0
	scratch_store_b16 off, v17, s44
	s_wait_xcnt 0x0
	s_mov_b32 s44, s11
	s_cbranch_vccnz .LBB4_427
.LBB4_428:                              ;   in Loop: Header=BB4_417 Depth=2
	s_or_b32 exec_lo, exec_lo, s43
	s_clause 0x1
	scratch_load_u16 v17, off, s33 offset:112
	scratch_load_u16 v86, off, s33 offset:80
	s_wait_loadcnt 0x0
	v_dual_lshlrev_b32 v17, 16, v17 :: v_dual_lshlrev_b32 v86, 16, v86
	s_delay_alu instid0(VALU_DEP_1) | instskip(NEXT) | instid1(VALU_DEP_1)
	v_dual_max_num_f32 v17, v17, v17 :: v_dual_max_num_f32 v86, v86, v86
	v_dual_min_num_f32 v87, v86, v17 :: v_dual_max_num_f32 v17, v86, v17
	s_delay_alu instid0(VALU_DEP_1) | instskip(NEXT) | instid1(VALU_DEP_1)
	v_cndmask_b32_e64 v86, v17, v87, s10
	v_and_b32_e32 v17, 0x7f800000, v86
	s_delay_alu instid0(VALU_DEP_1) | instskip(SKIP_2) | instid1(SALU_CYCLE_1)
	v_cmp_ne_u32_e32 vcc_lo, 0x7f800000, v17
                                        ; implicit-def: $vgpr17
	s_wait_xcnt 0x0
	s_and_saveexec_b32 s11, vcc_lo
	s_xor_b32 s11, exec_lo, s11
; %bb.429:                              ;   in Loop: Header=BB4_417 Depth=2
	v_bfe_u32 v17, v86, 16, 1
	s_delay_alu instid0(VALU_DEP_1)
	v_add3_u32 v17, v86, v17, 0x7fff
                                        ; implicit-def: $vgpr86
; %bb.430:                              ;   in Loop: Header=BB4_417 Depth=2
	s_and_not1_saveexec_b32 s11, s11
	s_cbranch_execz .LBB4_416
; %bb.431:                              ;   in Loop: Header=BB4_417 Depth=2
	v_and_b32_e32 v17, 0xffff, v86
	v_or_b32_e32 v87, 0x10000, v86
	s_delay_alu instid0(VALU_DEP_2) | instskip(NEXT) | instid1(VALU_DEP_2)
	v_cmp_eq_u32_e32 vcc_lo, 0, v17
	v_cndmask_b32_e32 v17, v87, v86, vcc_lo
	s_branch .LBB4_416
.LBB4_432:                              ;   in Loop: Header=BB4_49 Depth=1
	s_or_b32 exec_lo, exec_lo, s40
	s_delay_alu instid0(SALU_CYCLE_1)
	s_and_b32 exec_lo, exec_lo, s41
	s_cbranch_execz .LBB4_438
; %bb.433:                              ;   in Loop: Header=BB4_49 Depth=1
	s_clause 0x1
	scratch_load_u16 v12, off, s33 offset:74
	scratch_load_u16 v13, off, s33 offset:72
	s_wait_loadcnt 0x0
	v_dual_lshlrev_b32 v12, 16, v12 :: v_dual_lshlrev_b32 v13, 16, v13
	s_delay_alu instid0(VALU_DEP_1) | instskip(NEXT) | instid1(VALU_DEP_1)
	v_dual_max_num_f32 v12, v12, v12 :: v_dual_max_num_f32 v13, v13, v13
	v_dual_min_num_f32 v14, v13, v12 :: v_dual_max_num_f32 v12, v13, v12
	s_delay_alu instid0(VALU_DEP_1) | instskip(NEXT) | instid1(VALU_DEP_1)
	v_cndmask_b32_e64 v12, v12, v14, s10
	v_and_b32_e32 v13, 0x7f800000, v12
	s_delay_alu instid0(VALU_DEP_1) | instskip(SKIP_2) | instid1(SALU_CYCLE_1)
	v_cmp_ne_u32_e32 vcc_lo, 0x7f800000, v13
                                        ; implicit-def: $vgpr13
	s_wait_xcnt 0x0
	s_and_saveexec_b32 s10, vcc_lo
	s_xor_b32 s10, exec_lo, s10
; %bb.434:                              ;   in Loop: Header=BB4_49 Depth=1
	v_bfe_u32 v13, v12, 16, 1
	s_delay_alu instid0(VALU_DEP_1)
	v_add3_u32 v13, v12, v13, 0x7fff
                                        ; implicit-def: $vgpr12
; %bb.435:                              ;   in Loop: Header=BB4_49 Depth=1
	s_and_not1_saveexec_b32 s10, s10
; %bb.436:                              ;   in Loop: Header=BB4_49 Depth=1
	v_and_b32_e32 v13, 0xffff, v12
	v_or_b32_e32 v14, 0x10000, v12
	s_delay_alu instid0(VALU_DEP_2) | instskip(NEXT) | instid1(VALU_DEP_2)
	v_cmp_eq_u32_e32 vcc_lo, 0, v13
	v_cndmask_b32_e32 v13, v14, v12, vcc_lo
; %bb.437:                              ;   in Loop: Header=BB4_49 Depth=1
	s_or_b32 exec_lo, exec_lo, s10
	flat_store_d16_hi_b16 v[10:11], v13 th:TH_STORE_NT
.LBB4_438:                              ;   in Loop: Header=BB4_49 Depth=1
	s_wait_xcnt 0x0
	s_or_b32 exec_lo, exec_lo, s13
	v_cmp_ne_u32_e64 s10, 0, v18
	s_and_saveexec_b32 s11, s2
	s_cbranch_execz .LBB4_457
.LBB4_439:                              ;   in Loop: Header=BB4_49 Depth=1
	s_and_saveexec_b32 s12, s3
	s_delay_alu instid0(SALU_CYCLE_1)
	s_xor_b32 s12, exec_lo, s12
	s_cbranch_execz .LBB4_454
; %bb.440:                              ;   in Loop: Header=BB4_49 Depth=1
	s_and_saveexec_b32 s13, s4
	s_cbranch_execz .LBB4_453
; %bb.441:                              ;   in Loop: Header=BB4_49 Depth=1
	s_mov_b32 s15, exec_lo
	s_mov_b32 s14, exec_lo
	v_mbcnt_lo_u32_b32 v10, s15, 0
	global_wb scope:SCOPE_DEV
	s_wait_storecnt 0x0
	s_wait_loadcnt_dscnt 0x0
	global_inv scope:SCOPE_DEV
	v_cmpx_eq_u32_e32 0, v10
	s_cbranch_execz .LBB4_443
; %bb.442:                              ;   in Loop: Header=BB4_49 Depth=1
	s_bcnt1_i32_b32 s15, s15
	s_delay_alu instid0(SALU_CYCLE_1)
	v_mov_b32_e32 v18, s15
	s_wait_loadcnt 0x0
	ds_add_u64 v0, v[18:19]
	s_trap 2
.LBB4_443:                              ;   in Loop: Header=BB4_49 Depth=1
	s_or_b32 exec_lo, exec_lo, s14
	s_trap 2
	ds_load_b64 v[10:11], v0
	s_wait_dscnt 0x0
	v_add_nc_u64_e32 v[48:49], v[48:49], v[20:21]
	s_mov_b32 s14, exec_lo
	s_delay_alu instid0(VALU_DEP_1)
	v_cmpx_lt_u64_e64 v[10:11], v[48:49]
	s_cbranch_execz .LBB4_452
; %bb.444:                              ;   in Loop: Header=BB4_49 Depth=1
	s_mov_b32 s15, 0
	s_mov_b32 s42, 0
                                        ; implicit-def: $sgpr40
                                        ; implicit-def: $sgpr41
	s_branch .LBB4_446
.LBB4_445:                              ;   in Loop: Header=BB4_446 Depth=2
	s_or_b32 exec_lo, exec_lo, s44
	s_delay_alu instid0(SALU_CYCLE_1) | instskip(NEXT) | instid1(SALU_CYCLE_1)
	s_and_b32 s43, exec_lo, s45
	s_or_b32 s15, s43, s15
	s_and_not1_b32 s40, s40, exec_lo
	s_and_b32 s43, s41, exec_lo
	s_delay_alu instid0(SALU_CYCLE_1)
	s_or_b32 s40, s40, s43
	s_and_not1_b32 exec_lo, exec_lo, s15
	s_cbranch_execz .LBB4_450
.LBB4_446:                              ;   Parent Loop BB4_49 Depth=1
                                        ; =>  This Inner Loop Header: Depth=2
	s_add_co_i32 s42, s42, 1
	s_delay_alu instid0(SALU_CYCLE_1) | instskip(SKIP_1) | instid1(SALU_CYCLE_1)
	s_cmp_lg_u32 s42, 0x2710
	s_cselect_b32 s43, -1, 0
	s_and_b32 vcc_lo, exec_lo, s43
	s_cbranch_vccz .LBB4_448
; %bb.447:                              ;   in Loop: Header=BB4_446 Depth=2
	s_mov_b32 s45, -1
	s_or_b32 s41, s41, exec_lo
	s_and_saveexec_b32 s44, s43
	s_cbranch_execz .LBB4_445
	s_branch .LBB4_449
.LBB4_448:                              ;   in Loop: Header=BB4_446 Depth=2
	s_trap 2
	ds_load_b64 v[10:11], v0
	s_and_not1_b32 s43, s43, exec_lo
	s_mov_b32 s42, 0
	s_wait_loadcnt_dscnt 0x0
	flat_load_b32 v10, v[10:11] scope:SCOPE_SYS
	s_wait_loadcnt_dscnt 0x0
	global_inv scope:SCOPE_SYS
	v_cmp_eq_u32_e32 vcc_lo, 0, v10
	s_and_b32 s44, vcc_lo, exec_lo
	s_delay_alu instid0(SALU_CYCLE_1)
	s_or_b32 s43, s43, s44
	s_mov_b32 s45, -1
	s_or_b32 s41, s41, exec_lo
	s_and_saveexec_b32 s44, s43
	s_cbranch_execz .LBB4_445
.LBB4_449:                              ;   in Loop: Header=BB4_446 Depth=2
	s_sleep 1
	s_trap 2
	ds_load_b64 v[10:11], v0
	s_wait_dscnt 0x0
	s_and_not1_b32 s41, s41, exec_lo
	v_cmp_ge_u64_e32 vcc_lo, v[10:11], v[48:49]
	s_or_not1_b32 s45, vcc_lo, exec_lo
	s_branch .LBB4_445
.LBB4_450:                              ;   in Loop: Header=BB4_49 Depth=1
	s_or_b32 exec_lo, exec_lo, s15
	s_and_saveexec_b32 s15, s40
	s_delay_alu instid0(SALU_CYCLE_1)
	s_xor_b32 s15, exec_lo, s15
	s_cbranch_execz .LBB4_452
; %bb.451:                              ;   in Loop: Header=BB4_49 Depth=1
	ds_store_b32 v0, v118
	s_trap 2
.LBB4_452:                              ;   in Loop: Header=BB4_49 Depth=1
	s_or_b32 exec_lo, exec_lo, s14
	;;#ASMSTART
	s_wakeup
	;;#ASMEND
.LBB4_453:                              ;   in Loop: Header=BB4_49 Depth=1
	s_or_b32 exec_lo, exec_lo, s13
.LBB4_454:                              ;   in Loop: Header=BB4_49 Depth=1
	s_and_not1_saveexec_b32 s12, s12
	s_cbranch_execz .LBB4_456
; %bb.455:                              ;   in Loop: Header=BB4_49 Depth=1
	global_wb scope:SCOPE_DEV
	s_wait_storecnt 0x0
	s_wait_loadcnt_dscnt 0x0
	global_inv scope:SCOPE_DEV
	s_barrier_signal -1
	s_barrier_wait -1
.LBB4_456:                              ;   in Loop: Header=BB4_49 Depth=1
	s_or_b32 exec_lo, exec_lo, s12
.LBB4_457:                              ;   in Loop: Header=BB4_49 Depth=1
	s_delay_alu instid0(SALU_CYCLE_1) | instskip(SKIP_1) | instid1(VALU_DEP_1)
	s_or_b32 exec_lo, exec_lo, s11
	v_and_b32_e32 v10, 16, v30
	v_cmp_ne_u32_e32 vcc_lo, 0, v10
	s_and_b32 s11, vcc_lo, s10
	s_delay_alu instid0(SALU_CYCLE_1)
	s_and_saveexec_b32 s10, s11
	s_cbranch_execz .LBB4_459
; %bb.458:                              ;   in Loop: Header=BB4_49 Depth=1
	global_wb scope:SCOPE_SYS
	s_wait_storecnt 0x0
	s_wait_loadcnt_dscnt 0x0
	global_inv scope:SCOPE_SYS
.LBB4_459:                              ;   in Loop: Header=BB4_49 Depth=1
	s_or_b32 exec_lo, exec_lo, s10
	v_cmp_ne_u32_e32 vcc_lo, 0, v10
	s_xor_b32 s10, s7, -1
	s_delay_alu instid0(SALU_CYCLE_1) | instskip(NEXT) | instid1(SALU_CYCLE_1)
	s_and_b32 s11, vcc_lo, s10
	s_and_saveexec_b32 s10, s11
	s_cbranch_execz .LBB4_461
; %bb.460:                              ;   in Loop: Header=BB4_49 Depth=1
	global_wb scope:SCOPE_SYS
	s_wait_storecnt 0x0
	s_wait_loadcnt_dscnt 0x0
	flat_store_b32 v[52:53], v118 scope:SCOPE_SYS
.LBB4_461:                              ;   in Loop: Header=BB4_49 Depth=1
	s_wait_xcnt 0x0
	s_or_b32 exec_lo, exec_lo, s10
	v_and_b32_e32 v10, 48, v30
	s_mov_b32 s10, exec_lo
	s_delay_alu instid0(VALU_DEP_1)
	v_cmpx_ne_u32_e32 0, v10
	s_cbranch_execz .LBB4_463
; %bb.462:                              ;   in Loop: Header=BB4_49 Depth=1
	v_add_nc_u64_e32 v[8:9], 1, v[8:9]
	global_wb scope:SCOPE_SYS
	s_wait_storecnt 0x0
	s_wait_loadcnt_dscnt 0x0
	flat_store_b64 v[32:33], v[8:9] scope:SCOPE_SYS
.LBB4_463:                              ;   in Loop: Header=BB4_49 Depth=1
	s_wait_xcnt 0x0
	s_or_b32 exec_lo, exec_lo, s10
	v_mov_b32_e32 v10, v85
.LBB4_464:                              ;   in Loop: Header=BB4_49 Depth=1
	s_or_b32 exec_lo, exec_lo, s29
	s_and_saveexec_b32 s11, s28
	s_cbranch_execz .LBB4_48
; %bb.465:                              ;   in Loop: Header=BB4_49 Depth=1
	s_delay_alu instid0(VALU_DEP_1) | instskip(SKIP_2) | instid1(VALU_DEP_2)
	v_sub_nc_u32_e32 v10, v84, v10
	v_and_b32_e32 v11, 12, v30
	s_mov_b32 s12, exec_lo
	v_min_i32_e32 v10, v85, v10
	s_delay_alu instid0(VALU_DEP_2)
	v_cmpx_ne_u32_e32 0, v11
	s_cbranch_execz .LBB4_491
; %bb.466:                              ;   in Loop: Header=BB4_49 Depth=1
	v_and_b32_e32 v18, 8, v30
	v_add_nc_u64_e32 v[12:13], 1, v[8:9]
	s_mov_b32 s13, exec_lo
	s_wait_loadcnt 0x0
	s_delay_alu instid0(VALU_DEP_2) | instskip(NEXT) | instid1(VALU_DEP_1)
	v_add_nc_u64_e32 v[14:15], v[38:39], v[18:19]
	v_cmpx_lt_u64_e64 v[14:15], v[12:13]
	s_cbranch_execz .LBB4_478
; %bb.467:                              ;   in Loop: Header=BB4_49 Depth=1
	v_and_b32_e32 v9, 64, v30
	s_mov_b32 s14, 0
	s_mov_b32 s40, 0
                                        ; implicit-def: $sgpr15
                                        ; implicit-def: $sgpr28
                                        ; implicit-def: $sgpr29
	s_delay_alu instid0(VALU_DEP_1)
	v_cmp_eq_u32_e32 vcc_lo, 0, v9
	s_branch .LBB4_471
.LBB4_468:                              ;   in Loop: Header=BB4_471 Depth=2
	s_wait_loadcnt_dscnt 0x0
	v_add_nc_u64_e32 v[14:15], v[38:39], v[18:19]
	s_or_b32 s43, s43, exec_lo
	s_delay_alu instid0(VALU_DEP_1)
	v_cmp_ge_u64_e64 s10, v[14:15], v[12:13]
	s_or_not1_b32 s42, s10, exec_lo
.LBB4_469:                              ;   in Loop: Header=BB4_471 Depth=2
	s_or_b32 exec_lo, exec_lo, s45
	s_delay_alu instid0(SALU_CYCLE_1)
	s_and_not1_b32 s10, s29, exec_lo
	s_and_b32 s29, s43, exec_lo
	s_and_not1_b32 s28, s28, exec_lo
	s_and_b32 s42, s42, exec_lo
	s_or_b32 s29, s10, s29
	s_or_b32 s28, s28, s42
.LBB4_470:                              ;   in Loop: Header=BB4_471 Depth=2
	s_or_b32 exec_lo, exec_lo, s41
	s_delay_alu instid0(SALU_CYCLE_1) | instskip(NEXT) | instid1(SALU_CYCLE_1)
	s_and_b32 s10, exec_lo, s28
	s_or_b32 s14, s10, s14
	s_and_not1_b32 s10, s15, exec_lo
	s_and_b32 s15, s29, exec_lo
	s_delay_alu instid0(SALU_CYCLE_1)
	s_or_b32 s15, s10, s15
	s_and_not1_b32 exec_lo, exec_lo, s14
	s_cbranch_execz .LBB4_475
.LBB4_471:                              ;   Parent Loop BB4_49 Depth=1
                                        ; =>  This Inner Loop Header: Depth=2
	s_sleep 1
	s_wait_loadcnt_dscnt 0x0
	flat_load_b64 v[38:39], v[32:33] scope:SCOPE_SYS
	s_or_b32 s29, s29, exec_lo
	s_or_b32 s28, s28, exec_lo
                                        ; implicit-def: $vgpr9
	s_wait_xcnt 0x0
	s_and_saveexec_b32 s41, vcc_lo
	s_cbranch_execz .LBB4_470
; %bb.472:                              ;   in Loop: Header=BB4_471 Depth=2
	s_cmp_lt_i32 s40, 0x270f
	s_mov_b32 s42, -1
	s_cselect_b32 s44, -1, 0
	s_cmp_gt_i32 s40, 0x270e
	s_cbranch_scc0 .LBB4_474
; %bb.473:                              ;   in Loop: Header=BB4_471 Depth=2
	s_trap 2
	ds_load_b64 v[14:15], v0
	s_and_not1_b32 s40, s44, exec_lo
	s_mov_b32 s43, 0
	s_wait_storecnt 0x0
	s_wait_loadcnt_dscnt 0x0
	flat_load_b32 v9, v[14:15] scope:SCOPE_SYS
	s_wait_loadcnt_dscnt 0x0
	global_inv scope:SCOPE_SYS
	v_cmp_eq_u32_e64 s10, 0, v9
	s_and_b32 s10, s10, exec_lo
	s_delay_alu instid0(SALU_CYCLE_1)
	s_or_b32 s44, s40, s10
	s_mov_b32 s40, 0
	s_and_saveexec_b32 s45, s44
	s_cbranch_execz .LBB4_469
	s_branch .LBB4_468
.LBB4_474:                              ;   in Loop: Header=BB4_471 Depth=2
	s_add_co_i32 s40, s40, 1
	s_mov_b32 s43, -1
                                        ; implicit-def: $vgpr9
	s_and_saveexec_b32 s45, s44
	s_cbranch_execz .LBB4_469
	s_branch .LBB4_468
.LBB4_475:                              ;   in Loop: Header=BB4_49 Depth=1
	s_or_b32 exec_lo, exec_lo, s14
	s_xor_b32 s10, s15, -1
	s_delay_alu instid0(SALU_CYCLE_1) | instskip(NEXT) | instid1(SALU_CYCLE_1)
	s_and_saveexec_b32 s14, s10
	s_xor_b32 s10, exec_lo, s14
	s_cbranch_execz .LBB4_477
; %bb.476:                              ;   in Loop: Header=BB4_49 Depth=1
	v_or_b32_e32 v30, 64, v30
	s_wait_storecnt 0x0
	s_wait_loadcnt_dscnt 0x0
	ds_store_b32 v0, v9
	s_trap 2
.LBB4_477:                              ;   in Loop: Header=BB4_49 Depth=1
	s_or_b32 exec_lo, exec_lo, s10
.LBB4_478:                              ;   in Loop: Header=BB4_49 Depth=1
	s_delay_alu instid0(SALU_CYCLE_1) | instskip(SKIP_3) | instid1(VALU_DEP_1)
	s_or_b32 exec_lo, exec_lo, s13
	v_and_b32_e32 v9, 0x108, v30
	s_mov_b32 s10, exec_lo
	;;#ASMSTART
	s_wakeup
	;;#ASMEND
                                        ; implicit-def: $vgpr14_vgpr15
	v_cmpx_ne_u32_e32 0x108, v9
	s_xor_b32 s10, exec_lo, s10
; %bb.479:                              ;   in Loop: Header=BB4_49 Depth=1
	v_dual_mov_b32 v15, v19 :: v_dual_bitop2_b32 v14, 7, v8 bitop3:0x40
; %bb.480:                              ;   in Loop: Header=BB4_49 Depth=1
	s_and_not1_saveexec_b32 s10, s10
	s_cbranch_execz .LBB4_482
; %bb.481:                              ;   in Loop: Header=BB4_49 Depth=1
	v_dual_ashrrev_i32 v11, 31, v10 :: v_dual_bitop2_b32 v14, 7, v8 bitop3:0x40
	v_mov_b32_e32 v15, v19
	s_delay_alu instid0(VALU_DEP_2) | instskip(NEXT) | instid1(VALU_DEP_3)
	v_mad_nc_u64_u32 v[8:9], v14, 24, v[6:7]
	v_lshlrev_b64_e32 v[16:17], 1, v[10:11]
	flat_store_b64 v[8:9], v[16:17] offset:8
.LBB4_482:                              ;   in Loop: Header=BB4_49 Depth=1
	s_wait_xcnt 0x0
	s_or_b32 exec_lo, exec_lo, s10
	v_and_b32_e32 v8, 0x100, v30
	s_mov_b32 s10, -1
	s_delay_alu instid0(VALU_DEP_1)
	v_cmp_ne_u32_e32 vcc_lo, 0, v8
                                        ; implicit-def: $vgpr8_vgpr9
	s_and_saveexec_b32 s13, vcc_lo
	s_cbranch_execz .LBB4_486
; %bb.483:                              ;   in Loop: Header=BB4_49 Depth=1
	v_mad_nc_u64_u32 v[16:17], v14, 24, v[6:7]
	s_delay_alu instid0(VALU_DEP_1)
	v_mad_u32 v17, v15, 24, v17
	flat_load_b32 v8, v[16:17]
	s_wait_loadcnt_dscnt 0x0
	v_cmp_eq_u32_e64 s10, 1, v8
	v_cmp_ne_u32_e32 vcc_lo, 1, v8
                                        ; implicit-def: $vgpr8_vgpr9
	s_wait_xcnt 0x0
	s_and_saveexec_b32 s14, s10
	s_cbranch_execz .LBB4_485
; %bb.484:                              ;   in Loop: Header=BB4_49 Depth=1
	flat_load_b32 v8, v[16:17] offset:4 scope:SCOPE_SYS
	s_wait_loadcnt_dscnt 0x0
	v_ashrrev_i32_e32 v9, 31, v8
	s_delay_alu instid0(VALU_DEP_1)
	v_lshrrev_b64 v[8:9], 1, v[8:9]
.LBB4_485:                              ;   in Loop: Header=BB4_49 Depth=1
	s_wait_xcnt 0x0
	s_or_b32 exec_lo, exec_lo, s14
	s_delay_alu instid0(SALU_CYCLE_1)
	s_or_not1_b32 s10, vcc_lo, exec_lo
.LBB4_486:                              ;   in Loop: Header=BB4_49 Depth=1
	s_or_b32 exec_lo, exec_lo, s13
	s_and_saveexec_b32 s13, s10
; %bb.487:                              ;   in Loop: Header=BB4_49 Depth=1
	v_mul_u64_e32 v[8:9], v[14:15], v[34:35]
; %bb.488:                              ;   in Loop: Header=BB4_49 Depth=1
	s_or_b32 exec_lo, exec_lo, s13
	v_cmp_eq_u32_e32 vcc_lo, 0, v18
	v_and_b32_e32 v14, 0x2000, v30
	s_delay_alu instid0(VALU_DEP_3) | instskip(SKIP_2) | instid1(VALU_DEP_1)
	v_lshl_add_u64 v[8:9], v[8:9], 1, v[36:37]
	s_mov_b32 s10, exec_lo
	v_cndmask_b32_e32 v11, 0xc8, v119, vcc_lo
	v_add_nc_u32_e32 v11, v0, v11
	ds_store_b64 v11, v[8:9] offset:584
	v_cmpx_ne_u32_e32 0, v14
	s_cbranch_execz .LBB4_490
; %bb.489:                              ;   in Loop: Header=BB4_49 Depth=1
	ds_load_b64 v[8:9], v0 offset:872
	s_wait_dscnt 0x0
	v_add_nc_u64_e32 v[8:9], 1, v[8:9]
	ds_store_b64 v0, v[8:9] offset:872
.LBB4_490:                              ;   in Loop: Header=BB4_49 Depth=1
	s_or_b32 exec_lo, exec_lo, s10
	v_mov_b64_e32 v[8:9], v[12:13]
.LBB4_491:                              ;   in Loop: Header=BB4_49 Depth=1
	s_or_b32 exec_lo, exec_lo, s12
	s_and_saveexec_b32 s10, s2
	s_cbranch_execz .LBB4_510
; %bb.492:                              ;   in Loop: Header=BB4_49 Depth=1
	s_and_saveexec_b32 s12, s3
	s_delay_alu instid0(SALU_CYCLE_1)
	s_xor_b32 s12, exec_lo, s12
	s_cbranch_execz .LBB4_507
; %bb.493:                              ;   in Loop: Header=BB4_49 Depth=1
	s_and_saveexec_b32 s13, s4
	s_cbranch_execz .LBB4_506
; %bb.494:                              ;   in Loop: Header=BB4_49 Depth=1
	s_mov_b32 s15, exec_lo
	s_mov_b32 s14, exec_lo
	v_mbcnt_lo_u32_b32 v11, s15, 0
	global_wb scope:SCOPE_DEV
	s_wait_storecnt 0x0
	s_wait_loadcnt_dscnt 0x0
	global_inv scope:SCOPE_DEV
	v_cmpx_eq_u32_e32 0, v11
	s_cbranch_execz .LBB4_496
; %bb.495:                              ;   in Loop: Header=BB4_49 Depth=1
	s_bcnt1_i32_b32 s15, s15
	s_delay_alu instid0(SALU_CYCLE_1)
	v_mov_b32_e32 v18, s15
	s_wait_loadcnt 0x0
	ds_add_u64 v0, v[18:19]
	s_trap 2
.LBB4_496:                              ;   in Loop: Header=BB4_49 Depth=1
	s_or_b32 exec_lo, exec_lo, s14
	s_trap 2
	ds_load_b64 v[12:13], v0
	s_wait_dscnt 0x0
	v_add_nc_u64_e32 v[48:49], v[48:49], v[20:21]
	s_mov_b32 s14, exec_lo
	s_delay_alu instid0(VALU_DEP_1)
	v_cmpx_lt_u64_e64 v[12:13], v[48:49]
	s_cbranch_execz .LBB4_505
; %bb.497:                              ;   in Loop: Header=BB4_49 Depth=1
	s_mov_b32 s15, 0
	s_mov_b32 s40, 0
                                        ; implicit-def: $sgpr28
                                        ; implicit-def: $sgpr29
	s_branch .LBB4_499
.LBB4_498:                              ;   in Loop: Header=BB4_499 Depth=2
	s_or_b32 exec_lo, exec_lo, s42
	s_delay_alu instid0(SALU_CYCLE_1) | instskip(NEXT) | instid1(SALU_CYCLE_1)
	s_and_b32 s41, exec_lo, s43
	s_or_b32 s15, s41, s15
	s_and_not1_b32 s28, s28, exec_lo
	s_and_b32 s41, s29, exec_lo
	s_delay_alu instid0(SALU_CYCLE_1)
	s_or_b32 s28, s28, s41
	s_and_not1_b32 exec_lo, exec_lo, s15
	s_cbranch_execz .LBB4_503
.LBB4_499:                              ;   Parent Loop BB4_49 Depth=1
                                        ; =>  This Inner Loop Header: Depth=2
	s_add_co_i32 s40, s40, 1
	s_delay_alu instid0(SALU_CYCLE_1) | instskip(SKIP_1) | instid1(SALU_CYCLE_1)
	s_cmp_lg_u32 s40, 0x2710
	s_cselect_b32 s41, -1, 0
	s_and_b32 vcc_lo, exec_lo, s41
	s_cbranch_vccz .LBB4_501
; %bb.500:                              ;   in Loop: Header=BB4_499 Depth=2
	s_mov_b32 s43, -1
	s_or_b32 s29, s29, exec_lo
	s_and_saveexec_b32 s42, s41
	s_cbranch_execz .LBB4_498
	s_branch .LBB4_502
.LBB4_501:                              ;   in Loop: Header=BB4_499 Depth=2
	s_trap 2
	ds_load_b64 v[12:13], v0
	s_and_not1_b32 s41, s41, exec_lo
	s_mov_b32 s40, 0
	s_wait_loadcnt_dscnt 0x0
	flat_load_b32 v11, v[12:13] scope:SCOPE_SYS
	s_wait_loadcnt_dscnt 0x0
	global_inv scope:SCOPE_SYS
	v_cmp_eq_u32_e32 vcc_lo, 0, v11
	s_and_b32 s42, vcc_lo, exec_lo
	s_delay_alu instid0(SALU_CYCLE_1)
	s_or_b32 s41, s41, s42
	s_mov_b32 s43, -1
	s_or_b32 s29, s29, exec_lo
	s_and_saveexec_b32 s42, s41
	s_cbranch_execz .LBB4_498
.LBB4_502:                              ;   in Loop: Header=BB4_499 Depth=2
	s_sleep 1
	s_trap 2
	ds_load_b64 v[12:13], v0
	s_wait_dscnt 0x0
	s_and_not1_b32 s29, s29, exec_lo
	v_cmp_ge_u64_e32 vcc_lo, v[12:13], v[48:49]
	s_or_not1_b32 s43, vcc_lo, exec_lo
	s_branch .LBB4_498
.LBB4_503:                              ;   in Loop: Header=BB4_49 Depth=1
	s_or_b32 exec_lo, exec_lo, s15
	s_and_saveexec_b32 s15, s28
	s_delay_alu instid0(SALU_CYCLE_1)
	s_xor_b32 s15, exec_lo, s15
	s_cbranch_execz .LBB4_505
; %bb.504:                              ;   in Loop: Header=BB4_49 Depth=1
	ds_store_b32 v0, v118
	s_trap 2
.LBB4_505:                              ;   in Loop: Header=BB4_49 Depth=1
	s_or_b32 exec_lo, exec_lo, s14
	;;#ASMSTART
	s_wakeup
	;;#ASMEND
.LBB4_506:                              ;   in Loop: Header=BB4_49 Depth=1
	s_or_b32 exec_lo, exec_lo, s13
.LBB4_507:                              ;   in Loop: Header=BB4_49 Depth=1
	s_and_not1_saveexec_b32 s12, s12
	s_cbranch_execz .LBB4_509
; %bb.508:                              ;   in Loop: Header=BB4_49 Depth=1
	global_wb scope:SCOPE_DEV
	s_wait_storecnt 0x0
	s_wait_loadcnt_dscnt 0x0
	global_inv scope:SCOPE_DEV
	s_barrier_signal -1
	s_barrier_wait -1
.LBB4_509:                              ;   in Loop: Header=BB4_49 Depth=1
	s_or_b32 exec_lo, exec_lo, s12
.LBB4_510:                              ;   in Loop: Header=BB4_49 Depth=1
	s_delay_alu instid0(SALU_CYCLE_1)
	s_or_b32 exec_lo, exec_lo, s10
	s_trap 2
	ds_load_b32 v11, v0
	v_cmp_lt_i32_e32 vcc_lo, 0, v10
	s_wait_dscnt 0x0
	v_readfirstlane_b32 s10, v11
	v_and_b32_e32 v11, 16, v30
	s_cmp_eq_u32 s10, 0
	s_delay_alu instid0(VALU_DEP_1) | instskip(SKIP_1) | instid1(SALU_CYCLE_1)
	v_cmp_ne_u32_e64 s10, 0, v11
	s_cselect_b32 s12, -1, 0
	s_and_b32 s12, vcc_lo, s12
	s_delay_alu instid0(SALU_CYCLE_1) | instskip(NEXT) | instid1(SALU_CYCLE_1)
	s_and_b32 s12, s10, s12
	s_and_saveexec_b32 s10, s12
	s_cbranch_execz .LBB4_512
; %bb.511:                              ;   in Loop: Header=BB4_49 Depth=1
	global_wb scope:SCOPE_SYS
	s_wait_loadcnt 0x0
	s_wait_storecnt 0x0
	global_inv scope:SCOPE_SYS
.LBB4_512:                              ;   in Loop: Header=BB4_49 Depth=1
	s_or_b32 exec_lo, exec_lo, s10
	v_cmp_ne_u32_e32 vcc_lo, 0, v11
	s_xor_b32 s10, s7, -1
	s_delay_alu instid0(SALU_CYCLE_1) | instskip(NEXT) | instid1(SALU_CYCLE_1)
	s_and_b32 s12, vcc_lo, s10
	s_and_saveexec_b32 s10, s12
	s_cbranch_execz .LBB4_514
; %bb.513:                              ;   in Loop: Header=BB4_49 Depth=1
	global_wb scope:SCOPE_SYS
	s_wait_loadcnt 0x0
	s_wait_storecnt 0x0
	flat_store_b32 v[52:53], v118 scope:SCOPE_SYS
.LBB4_514:                              ;   in Loop: Header=BB4_49 Depth=1
	s_wait_xcnt 0x0
	s_or_b32 exec_lo, exec_lo, s10
	v_and_b32_e32 v10, 48, v30
	s_mov_b32 s10, exec_lo
	s_delay_alu instid0(VALU_DEP_1)
	v_cmpx_ne_u32_e32 0, v10
	s_cbranch_execz .LBB4_47
; %bb.515:                              ;   in Loop: Header=BB4_49 Depth=1
	v_add_nc_u64_e32 v[8:9], 1, v[8:9]
	global_wb scope:SCOPE_SYS
	s_wait_storecnt 0x0
	s_wait_loadcnt_dscnt 0x0
	flat_store_b64 v[32:33], v[8:9] scope:SCOPE_SYS
	s_branch .LBB4_47
.LBB4_516:
	s_or_b32 exec_lo, exec_lo, s22
.LBB4_517:
	s_delay_alu instid0(SALU_CYCLE_1)
	s_or_b32 exec_lo, exec_lo, s20
                                        ; implicit-def: $vgpr26_vgpr27
                                        ; implicit-def: $vgpr4_vgpr5
                                        ; implicit-def: $vgpr34
                                        ; implicit-def: $vgpr38_vgpr39
                                        ; implicit-def: $vgpr36_vgpr37
                                        ; implicit-def: $vgpr32_vgpr33
                                        ; implicit-def: $vgpr0
                                        ; implicit-def: $vgpr15
                                        ; implicit-def: $vgpr50_vgpr51
.LBB4_518:
	s_and_not1_saveexec_b32 s19, s19
	s_cbranch_execz .LBB4_980
; %bb.519:
	v_mov_b64_e32 v[48:49], 0
	s_mov_b32 s20, exec_lo
	v_cmpx_ne_u64_e32 0, v[4:5]
	s_cbranch_execz .LBB4_979
; %bb.520:
	v_dual_mov_b32 v21, 0 :: v_dual_lshrrev_b32 v18, 5, v1
	v_dual_ashrrev_i32 v35, 31, v34 :: v_dual_bitop2_b32 v102, 31, v0 bitop3:0x40
	s_delay_alu instid0(VALU_DEP_2) | instskip(NEXT) | instid1(VALU_DEP_3)
	v_dual_lshlrev_b32 v103, 9, v18 :: v_dual_bitop2_b32 v10, 31, v31 bitop3:0x40
	v_dual_mov_b32 v19, v21 :: v_dual_lshlrev_b32 v112, 6, v18
	v_lshl_add_u32 v24, v18, 8, 0xffffff00
	s_lshr_b32 s2, s17, 27
	s_delay_alu instid0(VALU_DEP_3)
	v_dual_mov_b32 v55, v21 :: v_dual_add_nc_u32 v22, 0xfffffe00, v103
	s_wait_dscnt 0x1
	v_subrev_nc_u32_e32 v52, 64, v112
	s_add_co_i32 s2, s17, s2
	v_cmp_eq_u32_e32 vcc_lo, 32, v1
	s_wait_dscnt 0x0
	v_dual_ashrrev_i32 v23, 31, v22 :: v_dual_ashrrev_i32 v25, 31, v24
	v_dual_mov_b32 v114, 1 :: v_dual_ashrrev_i32 v53, 31, v52
	v_mov_b64_e32 v[70:71], 0
	s_delay_alu instid0(VALU_DEP_3) | instskip(NEXT) | instid1(VALU_DEP_4)
	v_add_nc_u64_e32 v[64:65], 0x200, v[22:23]
	v_add_nc_u64_e32 v[66:67], 0x100, v[24:25]
	s_delay_alu instid0(VALU_DEP_4)
	v_add_nc_u64_e32 v[68:69], 64, v[52:53]
	v_mov_b64_e32 v[48:49], 0
	v_cmp_ge_u32_e64 s1, v0, v1
	s_ashr_i32 s21, s2, 5
	v_cmp_ne_u32_e64 s2, 32, v1
	v_cmp_ne_u32_e64 s3, v1, v44
	v_cmp_eq_u32_e64 s4, 0, v10
	v_cmp_le_u32_e64 s5, v102, v15
	v_cmp_eq_u32_e64 s6, 0, v102
	v_dual_lshrrev_b32 v113, 5, v0 :: v_dual_lshlrev_b32 v54, 4, v0
	s_mov_b32 s22, 0
	s_add_co_i32 s23, s33, 0x80
	s_add_co_i32 s24, s33, 0x60
	;; [unrolled: 1-line block ×4, first 2 shown]
	s_xor_b32 s27, vcc_lo, -1
	s_trap 2
	s_branch .LBB4_523
.LBB4_521:                              ;   in Loop: Header=BB4_523 Depth=1
	s_wait_xcnt 0x0
	s_or_b32 exec_lo, exec_lo, s7
.LBB4_522:                              ;   in Loop: Header=BB4_523 Depth=1
	s_delay_alu instid0(SALU_CYCLE_1) | instskip(SKIP_1) | instid1(VALU_DEP_1)
	s_or_b32 exec_lo, exec_lo, s10
	v_add_nc_u64_e32 v[70:71], v[70:71], v[50:51]
	v_cmp_ge_u64_e32 vcc_lo, v[70:71], v[4:5]
	s_or_b32 s22, vcc_lo, s22
	s_delay_alu instid0(SALU_CYCLE_1)
	s_and_not1_b32 exec_lo, exec_lo, s22
	s_cbranch_execz .LBB4_978
.LBB4_523:                              ; =>This Loop Header: Depth=1
                                        ;     Child Loop BB4_532 Depth 2
                                        ;     Child Loop BB4_556 Depth 2
	;; [unrolled: 1-line block ×4, first 2 shown]
                                        ;       Child Loop BB4_601 Depth 3
                                        ;       Child Loop BB4_638 Depth 3
                                        ;     Child Loop BB4_713 Depth 2
                                        ;       Child Loop BB4_714 Depth 3
                                        ;       Child Loop BB4_751 Depth 3
                                        ;     Child Loop BB4_828 Depth 2
                                        ;     Child Loop BB4_887 Depth 2
                                        ;       Child Loop BB4_888 Depth 3
                                        ;       Child Loop BB4_897 Depth 3
                                        ;     Child Loop BB4_916 Depth 2
                                        ;     Child Loop BB4_939 Depth 2
	;; [unrolled: 1-line block ×3, first 2 shown]
	v_sub_nc_u64_e32 v[10:11], v[4:5], v[70:71]
	v_mov_b32_e32 v14, 0
	s_delay_alu instid0(VALU_DEP_2) | instskip(NEXT) | instid1(VALU_DEP_1)
	v_min_u64 v[80:81], v[50:51], v[10:11]
	v_add_nc_u32_e32 v10, 15, v80
	s_delay_alu instid0(VALU_DEP_2) | instskip(NEXT) | instid1(VALU_DEP_2)
	v_cmp_eq_u64_e32 vcc_lo, 0, v[80:81]
	v_and_b32_e32 v10, 0x3ffffff0, v10
	s_or_b32 s28, s1, vcc_lo
	s_delay_alu instid0(SALU_CYCLE_1) | instskip(NEXT) | instid1(VALU_DEP_1)
	s_xor_b32 s7, s28, -1
	v_max_i32_e32 v81, s21, v10
	s_and_saveexec_b32 s29, s7
	s_cbranch_execz .LBB4_932
; %bb.524:                              ;   in Loop: Header=BB4_523 Depth=1
	s_and_saveexec_b32 s7, s0
	s_cbranch_execz .LBB4_526
; %bb.525:                              ;   in Loop: Header=BB4_523 Depth=1
	s_trap 2
	ds_load_b64 v[14:15], v0
	ds_load_2addr_b64 v[10:13], v0 offset1:1
	v_add_nc_u64_e32 v[16:17], v[70:71], v[26:27]
	s_delay_alu instid0(VALU_DEP_1) | instskip(SKIP_1) | instid1(VALU_DEP_1)
	v_lshlrev_b64_e32 v[16:17], 1, v[16:17]
	s_wait_dscnt 0x1
	v_add_nc_u64_e32 v[82:83], v[14:15], v[16:17]
	v_cmp_ne_u64_e32 vcc_lo, 0, v[14:15]
	s_wait_dscnt 0x0
	v_add_nc_u64_e32 v[10:11], v[10:11], v[16:17]
	v_add_nc_u64_e32 v[12:13], v[12:13], v[16:17]
	s_delay_alu instid0(VALU_DEP_4)
	v_dual_cndmask_b32 v15, 0, v83 :: v_dual_cndmask_b32 v14, 0, v82
	ds_store_b64 v0, v[10:11]
	ds_store_b64 v0, v[12:13]
	;; [unrolled: 1-line block ×3, first 2 shown]
.LBB4_526:                              ;   in Loop: Header=BB4_523 Depth=1
	s_or_b32 exec_lo, exec_lo, s7
	v_and_b32_e32 v10, 4, v30
	s_mov_b32 s10, exec_lo
	s_delay_alu instid0(VALU_DEP_1)
	v_cmpx_ne_u32_e32 0, v10
	s_cbranch_execz .LBB4_548
; %bb.527:                              ;   in Loop: Header=BB4_523 Depth=1
	v_add_nc_u64_e32 v[10:11], 1, v[8:9]
	s_mov_b32 s11, exec_lo
	s_wait_loadcnt 0x0
	s_delay_alu instid0(VALU_DEP_1)
	v_cmpx_lt_u64_e64 v[38:39], v[10:11]
	s_cbranch_execz .LBB4_539
; %bb.528:                              ;   in Loop: Header=BB4_523 Depth=1
	v_and_b32_e32 v9, 64, v30
	s_mov_b32 s12, 0
	s_mov_b32 s40, 0
                                        ; implicit-def: $sgpr13
                                        ; implicit-def: $sgpr14
                                        ; implicit-def: $sgpr15
	s_delay_alu instid0(VALU_DEP_1)
	v_cmp_eq_u32_e32 vcc_lo, 0, v9
	s_branch .LBB4_532
.LBB4_529:                              ;   in Loop: Header=BB4_532 Depth=2
	s_wait_loadcnt_dscnt 0x0
	v_cmp_ge_u64_e64 s7, v[38:39], v[10:11]
	s_or_b32 s43, s43, exec_lo
	s_or_not1_b32 s42, s7, exec_lo
.LBB4_530:                              ;   in Loop: Header=BB4_532 Depth=2
	s_or_b32 exec_lo, exec_lo, s45
	s_delay_alu instid0(SALU_CYCLE_1)
	s_and_not1_b32 s7, s15, exec_lo
	s_and_b32 s15, s43, exec_lo
	s_and_not1_b32 s14, s14, exec_lo
	s_and_b32 s42, s42, exec_lo
	s_or_b32 s15, s7, s15
	s_or_b32 s14, s14, s42
.LBB4_531:                              ;   in Loop: Header=BB4_532 Depth=2
	s_or_b32 exec_lo, exec_lo, s41
	s_delay_alu instid0(SALU_CYCLE_1) | instskip(NEXT) | instid1(SALU_CYCLE_1)
	s_and_b32 s7, exec_lo, s14
	s_or_b32 s12, s7, s12
	s_and_not1_b32 s7, s13, exec_lo
	s_and_b32 s13, s15, exec_lo
	s_delay_alu instid0(SALU_CYCLE_1)
	s_or_b32 s13, s7, s13
	s_and_not1_b32 exec_lo, exec_lo, s12
	s_cbranch_execz .LBB4_536
.LBB4_532:                              ;   Parent Loop BB4_523 Depth=1
                                        ; =>  This Inner Loop Header: Depth=2
	s_sleep 1
	s_wait_loadcnt_dscnt 0x0
	flat_load_b64 v[38:39], v[32:33] scope:SCOPE_SYS
	s_or_b32 s15, s15, exec_lo
	s_or_b32 s14, s14, exec_lo
                                        ; implicit-def: $vgpr9
	s_wait_xcnt 0x0
	s_and_saveexec_b32 s41, vcc_lo
	s_cbranch_execz .LBB4_531
; %bb.533:                              ;   in Loop: Header=BB4_532 Depth=2
	s_cmp_lt_i32 s40, 0x270f
	s_mov_b32 s42, -1
	s_cselect_b32 s44, -1, 0
	s_cmp_gt_i32 s40, 0x270e
	s_cbranch_scc0 .LBB4_535
; %bb.534:                              ;   in Loop: Header=BB4_532 Depth=2
	s_trap 2
	ds_load_b64 v[12:13], v0
	s_and_not1_b32 s40, s44, exec_lo
	s_mov_b32 s43, 0
	s_wait_storecnt 0x0
	s_wait_loadcnt_dscnt 0x0
	flat_load_b32 v9, v[12:13] scope:SCOPE_SYS
	s_wait_loadcnt_dscnt 0x0
	global_inv scope:SCOPE_SYS
	v_cmp_eq_u32_e64 s7, 0, v9
	s_and_b32 s7, s7, exec_lo
	s_delay_alu instid0(SALU_CYCLE_1)
	s_or_b32 s44, s40, s7
	s_mov_b32 s40, 0
	s_and_saveexec_b32 s45, s44
	s_cbranch_execz .LBB4_530
	s_branch .LBB4_529
.LBB4_535:                              ;   in Loop: Header=BB4_532 Depth=2
	s_add_co_i32 s40, s40, 1
	s_mov_b32 s43, -1
                                        ; implicit-def: $vgpr9
	s_and_saveexec_b32 s45, s44
	s_cbranch_execz .LBB4_530
	s_branch .LBB4_529
.LBB4_536:                              ;   in Loop: Header=BB4_523 Depth=1
	s_or_b32 exec_lo, exec_lo, s12
	s_xor_b32 s7, s13, -1
	s_delay_alu instid0(SALU_CYCLE_1) | instskip(NEXT) | instid1(SALU_CYCLE_1)
	s_and_saveexec_b32 s12, s7
	s_xor_b32 s7, exec_lo, s12
	s_cbranch_execz .LBB4_538
; %bb.537:                              ;   in Loop: Header=BB4_523 Depth=1
	v_or_b32_e32 v30, 64, v30
	s_wait_storecnt 0x0
	s_wait_loadcnt_dscnt 0x0
	ds_store_b32 v0, v9
	s_trap 2
.LBB4_538:                              ;   in Loop: Header=BB4_523 Depth=1
	s_or_b32 exec_lo, exec_lo, s7
.LBB4_539:                              ;   in Loop: Header=BB4_523 Depth=1
	s_delay_alu instid0(SALU_CYCLE_1) | instskip(SKIP_4) | instid1(VALU_DEP_2)
	s_or_b32 exec_lo, exec_lo, s11
	v_and_b32_e32 v9, 0x100, v30
	v_and_b32_e32 v20, 7, v8
	s_mov_b32 s7, -1
	;;#ASMSTART
	s_wakeup
	;;#ASMEND
	v_cmp_ne_u32_e32 vcc_lo, 0, v9
                                        ; implicit-def: $vgpr8_vgpr9
	s_and_saveexec_b32 s11, vcc_lo
	s_cbranch_execz .LBB4_543
; %bb.540:                              ;   in Loop: Header=BB4_523 Depth=1
	v_mad_nc_u64_u32 v[12:13], v20, 24, v[6:7]
	flat_load_b32 v8, v[12:13]
	s_wait_loadcnt_dscnt 0x0
	v_cmp_eq_u32_e64 s7, 1, v8
	v_cmp_ne_u32_e32 vcc_lo, 1, v8
                                        ; implicit-def: $vgpr8_vgpr9
	s_wait_xcnt 0x0
	s_and_saveexec_b32 s12, s7
	s_cbranch_execz .LBB4_542
; %bb.541:                              ;   in Loop: Header=BB4_523 Depth=1
	flat_load_b32 v8, v[12:13] offset:4 scope:SCOPE_SYS
	s_wait_loadcnt_dscnt 0x0
	v_ashrrev_i32_e32 v9, 31, v8
	s_delay_alu instid0(VALU_DEP_1)
	v_lshrrev_b64 v[8:9], 1, v[8:9]
.LBB4_542:                              ;   in Loop: Header=BB4_523 Depth=1
	s_wait_xcnt 0x0
	s_or_b32 exec_lo, exec_lo, s12
	s_delay_alu instid0(SALU_CYCLE_1)
	s_or_not1_b32 s7, vcc_lo, exec_lo
.LBB4_543:                              ;   in Loop: Header=BB4_523 Depth=1
	s_or_b32 exec_lo, exec_lo, s11
	s_and_saveexec_b32 s11, s7
; %bb.544:                              ;   in Loop: Header=BB4_523 Depth=1
	v_mul_u64_e32 v[8:9], v[20:21], v[34:35]
; %bb.545:                              ;   in Loop: Header=BB4_523 Depth=1
	s_or_b32 exec_lo, exec_lo, s11
	v_and_b32_e32 v12, 0x2000, v30
	s_delay_alu instid0(VALU_DEP_2)
	v_lshl_add_u64 v[8:9], v[8:9], 1, v[36:37]
	s_mov_b32 s7, exec_lo
	ds_store_b64 v0, v[8:9] offset:728
	v_cmpx_ne_u32_e32 0, v12
	s_cbranch_execz .LBB4_547
; %bb.546:                              ;   in Loop: Header=BB4_523 Depth=1
	ds_load_b64 v[8:9], v0 offset:872
	s_wait_dscnt 0x0
	v_add_nc_u64_e32 v[8:9], 1, v[8:9]
	ds_store_b64 v0, v[8:9] offset:872
.LBB4_547:                              ;   in Loop: Header=BB4_523 Depth=1
	s_or_b32 exec_lo, exec_lo, s7
	v_mov_b64_e32 v[8:9], v[10:11]
.LBB4_548:                              ;   in Loop: Header=BB4_523 Depth=1
	s_or_b32 exec_lo, exec_lo, s10
	s_and_saveexec_b32 s7, s2
	s_cbranch_execz .LBB4_567
; %bb.549:                              ;   in Loop: Header=BB4_523 Depth=1
	s_and_saveexec_b32 s10, s3
	s_delay_alu instid0(SALU_CYCLE_1)
	s_xor_b32 s10, exec_lo, s10
	s_cbranch_execz .LBB4_564
; %bb.550:                              ;   in Loop: Header=BB4_523 Depth=1
	s_and_saveexec_b32 s11, s4
	s_cbranch_execz .LBB4_563
; %bb.551:                              ;   in Loop: Header=BB4_523 Depth=1
	s_mov_b32 s13, exec_lo
	s_mov_b32 s12, exec_lo
	v_mbcnt_lo_u32_b32 v10, s13, 0
	global_wb scope:SCOPE_DEV
	s_wait_storecnt 0x0
	s_wait_loadcnt_dscnt 0x0
	global_inv scope:SCOPE_DEV
	v_cmpx_eq_u32_e32 0, v10
	s_cbranch_execz .LBB4_553
; %bb.552:                              ;   in Loop: Header=BB4_523 Depth=1
	s_bcnt1_i32_b32 s13, s13
	s_delay_alu instid0(SALU_CYCLE_1)
	v_mov_b32_e32 v20, s13
	s_wait_loadcnt 0x0
	ds_add_u64 v0, v[20:21]
	s_trap 2
.LBB4_553:                              ;   in Loop: Header=BB4_523 Depth=1
	s_or_b32 exec_lo, exec_lo, s12
	s_trap 2
	ds_load_b64 v[10:11], v0
	s_wait_dscnt 0x0
	v_add_nc_u64_e32 v[48:49], v[48:49], v[18:19]
	s_mov_b32 s12, exec_lo
	s_delay_alu instid0(VALU_DEP_1)
	v_cmpx_lt_u64_e64 v[10:11], v[48:49]
	s_cbranch_execz .LBB4_562
; %bb.554:                              ;   in Loop: Header=BB4_523 Depth=1
	s_mov_b32 s13, 0
	s_mov_b32 s40, 0
                                        ; implicit-def: $sgpr14
                                        ; implicit-def: $sgpr15
	s_branch .LBB4_556
.LBB4_555:                              ;   in Loop: Header=BB4_556 Depth=2
	s_or_b32 exec_lo, exec_lo, s42
	s_delay_alu instid0(SALU_CYCLE_1) | instskip(NEXT) | instid1(SALU_CYCLE_1)
	s_and_b32 s41, exec_lo, s43
	s_or_b32 s13, s41, s13
	s_and_not1_b32 s14, s14, exec_lo
	s_and_b32 s41, s15, exec_lo
	s_delay_alu instid0(SALU_CYCLE_1)
	s_or_b32 s14, s14, s41
	s_and_not1_b32 exec_lo, exec_lo, s13
	s_cbranch_execz .LBB4_560
.LBB4_556:                              ;   Parent Loop BB4_523 Depth=1
                                        ; =>  This Inner Loop Header: Depth=2
	s_add_co_i32 s40, s40, 1
	s_delay_alu instid0(SALU_CYCLE_1) | instskip(SKIP_1) | instid1(SALU_CYCLE_1)
	s_cmp_lg_u32 s40, 0x2710
	s_cselect_b32 s41, -1, 0
	s_and_b32 vcc_lo, exec_lo, s41
	s_cbranch_vccz .LBB4_558
; %bb.557:                              ;   in Loop: Header=BB4_556 Depth=2
	s_mov_b32 s43, -1
	s_or_b32 s15, s15, exec_lo
	s_and_saveexec_b32 s42, s41
	s_cbranch_execz .LBB4_555
	s_branch .LBB4_559
.LBB4_558:                              ;   in Loop: Header=BB4_556 Depth=2
	s_trap 2
	ds_load_b64 v[10:11], v0
	s_and_not1_b32 s41, s41, exec_lo
	s_mov_b32 s40, 0
	s_wait_loadcnt_dscnt 0x0
	flat_load_b32 v10, v[10:11] scope:SCOPE_SYS
	s_wait_loadcnt_dscnt 0x0
	global_inv scope:SCOPE_SYS
	v_cmp_eq_u32_e32 vcc_lo, 0, v10
	s_and_b32 s42, vcc_lo, exec_lo
	s_delay_alu instid0(SALU_CYCLE_1)
	s_or_b32 s41, s41, s42
	s_mov_b32 s43, -1
	s_or_b32 s15, s15, exec_lo
	s_and_saveexec_b32 s42, s41
	s_cbranch_execz .LBB4_555
.LBB4_559:                              ;   in Loop: Header=BB4_556 Depth=2
	s_sleep 1
	s_trap 2
	ds_load_b64 v[10:11], v0
	s_wait_dscnt 0x0
	s_and_not1_b32 s15, s15, exec_lo
	v_cmp_ge_u64_e32 vcc_lo, v[10:11], v[48:49]
	s_or_not1_b32 s43, vcc_lo, exec_lo
	s_branch .LBB4_555
.LBB4_560:                              ;   in Loop: Header=BB4_523 Depth=1
	s_or_b32 exec_lo, exec_lo, s13
	s_and_saveexec_b32 s13, s14
	s_delay_alu instid0(SALU_CYCLE_1)
	s_xor_b32 s13, exec_lo, s13
	s_cbranch_execz .LBB4_562
; %bb.561:                              ;   in Loop: Header=BB4_523 Depth=1
	ds_store_b32 v0, v114
	s_trap 2
.LBB4_562:                              ;   in Loop: Header=BB4_523 Depth=1
	s_or_b32 exec_lo, exec_lo, s12
	;;#ASMSTART
	s_wakeup
	;;#ASMEND
.LBB4_563:                              ;   in Loop: Header=BB4_523 Depth=1
	s_or_b32 exec_lo, exec_lo, s11
.LBB4_564:                              ;   in Loop: Header=BB4_523 Depth=1
	s_and_not1_saveexec_b32 s10, s10
	s_cbranch_execz .LBB4_566
; %bb.565:                              ;   in Loop: Header=BB4_523 Depth=1
	global_wb scope:SCOPE_DEV
	s_wait_storecnt 0x0
	s_wait_loadcnt_dscnt 0x0
	global_inv scope:SCOPE_DEV
	s_barrier_signal -1
	s_barrier_wait -1
.LBB4_566:                              ;   in Loop: Header=BB4_523 Depth=1
	s_or_b32 exec_lo, exec_lo, s10
.LBB4_567:                              ;   in Loop: Header=BB4_523 Depth=1
	s_delay_alu instid0(SALU_CYCLE_1) | instskip(SKIP_3) | instid1(VALU_DEP_1)
	s_or_b32 exec_lo, exec_lo, s7
	s_trap 2
	ds_load_b32 v10, v0
	v_and_b32_e32 v11, 0x4000, v30
	v_cmp_ne_u32_e32 vcc_lo, 0, v11
	s_and_b32 s10, s27, vcc_lo
	s_delay_alu instid0(SALU_CYCLE_1)
	s_and_saveexec_b32 s7, s10
	s_cbranch_execz .LBB4_586
; %bb.568:                              ;   in Loop: Header=BB4_523 Depth=1
	s_and_saveexec_b32 s10, s3
	s_delay_alu instid0(SALU_CYCLE_1)
	s_xor_b32 s10, exec_lo, s10
	s_cbranch_execz .LBB4_583
; %bb.569:                              ;   in Loop: Header=BB4_523 Depth=1
	s_and_saveexec_b32 s11, s4
	s_cbranch_execz .LBB4_582
; %bb.570:                              ;   in Loop: Header=BB4_523 Depth=1
	s_mov_b32 s13, exec_lo
	s_mov_b32 s12, exec_lo
	v_mbcnt_lo_u32_b32 v11, s13, 0
	global_wb scope:SCOPE_DEV
	s_wait_storecnt 0x0
	s_wait_loadcnt_dscnt 0x0
	global_inv scope:SCOPE_DEV
	v_cmpx_eq_u32_e32 0, v11
	s_cbranch_execz .LBB4_572
; %bb.571:                              ;   in Loop: Header=BB4_523 Depth=1
	s_bcnt1_i32_b32 s13, s13
	s_delay_alu instid0(SALU_CYCLE_1)
	v_mov_b32_e32 v20, s13
	s_wait_loadcnt 0x0
	ds_add_u64 v0, v[20:21]
	s_trap 2
.LBB4_572:                              ;   in Loop: Header=BB4_523 Depth=1
	s_or_b32 exec_lo, exec_lo, s12
	s_trap 2
	ds_load_b64 v[12:13], v0
	s_wait_dscnt 0x0
	v_add_nc_u64_e32 v[48:49], v[48:49], v[18:19]
	s_mov_b32 s12, exec_lo
	s_delay_alu instid0(VALU_DEP_1)
	v_cmpx_lt_u64_e64 v[12:13], v[48:49]
	s_cbranch_execz .LBB4_581
; %bb.573:                              ;   in Loop: Header=BB4_523 Depth=1
	s_mov_b32 s13, 0
	s_mov_b32 s40, 0
                                        ; implicit-def: $sgpr14
                                        ; implicit-def: $sgpr15
	s_branch .LBB4_575
.LBB4_574:                              ;   in Loop: Header=BB4_575 Depth=2
	s_or_b32 exec_lo, exec_lo, s42
	s_delay_alu instid0(SALU_CYCLE_1) | instskip(NEXT) | instid1(SALU_CYCLE_1)
	s_and_b32 s41, exec_lo, s43
	s_or_b32 s13, s41, s13
	s_and_not1_b32 s14, s14, exec_lo
	s_and_b32 s41, s15, exec_lo
	s_delay_alu instid0(SALU_CYCLE_1)
	s_or_b32 s14, s14, s41
	s_and_not1_b32 exec_lo, exec_lo, s13
	s_cbranch_execz .LBB4_579
.LBB4_575:                              ;   Parent Loop BB4_523 Depth=1
                                        ; =>  This Inner Loop Header: Depth=2
	s_add_co_i32 s40, s40, 1
	s_delay_alu instid0(SALU_CYCLE_1) | instskip(SKIP_1) | instid1(SALU_CYCLE_1)
	s_cmp_lg_u32 s40, 0x2710
	s_cselect_b32 s41, -1, 0
	s_and_b32 vcc_lo, exec_lo, s41
	s_cbranch_vccz .LBB4_577
; %bb.576:                              ;   in Loop: Header=BB4_575 Depth=2
	s_mov_b32 s43, -1
	s_or_b32 s15, s15, exec_lo
	s_and_saveexec_b32 s42, s41
	s_cbranch_execz .LBB4_574
	s_branch .LBB4_578
.LBB4_577:                              ;   in Loop: Header=BB4_575 Depth=2
	s_trap 2
	ds_load_b64 v[12:13], v0
	s_and_not1_b32 s41, s41, exec_lo
	s_mov_b32 s40, 0
	s_wait_loadcnt_dscnt 0x0
	flat_load_b32 v11, v[12:13] scope:SCOPE_SYS
	s_wait_loadcnt_dscnt 0x0
	global_inv scope:SCOPE_SYS
	v_cmp_eq_u32_e32 vcc_lo, 0, v11
	s_and_b32 s42, vcc_lo, exec_lo
	s_delay_alu instid0(SALU_CYCLE_1)
	s_or_b32 s41, s41, s42
	s_mov_b32 s43, -1
	s_or_b32 s15, s15, exec_lo
	s_and_saveexec_b32 s42, s41
	s_cbranch_execz .LBB4_574
.LBB4_578:                              ;   in Loop: Header=BB4_575 Depth=2
	s_sleep 1
	s_trap 2
	ds_load_b64 v[12:13], v0
	s_wait_dscnt 0x0
	s_and_not1_b32 s15, s15, exec_lo
	v_cmp_ge_u64_e32 vcc_lo, v[12:13], v[48:49]
	s_or_not1_b32 s43, vcc_lo, exec_lo
	s_branch .LBB4_574
.LBB4_579:                              ;   in Loop: Header=BB4_523 Depth=1
	s_or_b32 exec_lo, exec_lo, s13
	s_and_saveexec_b32 s13, s14
	s_delay_alu instid0(SALU_CYCLE_1)
	s_xor_b32 s13, exec_lo, s13
	s_cbranch_execz .LBB4_581
; %bb.580:                              ;   in Loop: Header=BB4_523 Depth=1
	ds_store_b32 v0, v114
	s_trap 2
.LBB4_581:                              ;   in Loop: Header=BB4_523 Depth=1
	s_or_b32 exec_lo, exec_lo, s12
	;;#ASMSTART
	s_wakeup
	;;#ASMEND
.LBB4_582:                              ;   in Loop: Header=BB4_523 Depth=1
	s_or_b32 exec_lo, exec_lo, s11
.LBB4_583:                              ;   in Loop: Header=BB4_523 Depth=1
	s_and_not1_saveexec_b32 s10, s10
	s_cbranch_execz .LBB4_585
; %bb.584:                              ;   in Loop: Header=BB4_523 Depth=1
	global_wb scope:SCOPE_DEV
	s_wait_storecnt 0x0
	s_wait_loadcnt_dscnt 0x0
	global_inv scope:SCOPE_DEV
	s_barrier_signal -1
	s_barrier_wait -1
.LBB4_585:                              ;   in Loop: Header=BB4_523 Depth=1
	s_or_b32 exec_lo, exec_lo, s10
.LBB4_586:                              ;   in Loop: Header=BB4_523 Depth=1
	s_delay_alu instid0(SALU_CYCLE_1)
	s_or_b32 exec_lo, exec_lo, s7
	s_trap 2
	ds_load_b64 v[82:83], v0
	v_min_u32_e32 v81, v81, v80
	s_wait_dscnt 0x0
	v_cmp_eq_u64_e32 vcc_lo, 0, v[82:83]
	s_cbranch_vccnz .LBB4_594
; %bb.587:                              ;   in Loop: Header=BB4_523 Depth=1
	s_trap 2
	ds_load_b64 v[84:85], v0
	s_wait_dscnt 0x0
	v_cmp_eq_u64_e32 vcc_lo, 0, v[84:85]
	s_cbranch_vccnz .LBB4_594
; %bb.588:                              ;   in Loop: Header=BB4_523 Depth=1
	s_trap 2
	ds_load_b64 v[12:13], v0
	s_mov_b32 s7, -1
	s_wait_dscnt 0x0
	v_readfirstlane_b32 s10, v12
	s_and_saveexec_b32 s11, s5
	s_cbranch_execz .LBB4_590
; %bb.589:                              ;   in Loop: Header=BB4_523 Depth=1
	ds_load_b32 v11, v0 offset:720
	s_wait_dscnt 0x0
	v_and_b32_e32 v11, 15, v11
	s_delay_alu instid0(VALU_DEP_1)
	v_cmp_eq_u32_e32 vcc_lo, 0, v11
	s_or_not1_b32 s7, vcc_lo, exec_lo
.LBB4_590:                              ;   in Loop: Header=BB4_523 Depth=1
	s_or_b32 exec_lo, exec_lo, s11
	s_and_saveexec_b32 s11, s6
	s_cbranch_execz .LBB4_592
; %bb.591:                              ;   in Loop: Header=BB4_523 Depth=1
	ds_load_b32 v11, v0 offset:784
	s_wait_dscnt 0x0
	v_and_b32_e32 v11, 15, v11
	s_delay_alu instid0(VALU_DEP_1) | instskip(SKIP_3) | instid1(SALU_CYCLE_1)
	v_cmp_eq_u32_e32 vcc_lo, 0, v11
	s_and_b32 s12, s7, vcc_lo
	s_and_not1_b32 s7, s7, exec_lo
	s_and_b32 s12, s12, exec_lo
	s_or_b32 s7, s7, s12
.LBB4_592:                              ;   in Loop: Header=BB4_523 Depth=1
	s_or_b32 exec_lo, exec_lo, s11
	s_xor_b32 s7, s7, -1
	s_mov_b32 s11, -1
	v_cndmask_b32_e64 v11, 0, 1, s7
	v_cmp_eq_u32_e64 s7, 0, v10
	s_delay_alu instid0(VALU_DEP_2)
	v_cmp_ne_u32_e32 vcc_lo, 0, v11
	s_cbranch_vccz .LBB4_595
; %bb.593:                              ;   in Loop: Header=BB4_523 Depth=1
	s_and_b32 s13, s10, 1
	s_mov_b32 s11, 0
	s_mov_b32 s40, -1
	s_branch .LBB4_596
.LBB4_594:                              ;   in Loop: Header=BB4_523 Depth=1
	s_mov_b32 s7, 0
	s_and_saveexec_b32 s10, s2
	s_cbranch_execnz .LBB4_909
	s_branch .LBB4_927
.LBB4_595:                              ;   in Loop: Header=BB4_523 Depth=1
	s_mov_b32 s40, 0
                                        ; implicit-def: $sgpr13
.LBB4_596:                              ;   in Loop: Header=BB4_523 Depth=1
	v_dual_cndmask_b32 v20, 0, v81, s7 :: v_dual_mov_b32 v16, 0
	s_and_not1_b32 vcc_lo, exec_lo, s11
	s_delay_alu instid0(VALU_DEP_1)
	v_lshlrev_b32_e32 v115, 1, v20
	s_cbranch_vccnz .LBB4_673
; %bb.597:                              ;   in Loop: Header=BB4_523 Depth=1
	s_delay_alu instid0(VALU_DEP_1)
	v_dual_lshrrev_b32 v10, 8, v20 :: v_dual_sub_nc_u32 v119, v115, v54
	s_trap 2
	ds_load_b64 v[86:87], v0
	v_add_nc_u64_e32 v[96:97], v[84:85], v[54:55]
	v_dual_lshlrev_b32 v116, 9, v10 :: v_dual_sub_nc_u32 v10, v10, v113
	s_and_b32 s13, s10, 1
	s_mov_b32 s10, 0
	s_mov_b32 s41, exec_lo
	s_delay_alu instid0(VALU_DEP_1) | instskip(NEXT) | instid1(VALU_DEP_1)
	v_sub_nc_u32_e32 v117, v115, v116
	v_cmp_lt_i32_e64 s7, 15, v117
	s_delay_alu instid0(VALU_DEP_1)
	v_add_co_ci_u32_e64 v118, null, 0, v10, s7
	v_cmpx_lt_i32_e32 15, v119
	s_cbranch_execz .LBB4_675
; %bb.598:                              ;   in Loop: Header=BB4_523 Depth=1
	v_add_nc_u64_e32 v[98:99], v[82:83], v[54:55]
	s_wait_dscnt 0x0
	v_add_nc_u64_e32 v[100:101], v[86:87], v[54:55]
	s_and_b32 s10, 0xffff, s13
	s_mov_b32 s44, 0
	s_cmp_eq_u32 s10, 0
	s_mov_b32 s42, 0
	s_cselect_b32 s10, -1, 0
                                        ; implicit-def: $sgpr43
	s_branch .LBB4_600
.LBB4_599:                              ;   in Loop: Header=BB4_600 Depth=2
	s_or_b32 exec_lo, exec_lo, s11
	s_delay_alu instid0(VALU_DEP_1) | instskip(SKIP_3) | instid1(SALU_CYCLE_1)
	v_cmp_gt_i32_e32 vcc_lo, 16, v119
	s_or_b32 s42, vcc_lo, s42
	s_and_not1_b32 s11, s43, exec_lo
	s_and_b32 s12, s44, exec_lo
	s_or_b32 s43, s11, s12
	s_and_not1_b32 exec_lo, exec_lo, s42
	s_cbranch_execz .LBB4_674
.LBB4_600:                              ;   Parent Loop BB4_523 Depth=1
                                        ; =>  This Loop Header: Depth=2
                                        ;       Child Loop BB4_601 Depth 3
                                        ;       Child Loop BB4_638 Depth 3
	s_add_co_i32 s11, s33, 0x50
	s_mov_b64 s[14:15], 0
	s_mov_b32 s45, s11
	s_mov_b32 s46, -1
.LBB4_601:                              ;   Parent Loop BB4_523 Depth=1
                                        ;     Parent Loop BB4_600 Depth=2
                                        ; =>    This Inner Loop Header: Depth=3
	s_cmp_eq_u32 s14, 1
	s_cselect_b32 vcc_lo, -1, 0
	s_cmp_eq_u32 s14, 0
	v_dual_cndmask_b32 v15, v99, v101 :: v_dual_cndmask_b32 v14, v98, v100
	s_cselect_b32 s11, -1, 0
	s_and_b32 s12, exec_lo, s46
	s_mov_b64 s[14:15], 1
	s_mov_b32 s46, 0
	global_load_b128 v[10:13], v[14:15], off th:TH_LOAD_NT
	s_wait_xcnt 0x0
	v_add_nc_u64_e32 v[14:15], 0x200, v[14:15]
	s_delay_alu instid0(VALU_DEP_1)
	v_dual_cndmask_b32 v99, v99, v15, s11 :: v_dual_cndmask_b32 v98, v98, v14, s11
	v_dual_cndmask_b32 v101, v101, v15 :: v_dual_cndmask_b32 v100, v100, v14
	s_mov_b32 vcc_lo, s12
	s_wait_loadcnt 0x0
	scratch_store_b128 off, v[10:13], s45
	s_wait_xcnt 0x0
	s_mov_b32 s45, s24
	s_cbranch_vccnz .LBB4_601
; %bb.602:                              ;   in Loop: Header=BB4_600 Depth=2
	s_and_saveexec_b32 s11, s44
	s_cbranch_execz .LBB4_636
; %bb.603:                              ;   in Loop: Header=BB4_600 Depth=2
	s_clause 0x1
	scratch_load_b128 v[14:17], off, s33 offset:128
	scratch_load_b128 v[10:13], off, s33 offset:112
	s_wait_loadcnt 0x0
	v_lshlrev_b32_e32 v41, 16, v10
	s_delay_alu instid0(VALU_DEP_1) | instskip(NEXT) | instid1(VALU_DEP_1)
	v_dual_max_num_f32 v41, v41, v41 :: v_dual_lshlrev_b32 v40, 16, v14
	v_max_num_f32_e32 v40, v40, v40
	s_delay_alu instid0(VALU_DEP_1) | instskip(NEXT) | instid1(VALU_DEP_1)
	v_dual_min_num_f32 v42, v41, v40 :: v_dual_max_num_f32 v40, v41, v40
	v_cndmask_b32_e64 v41, v40, v42, s10
	s_delay_alu instid0(VALU_DEP_1) | instskip(NEXT) | instid1(VALU_DEP_1)
	v_and_b32_e32 v40, 0x7f800000, v41
	v_cmp_ne_u32_e32 vcc_lo, 0x7f800000, v40
                                        ; implicit-def: $vgpr40
	s_wait_xcnt 0x0
	s_and_saveexec_b32 s12, vcc_lo
	s_delay_alu instid0(SALU_CYCLE_1)
	s_xor_b32 s12, exec_lo, s12
; %bb.604:                              ;   in Loop: Header=BB4_600 Depth=2
	v_bfe_u32 v40, v41, 16, 1
	s_delay_alu instid0(VALU_DEP_1)
	v_add3_u32 v40, v41, v40, 0x7fff
                                        ; implicit-def: $vgpr41
; %bb.605:                              ;   in Loop: Header=BB4_600 Depth=2
	s_and_not1_saveexec_b32 s12, s12
; %bb.606:                              ;   in Loop: Header=BB4_600 Depth=2
	v_and_b32_e32 v40, 0xffff, v41
	v_or_b32_e32 v42, 0x10000, v41
	s_delay_alu instid0(VALU_DEP_2) | instskip(NEXT) | instid1(VALU_DEP_2)
	v_cmp_eq_u32_e32 vcc_lo, 0, v40
	v_cndmask_b32_e32 v40, v42, v41, vcc_lo
; %bb.607:                              ;   in Loop: Header=BB4_600 Depth=2
	s_or_b32 exec_lo, exec_lo, s12
	v_and_b32_e32 v14, 0xffff0000, v14
	v_and_b32_e32 v10, 0xffff0000, v10
	s_delay_alu instid0(VALU_DEP_2) | instskip(NEXT) | instid1(VALU_DEP_2)
	v_max_num_f32_e32 v14, v14, v14
	v_max_num_f32_e32 v10, v10, v10
	s_delay_alu instid0(VALU_DEP_1) | instskip(NEXT) | instid1(VALU_DEP_1)
	v_dual_min_num_f32 v41, v10, v14 :: v_dual_max_num_f32 v10, v10, v14
	v_cndmask_b32_e64 v14, v10, v41, s10
	s_delay_alu instid0(VALU_DEP_1) | instskip(NEXT) | instid1(VALU_DEP_1)
	v_and_b32_e32 v10, 0x7f800000, v14
	v_cmp_ne_u32_e32 vcc_lo, 0x7f800000, v10
                                        ; implicit-def: $vgpr10
	s_and_saveexec_b32 s12, vcc_lo
	s_delay_alu instid0(SALU_CYCLE_1)
	s_xor_b32 s12, exec_lo, s12
; %bb.608:                              ;   in Loop: Header=BB4_600 Depth=2
	v_bfe_u32 v10, v14, 16, 1
	s_delay_alu instid0(VALU_DEP_1)
	v_add3_u32 v10, v14, v10, 0x7fff
                                        ; implicit-def: $vgpr14
; %bb.609:                              ;   in Loop: Header=BB4_600 Depth=2
	s_and_not1_saveexec_b32 s12, s12
; %bb.610:                              ;   in Loop: Header=BB4_600 Depth=2
	v_and_b32_e32 v10, 0xffff, v14
	v_or_b32_e32 v41, 0x10000, v14
	s_delay_alu instid0(VALU_DEP_2) | instskip(NEXT) | instid1(VALU_DEP_2)
	v_cmp_eq_u32_e32 vcc_lo, 0, v10
	v_cndmask_b32_e32 v10, v41, v14, vcc_lo
; %bb.611:                              ;   in Loop: Header=BB4_600 Depth=2
	s_or_b32 exec_lo, exec_lo, s12
	v_lshlrev_b32_e32 v41, 16, v11
	s_delay_alu instid0(VALU_DEP_1) | instskip(NEXT) | instid1(VALU_DEP_1)
	v_dual_max_num_f32 v41, v41, v41 :: v_dual_lshlrev_b32 v14, 16, v15
	v_max_num_f32_e32 v14, v14, v14
	s_delay_alu instid0(VALU_DEP_1) | instskip(NEXT) | instid1(VALU_DEP_1)
	v_dual_min_num_f32 v42, v41, v14 :: v_dual_max_num_f32 v14, v41, v14
	v_cndmask_b32_e64 v41, v14, v42, s10
	s_delay_alu instid0(VALU_DEP_1) | instskip(NEXT) | instid1(VALU_DEP_1)
	v_and_b32_e32 v14, 0x7f800000, v41
	v_cmp_ne_u32_e32 vcc_lo, 0x7f800000, v14
                                        ; implicit-def: $vgpr14
	s_and_saveexec_b32 s12, vcc_lo
	s_delay_alu instid0(SALU_CYCLE_1)
	s_xor_b32 s12, exec_lo, s12
; %bb.612:                              ;   in Loop: Header=BB4_600 Depth=2
	v_bfe_u32 v14, v41, 16, 1
	s_delay_alu instid0(VALU_DEP_1)
	v_add3_u32 v14, v41, v14, 0x7fff
                                        ; implicit-def: $vgpr41
; %bb.613:                              ;   in Loop: Header=BB4_600 Depth=2
	s_and_not1_saveexec_b32 s12, s12
; %bb.614:                              ;   in Loop: Header=BB4_600 Depth=2
	v_and_b32_e32 v14, 0xffff, v41
	v_or_b32_e32 v42, 0x10000, v41
	s_delay_alu instid0(VALU_DEP_2) | instskip(NEXT) | instid1(VALU_DEP_2)
	v_cmp_eq_u32_e32 vcc_lo, 0, v14
	v_cndmask_b32_e32 v14, v42, v41, vcc_lo
; %bb.615:                              ;   in Loop: Header=BB4_600 Depth=2
	s_or_b32 exec_lo, exec_lo, s12
	v_and_b32_e32 v15, 0xffff0000, v15
	v_and_b32_e32 v11, 0xffff0000, v11
	s_delay_alu instid0(VALU_DEP_2) | instskip(NEXT) | instid1(VALU_DEP_2)
	v_max_num_f32_e32 v15, v15, v15
	v_max_num_f32_e32 v11, v11, v11
	s_delay_alu instid0(VALU_DEP_1) | instskip(NEXT) | instid1(VALU_DEP_1)
	v_dual_min_num_f32 v41, v11, v15 :: v_dual_max_num_f32 v11, v11, v15
	v_cndmask_b32_e64 v15, v11, v41, s10
	s_delay_alu instid0(VALU_DEP_1) | instskip(NEXT) | instid1(VALU_DEP_1)
	v_and_b32_e32 v11, 0x7f800000, v15
	v_cmp_ne_u32_e32 vcc_lo, 0x7f800000, v11
                                        ; implicit-def: $vgpr11
	s_and_saveexec_b32 s12, vcc_lo
	s_delay_alu instid0(SALU_CYCLE_1)
	s_xor_b32 s12, exec_lo, s12
; %bb.616:                              ;   in Loop: Header=BB4_600 Depth=2
	v_bfe_u32 v11, v15, 16, 1
	s_delay_alu instid0(VALU_DEP_1)
	v_add3_u32 v11, v15, v11, 0x7fff
                                        ; implicit-def: $vgpr15
; %bb.617:                              ;   in Loop: Header=BB4_600 Depth=2
	s_and_not1_saveexec_b32 s12, s12
; %bb.618:                              ;   in Loop: Header=BB4_600 Depth=2
	v_and_b32_e32 v11, 0xffff, v15
	v_or_b32_e32 v41, 0x10000, v15
	s_delay_alu instid0(VALU_DEP_2) | instskip(NEXT) | instid1(VALU_DEP_2)
	v_cmp_eq_u32_e32 vcc_lo, 0, v11
	v_cndmask_b32_e32 v11, v41, v15, vcc_lo
; %bb.619:                              ;   in Loop: Header=BB4_600 Depth=2
	s_or_b32 exec_lo, exec_lo, s12
	v_lshlrev_b32_e32 v41, 16, v12
	s_delay_alu instid0(VALU_DEP_1) | instskip(NEXT) | instid1(VALU_DEP_1)
	v_dual_lshlrev_b32 v15, 16, v16 :: v_dual_max_num_f32 v41, v41, v41
	v_max_num_f32_e32 v15, v15, v15
	s_delay_alu instid0(VALU_DEP_1) | instskip(NEXT) | instid1(VALU_DEP_1)
	v_dual_min_num_f32 v42, v41, v15 :: v_dual_max_num_f32 v15, v41, v15
	v_cndmask_b32_e64 v41, v15, v42, s10
	s_delay_alu instid0(VALU_DEP_1) | instskip(NEXT) | instid1(VALU_DEP_1)
	v_and_b32_e32 v15, 0x7f800000, v41
	v_cmp_ne_u32_e32 vcc_lo, 0x7f800000, v15
                                        ; implicit-def: $vgpr15
	s_and_saveexec_b32 s12, vcc_lo
	s_delay_alu instid0(SALU_CYCLE_1)
	s_xor_b32 s12, exec_lo, s12
; %bb.620:                              ;   in Loop: Header=BB4_600 Depth=2
	v_bfe_u32 v15, v41, 16, 1
	s_delay_alu instid0(VALU_DEP_1)
	v_add3_u32 v15, v41, v15, 0x7fff
                                        ; implicit-def: $vgpr41
; %bb.621:                              ;   in Loop: Header=BB4_600 Depth=2
	s_and_not1_saveexec_b32 s12, s12
; %bb.622:                              ;   in Loop: Header=BB4_600 Depth=2
	v_and_b32_e32 v15, 0xffff, v41
	v_or_b32_e32 v42, 0x10000, v41
	s_delay_alu instid0(VALU_DEP_2) | instskip(NEXT) | instid1(VALU_DEP_2)
	v_cmp_eq_u32_e32 vcc_lo, 0, v15
	v_cndmask_b32_e32 v15, v42, v41, vcc_lo
; %bb.623:                              ;   in Loop: Header=BB4_600 Depth=2
	s_or_b32 exec_lo, exec_lo, s12
	v_and_b32_e32 v16, 0xffff0000, v16
	v_and_b32_e32 v12, 0xffff0000, v12
	s_delay_alu instid0(VALU_DEP_2) | instskip(NEXT) | instid1(VALU_DEP_2)
	v_max_num_f32_e32 v16, v16, v16
	v_max_num_f32_e32 v12, v12, v12
	s_delay_alu instid0(VALU_DEP_1) | instskip(NEXT) | instid1(VALU_DEP_1)
	v_dual_min_num_f32 v41, v12, v16 :: v_dual_max_num_f32 v12, v12, v16
	v_cndmask_b32_e64 v16, v12, v41, s10
	s_delay_alu instid0(VALU_DEP_1) | instskip(NEXT) | instid1(VALU_DEP_1)
	v_and_b32_e32 v12, 0x7f800000, v16
	v_cmp_ne_u32_e32 vcc_lo, 0x7f800000, v12
                                        ; implicit-def: $vgpr12
	s_and_saveexec_b32 s12, vcc_lo
	s_delay_alu instid0(SALU_CYCLE_1)
	s_xor_b32 s12, exec_lo, s12
; %bb.624:                              ;   in Loop: Header=BB4_600 Depth=2
	v_bfe_u32 v12, v16, 16, 1
	s_delay_alu instid0(VALU_DEP_1)
	v_add3_u32 v12, v16, v12, 0x7fff
                                        ; implicit-def: $vgpr16
; %bb.625:                              ;   in Loop: Header=BB4_600 Depth=2
	s_and_not1_saveexec_b32 s12, s12
; %bb.626:                              ;   in Loop: Header=BB4_600 Depth=2
	v_and_b32_e32 v12, 0xffff, v16
	v_or_b32_e32 v41, 0x10000, v16
	s_delay_alu instid0(VALU_DEP_2) | instskip(NEXT) | instid1(VALU_DEP_2)
	v_cmp_eq_u32_e32 vcc_lo, 0, v12
	v_cndmask_b32_e32 v12, v41, v16, vcc_lo
; %bb.627:                              ;   in Loop: Header=BB4_600 Depth=2
	s_or_b32 exec_lo, exec_lo, s12
	v_lshlrev_b32_e32 v16, 16, v17
	s_delay_alu instid0(VALU_DEP_1) | instskip(NEXT) | instid1(VALU_DEP_1)
	v_dual_max_num_f32 v16, v16, v16 :: v_dual_lshlrev_b32 v41, 16, v13
	v_max_num_f32_e32 v41, v41, v41
	s_delay_alu instid0(VALU_DEP_1) | instskip(NEXT) | instid1(VALU_DEP_1)
	v_dual_min_num_f32 v42, v41, v16 :: v_dual_max_num_f32 v16, v41, v16
	v_cndmask_b32_e64 v41, v16, v42, s10
	s_delay_alu instid0(VALU_DEP_1) | instskip(NEXT) | instid1(VALU_DEP_1)
	v_and_b32_e32 v16, 0x7f800000, v41
	v_cmp_ne_u32_e32 vcc_lo, 0x7f800000, v16
                                        ; implicit-def: $vgpr16
	s_and_saveexec_b32 s12, vcc_lo
	s_delay_alu instid0(SALU_CYCLE_1)
	s_xor_b32 s12, exec_lo, s12
; %bb.628:                              ;   in Loop: Header=BB4_600 Depth=2
	v_bfe_u32 v16, v41, 16, 1
	s_delay_alu instid0(VALU_DEP_1)
	v_add3_u32 v16, v41, v16, 0x7fff
                                        ; implicit-def: $vgpr41
; %bb.629:                              ;   in Loop: Header=BB4_600 Depth=2
	s_and_not1_saveexec_b32 s12, s12
; %bb.630:                              ;   in Loop: Header=BB4_600 Depth=2
	v_and_b32_e32 v16, 0xffff, v41
	v_or_b32_e32 v42, 0x10000, v41
	s_delay_alu instid0(VALU_DEP_2) | instskip(NEXT) | instid1(VALU_DEP_2)
	v_cmp_eq_u32_e32 vcc_lo, 0, v16
	v_cndmask_b32_e32 v16, v42, v41, vcc_lo
; %bb.631:                              ;   in Loop: Header=BB4_600 Depth=2
	s_or_b32 exec_lo, exec_lo, s12
	v_and_b32_e32 v17, 0xffff0000, v17
	v_and_b32_e32 v13, 0xffff0000, v13
	s_delay_alu instid0(VALU_DEP_2) | instskip(NEXT) | instid1(VALU_DEP_2)
	v_max_num_f32_e32 v17, v17, v17
	v_max_num_f32_e32 v13, v13, v13
	s_delay_alu instid0(VALU_DEP_1) | instskip(NEXT) | instid1(VALU_DEP_1)
	v_dual_min_num_f32 v41, v13, v17 :: v_dual_max_num_f32 v13, v13, v17
	v_cndmask_b32_e64 v17, v13, v41, s10
	s_delay_alu instid0(VALU_DEP_1) | instskip(NEXT) | instid1(VALU_DEP_1)
	v_and_b32_e32 v13, 0x7f800000, v17
	v_cmp_ne_u32_e32 vcc_lo, 0x7f800000, v13
                                        ; implicit-def: $vgpr13
	s_and_saveexec_b32 s12, vcc_lo
	s_delay_alu instid0(SALU_CYCLE_1)
	s_xor_b32 s12, exec_lo, s12
; %bb.632:                              ;   in Loop: Header=BB4_600 Depth=2
	v_bfe_u32 v13, v17, 16, 1
	s_delay_alu instid0(VALU_DEP_1)
	v_add3_u32 v13, v17, v13, 0x7fff
                                        ; implicit-def: $vgpr17
; %bb.633:                              ;   in Loop: Header=BB4_600 Depth=2
	s_and_not1_saveexec_b32 s12, s12
; %bb.634:                              ;   in Loop: Header=BB4_600 Depth=2
	v_and_b32_e32 v13, 0xffff, v17
	v_or_b32_e32 v41, 0x10000, v17
	s_delay_alu instid0(VALU_DEP_2) | instskip(NEXT) | instid1(VALU_DEP_2)
	v_cmp_eq_u32_e32 vcc_lo, 0, v13
	v_cndmask_b32_e32 v13, v41, v17, vcc_lo
; %bb.635:                              ;   in Loop: Header=BB4_600 Depth=2
	s_or_b32 exec_lo, exec_lo, s12
	v_dual_lshrrev_b32 v14, 16, v14 :: v_dual_lshrrev_b32 v17, 16, v40
	v_dual_lshrrev_b32 v15, 16, v15 :: v_dual_lshrrev_b32 v16, 16, v16
	s_delay_alu instid0(VALU_DEP_2) | instskip(NEXT) | instid1(VALU_DEP_3)
	v_and_or_b32 v11, 0xffff0000, v11, v14
	v_and_or_b32 v10, 0xffff0000, v10, v17
	s_delay_alu instid0(VALU_DEP_3) | instskip(NEXT) | instid1(VALU_DEP_4)
	v_and_or_b32 v12, 0xffff0000, v12, v15
	v_and_or_b32 v13, 0xffff0000, v13, v16
	global_store_b128 v[96:97], v[10:13], off th:TH_STORE_NT
	s_wait_xcnt 0x0
	v_add_nc_u64_e32 v[96:97], v[64:65], v[96:97]
	scratch_store_b128 off, v[10:13], s33 offset:112
.LBB4_636:                              ;   in Loop: Header=BB4_600 Depth=2
	s_wait_xcnt 0x0
	s_or_b32 exec_lo, exec_lo, s11
	v_sub_nc_u32_e32 v119, v119, v103
	v_add_nc_u64_e32 v[98:99], v[98:99], v[22:23]
	v_add_nc_u64_e32 v[100:101], v[100:101], v[22:23]
	s_delay_alu instid0(VALU_DEP_3)
	v_cmp_lt_i32_e64 s44, 15, v119
	s_and_saveexec_b32 s45, s44
	s_cbranch_execz .LBB4_639
; %bb.637:                              ;   in Loop: Header=BB4_600 Depth=2
	s_add_co_i32 s11, s33, 0x70
	s_mov_b64 s[14:15], 0
	s_mov_b32 s46, s11
	s_mov_b32 s47, -1
.LBB4_638:                              ;   Parent Loop BB4_523 Depth=1
                                        ;     Parent Loop BB4_600 Depth=2
                                        ; =>    This Inner Loop Header: Depth=3
	s_cmp_eq_u32 s14, 1
	s_cselect_b32 vcc_lo, -1, 0
	s_cmp_eq_u32 s14, 0
	v_dual_cndmask_b32 v15, v99, v101 :: v_dual_cndmask_b32 v14, v98, v100
	s_cselect_b32 s11, -1, 0
	s_and_b32 s12, exec_lo, s47
	s_mov_b64 s[14:15], 1
	s_mov_b32 s47, 0
	global_load_b128 v[10:13], v[14:15], off th:TH_LOAD_NT
	s_wait_xcnt 0x0
	v_add_nc_u64_e32 v[14:15], 0x200, v[14:15]
	s_delay_alu instid0(VALU_DEP_1)
	v_dual_cndmask_b32 v99, v99, v15, s11 :: v_dual_cndmask_b32 v98, v98, v14, s11
	v_dual_cndmask_b32 v101, v101, v15 :: v_dual_cndmask_b32 v100, v100, v14
	s_mov_b32 vcc_lo, s12
	s_wait_loadcnt 0x0
	scratch_store_b128 off, v[10:13], s46
	s_wait_xcnt 0x0
	s_mov_b32 s46, s23
	s_cbranch_vccnz .LBB4_638
.LBB4_639:                              ;   in Loop: Header=BB4_600 Depth=2
	s_or_b32 exec_lo, exec_lo, s45
	s_clause 0x1
	scratch_load_b128 v[14:17], off, s33 offset:96
	scratch_load_b128 v[10:13], off, s33 offset:80
	s_wait_loadcnt 0x0
	v_lshlrev_b32_e32 v41, 16, v10
	s_delay_alu instid0(VALU_DEP_1) | instskip(NEXT) | instid1(VALU_DEP_1)
	v_dual_max_num_f32 v41, v41, v41 :: v_dual_lshlrev_b32 v40, 16, v14
	v_max_num_f32_e32 v40, v40, v40
	s_delay_alu instid0(VALU_DEP_1) | instskip(NEXT) | instid1(VALU_DEP_1)
	v_dual_min_num_f32 v42, v41, v40 :: v_dual_max_num_f32 v40, v41, v40
	v_cndmask_b32_e64 v41, v40, v42, s10
	s_delay_alu instid0(VALU_DEP_1) | instskip(NEXT) | instid1(VALU_DEP_1)
	v_and_b32_e32 v40, 0x7f800000, v41
	v_cmp_ne_u32_e32 vcc_lo, 0x7f800000, v40
                                        ; implicit-def: $vgpr40
	s_wait_xcnt 0x0
	s_and_saveexec_b32 s11, vcc_lo
	s_delay_alu instid0(SALU_CYCLE_1)
	s_xor_b32 s11, exec_lo, s11
; %bb.640:                              ;   in Loop: Header=BB4_600 Depth=2
	v_bfe_u32 v40, v41, 16, 1
	s_delay_alu instid0(VALU_DEP_1)
	v_add3_u32 v40, v41, v40, 0x7fff
                                        ; implicit-def: $vgpr41
; %bb.641:                              ;   in Loop: Header=BB4_600 Depth=2
	s_and_not1_saveexec_b32 s11, s11
; %bb.642:                              ;   in Loop: Header=BB4_600 Depth=2
	v_and_b32_e32 v40, 0xffff, v41
	v_or_b32_e32 v42, 0x10000, v41
	s_delay_alu instid0(VALU_DEP_2) | instskip(NEXT) | instid1(VALU_DEP_2)
	v_cmp_eq_u32_e32 vcc_lo, 0, v40
	v_cndmask_b32_e32 v40, v42, v41, vcc_lo
; %bb.643:                              ;   in Loop: Header=BB4_600 Depth=2
	s_or_b32 exec_lo, exec_lo, s11
	v_and_b32_e32 v14, 0xffff0000, v14
	v_and_b32_e32 v10, 0xffff0000, v10
	s_delay_alu instid0(VALU_DEP_2) | instskip(NEXT) | instid1(VALU_DEP_2)
	v_max_num_f32_e32 v14, v14, v14
	v_max_num_f32_e32 v10, v10, v10
	s_delay_alu instid0(VALU_DEP_1) | instskip(NEXT) | instid1(VALU_DEP_1)
	v_dual_min_num_f32 v41, v10, v14 :: v_dual_max_num_f32 v10, v10, v14
	v_cndmask_b32_e64 v14, v10, v41, s10
	s_delay_alu instid0(VALU_DEP_1) | instskip(NEXT) | instid1(VALU_DEP_1)
	v_and_b32_e32 v10, 0x7f800000, v14
	v_cmp_ne_u32_e32 vcc_lo, 0x7f800000, v10
                                        ; implicit-def: $vgpr10
	s_and_saveexec_b32 s11, vcc_lo
	s_delay_alu instid0(SALU_CYCLE_1)
	s_xor_b32 s11, exec_lo, s11
; %bb.644:                              ;   in Loop: Header=BB4_600 Depth=2
	v_bfe_u32 v10, v14, 16, 1
	s_delay_alu instid0(VALU_DEP_1)
	v_add3_u32 v10, v14, v10, 0x7fff
                                        ; implicit-def: $vgpr14
; %bb.645:                              ;   in Loop: Header=BB4_600 Depth=2
	s_and_not1_saveexec_b32 s11, s11
; %bb.646:                              ;   in Loop: Header=BB4_600 Depth=2
	v_and_b32_e32 v10, 0xffff, v14
	v_or_b32_e32 v41, 0x10000, v14
	s_delay_alu instid0(VALU_DEP_2) | instskip(NEXT) | instid1(VALU_DEP_2)
	v_cmp_eq_u32_e32 vcc_lo, 0, v10
	v_cndmask_b32_e32 v10, v41, v14, vcc_lo
; %bb.647:                              ;   in Loop: Header=BB4_600 Depth=2
	s_or_b32 exec_lo, exec_lo, s11
	v_lshlrev_b32_e32 v41, 16, v11
	s_delay_alu instid0(VALU_DEP_1) | instskip(NEXT) | instid1(VALU_DEP_1)
	v_dual_max_num_f32 v41, v41, v41 :: v_dual_lshlrev_b32 v14, 16, v15
	v_max_num_f32_e32 v14, v14, v14
	s_delay_alu instid0(VALU_DEP_1) | instskip(NEXT) | instid1(VALU_DEP_1)
	v_dual_min_num_f32 v42, v41, v14 :: v_dual_max_num_f32 v14, v41, v14
	v_cndmask_b32_e64 v41, v14, v42, s10
	s_delay_alu instid0(VALU_DEP_1) | instskip(NEXT) | instid1(VALU_DEP_1)
	v_and_b32_e32 v14, 0x7f800000, v41
	v_cmp_ne_u32_e32 vcc_lo, 0x7f800000, v14
                                        ; implicit-def: $vgpr14
	s_and_saveexec_b32 s11, vcc_lo
	s_delay_alu instid0(SALU_CYCLE_1)
	s_xor_b32 s11, exec_lo, s11
; %bb.648:                              ;   in Loop: Header=BB4_600 Depth=2
	v_bfe_u32 v14, v41, 16, 1
	s_delay_alu instid0(VALU_DEP_1)
	v_add3_u32 v14, v41, v14, 0x7fff
                                        ; implicit-def: $vgpr41
; %bb.649:                              ;   in Loop: Header=BB4_600 Depth=2
	s_and_not1_saveexec_b32 s11, s11
; %bb.650:                              ;   in Loop: Header=BB4_600 Depth=2
	v_and_b32_e32 v14, 0xffff, v41
	v_or_b32_e32 v42, 0x10000, v41
	s_delay_alu instid0(VALU_DEP_2) | instskip(NEXT) | instid1(VALU_DEP_2)
	v_cmp_eq_u32_e32 vcc_lo, 0, v14
	v_cndmask_b32_e32 v14, v42, v41, vcc_lo
; %bb.651:                              ;   in Loop: Header=BB4_600 Depth=2
	s_or_b32 exec_lo, exec_lo, s11
	v_and_b32_e32 v15, 0xffff0000, v15
	v_and_b32_e32 v11, 0xffff0000, v11
	s_delay_alu instid0(VALU_DEP_2) | instskip(NEXT) | instid1(VALU_DEP_2)
	v_max_num_f32_e32 v15, v15, v15
	v_max_num_f32_e32 v11, v11, v11
	s_delay_alu instid0(VALU_DEP_1) | instskip(NEXT) | instid1(VALU_DEP_1)
	v_dual_min_num_f32 v41, v11, v15 :: v_dual_max_num_f32 v11, v11, v15
	v_cndmask_b32_e64 v15, v11, v41, s10
	s_delay_alu instid0(VALU_DEP_1) | instskip(NEXT) | instid1(VALU_DEP_1)
	v_and_b32_e32 v11, 0x7f800000, v15
	v_cmp_ne_u32_e32 vcc_lo, 0x7f800000, v11
                                        ; implicit-def: $vgpr11
	s_and_saveexec_b32 s11, vcc_lo
	s_delay_alu instid0(SALU_CYCLE_1)
	s_xor_b32 s11, exec_lo, s11
; %bb.652:                              ;   in Loop: Header=BB4_600 Depth=2
	v_bfe_u32 v11, v15, 16, 1
	s_delay_alu instid0(VALU_DEP_1)
	v_add3_u32 v11, v15, v11, 0x7fff
                                        ; implicit-def: $vgpr15
; %bb.653:                              ;   in Loop: Header=BB4_600 Depth=2
	s_and_not1_saveexec_b32 s11, s11
; %bb.654:                              ;   in Loop: Header=BB4_600 Depth=2
	v_and_b32_e32 v11, 0xffff, v15
	v_or_b32_e32 v41, 0x10000, v15
	s_delay_alu instid0(VALU_DEP_2) | instskip(NEXT) | instid1(VALU_DEP_2)
	v_cmp_eq_u32_e32 vcc_lo, 0, v11
	v_cndmask_b32_e32 v11, v41, v15, vcc_lo
; %bb.655:                              ;   in Loop: Header=BB4_600 Depth=2
	s_or_b32 exec_lo, exec_lo, s11
	v_lshlrev_b32_e32 v41, 16, v12
	s_delay_alu instid0(VALU_DEP_1) | instskip(NEXT) | instid1(VALU_DEP_1)
	v_dual_lshlrev_b32 v15, 16, v16 :: v_dual_max_num_f32 v41, v41, v41
	v_max_num_f32_e32 v15, v15, v15
	s_delay_alu instid0(VALU_DEP_1) | instskip(NEXT) | instid1(VALU_DEP_1)
	v_dual_min_num_f32 v42, v41, v15 :: v_dual_max_num_f32 v15, v41, v15
	v_cndmask_b32_e64 v41, v15, v42, s10
	s_delay_alu instid0(VALU_DEP_1) | instskip(NEXT) | instid1(VALU_DEP_1)
	v_and_b32_e32 v15, 0x7f800000, v41
	v_cmp_ne_u32_e32 vcc_lo, 0x7f800000, v15
                                        ; implicit-def: $vgpr15
	s_and_saveexec_b32 s11, vcc_lo
	s_delay_alu instid0(SALU_CYCLE_1)
	s_xor_b32 s11, exec_lo, s11
; %bb.656:                              ;   in Loop: Header=BB4_600 Depth=2
	v_bfe_u32 v15, v41, 16, 1
	s_delay_alu instid0(VALU_DEP_1)
	v_add3_u32 v15, v41, v15, 0x7fff
                                        ; implicit-def: $vgpr41
; %bb.657:                              ;   in Loop: Header=BB4_600 Depth=2
	s_and_not1_saveexec_b32 s11, s11
; %bb.658:                              ;   in Loop: Header=BB4_600 Depth=2
	v_and_b32_e32 v15, 0xffff, v41
	v_or_b32_e32 v42, 0x10000, v41
	s_delay_alu instid0(VALU_DEP_2) | instskip(NEXT) | instid1(VALU_DEP_2)
	v_cmp_eq_u32_e32 vcc_lo, 0, v15
	v_cndmask_b32_e32 v15, v42, v41, vcc_lo
; %bb.659:                              ;   in Loop: Header=BB4_600 Depth=2
	s_or_b32 exec_lo, exec_lo, s11
	v_and_b32_e32 v16, 0xffff0000, v16
	v_and_b32_e32 v12, 0xffff0000, v12
	s_delay_alu instid0(VALU_DEP_2) | instskip(NEXT) | instid1(VALU_DEP_2)
	v_max_num_f32_e32 v16, v16, v16
	v_max_num_f32_e32 v12, v12, v12
	s_delay_alu instid0(VALU_DEP_1) | instskip(NEXT) | instid1(VALU_DEP_1)
	v_dual_min_num_f32 v41, v12, v16 :: v_dual_max_num_f32 v12, v12, v16
	v_cndmask_b32_e64 v16, v12, v41, s10
	s_delay_alu instid0(VALU_DEP_1) | instskip(NEXT) | instid1(VALU_DEP_1)
	v_and_b32_e32 v12, 0x7f800000, v16
	v_cmp_ne_u32_e32 vcc_lo, 0x7f800000, v12
                                        ; implicit-def: $vgpr12
	s_and_saveexec_b32 s11, vcc_lo
	s_delay_alu instid0(SALU_CYCLE_1)
	s_xor_b32 s11, exec_lo, s11
; %bb.660:                              ;   in Loop: Header=BB4_600 Depth=2
	v_bfe_u32 v12, v16, 16, 1
	s_delay_alu instid0(VALU_DEP_1)
	v_add3_u32 v12, v16, v12, 0x7fff
                                        ; implicit-def: $vgpr16
; %bb.661:                              ;   in Loop: Header=BB4_600 Depth=2
	s_and_not1_saveexec_b32 s11, s11
; %bb.662:                              ;   in Loop: Header=BB4_600 Depth=2
	v_and_b32_e32 v12, 0xffff, v16
	v_or_b32_e32 v41, 0x10000, v16
	s_delay_alu instid0(VALU_DEP_2) | instskip(NEXT) | instid1(VALU_DEP_2)
	v_cmp_eq_u32_e32 vcc_lo, 0, v12
	v_cndmask_b32_e32 v12, v41, v16, vcc_lo
; %bb.663:                              ;   in Loop: Header=BB4_600 Depth=2
	s_or_b32 exec_lo, exec_lo, s11
	v_lshlrev_b32_e32 v16, 16, v17
	s_delay_alu instid0(VALU_DEP_1) | instskip(NEXT) | instid1(VALU_DEP_1)
	v_dual_max_num_f32 v16, v16, v16 :: v_dual_lshlrev_b32 v41, 16, v13
	v_max_num_f32_e32 v41, v41, v41
	s_delay_alu instid0(VALU_DEP_1) | instskip(NEXT) | instid1(VALU_DEP_1)
	v_dual_min_num_f32 v42, v41, v16 :: v_dual_max_num_f32 v16, v41, v16
	v_cndmask_b32_e64 v41, v16, v42, s10
	s_delay_alu instid0(VALU_DEP_1) | instskip(NEXT) | instid1(VALU_DEP_1)
	v_and_b32_e32 v16, 0x7f800000, v41
	v_cmp_ne_u32_e32 vcc_lo, 0x7f800000, v16
                                        ; implicit-def: $vgpr16
	s_and_saveexec_b32 s11, vcc_lo
	s_delay_alu instid0(SALU_CYCLE_1)
	s_xor_b32 s11, exec_lo, s11
; %bb.664:                              ;   in Loop: Header=BB4_600 Depth=2
	v_bfe_u32 v16, v41, 16, 1
	s_delay_alu instid0(VALU_DEP_1)
	v_add3_u32 v16, v41, v16, 0x7fff
                                        ; implicit-def: $vgpr41
; %bb.665:                              ;   in Loop: Header=BB4_600 Depth=2
	s_and_not1_saveexec_b32 s11, s11
; %bb.666:                              ;   in Loop: Header=BB4_600 Depth=2
	v_and_b32_e32 v16, 0xffff, v41
	v_or_b32_e32 v42, 0x10000, v41
	s_delay_alu instid0(VALU_DEP_2) | instskip(NEXT) | instid1(VALU_DEP_2)
	v_cmp_eq_u32_e32 vcc_lo, 0, v16
	v_cndmask_b32_e32 v16, v42, v41, vcc_lo
; %bb.667:                              ;   in Loop: Header=BB4_600 Depth=2
	s_or_b32 exec_lo, exec_lo, s11
	v_and_b32_e32 v17, 0xffff0000, v17
	v_and_b32_e32 v13, 0xffff0000, v13
	s_delay_alu instid0(VALU_DEP_2) | instskip(NEXT) | instid1(VALU_DEP_2)
	v_max_num_f32_e32 v17, v17, v17
	v_max_num_f32_e32 v13, v13, v13
	s_delay_alu instid0(VALU_DEP_1) | instskip(NEXT) | instid1(VALU_DEP_1)
	v_dual_min_num_f32 v41, v13, v17 :: v_dual_max_num_f32 v13, v13, v17
	v_cndmask_b32_e64 v17, v13, v41, s10
	s_delay_alu instid0(VALU_DEP_1) | instskip(NEXT) | instid1(VALU_DEP_1)
	v_and_b32_e32 v13, 0x7f800000, v17
	v_cmp_ne_u32_e32 vcc_lo, 0x7f800000, v13
                                        ; implicit-def: $vgpr13
	s_and_saveexec_b32 s11, vcc_lo
	s_delay_alu instid0(SALU_CYCLE_1)
	s_xor_b32 s11, exec_lo, s11
; %bb.668:                              ;   in Loop: Header=BB4_600 Depth=2
	v_bfe_u32 v13, v17, 16, 1
	s_delay_alu instid0(VALU_DEP_1)
	v_add3_u32 v13, v17, v13, 0x7fff
                                        ; implicit-def: $vgpr17
; %bb.669:                              ;   in Loop: Header=BB4_600 Depth=2
	s_and_not1_saveexec_b32 s11, s11
; %bb.670:                              ;   in Loop: Header=BB4_600 Depth=2
	v_and_b32_e32 v13, 0xffff, v17
	v_or_b32_e32 v41, 0x10000, v17
	s_delay_alu instid0(VALU_DEP_2) | instskip(NEXT) | instid1(VALU_DEP_2)
	v_cmp_eq_u32_e32 vcc_lo, 0, v13
	v_cndmask_b32_e32 v13, v41, v17, vcc_lo
; %bb.671:                              ;   in Loop: Header=BB4_600 Depth=2
	s_or_b32 exec_lo, exec_lo, s11
	v_dual_lshrrev_b32 v14, 16, v14 :: v_dual_lshrrev_b32 v17, 16, v40
	v_dual_lshrrev_b32 v15, 16, v15 :: v_dual_lshrrev_b32 v16, 16, v16
	v_sub_nc_u32_e32 v118, v118, v18
	s_delay_alu instid0(VALU_DEP_3) | instskip(NEXT) | instid1(VALU_DEP_4)
	v_and_or_b32 v11, 0xffff0000, v11, v14
	v_and_or_b32 v10, 0xffff0000, v10, v17
	s_delay_alu instid0(VALU_DEP_4)
	v_and_or_b32 v12, 0xffff0000, v12, v15
	v_and_or_b32 v13, 0xffff0000, v13, v16
	global_store_b128 v[96:97], v[10:13], off th:TH_STORE_NT
	s_wait_xcnt 0x0
	v_add_nc_u64_e32 v[96:97], 0x200, v[96:97]
	scratch_store_b128 off, v[10:13], s33 offset:80
	s_wait_xcnt 0x0
	s_and_saveexec_b32 s11, s44
	s_cbranch_execz .LBB4_599
; %bb.672:                              ;   in Loop: Header=BB4_600 Depth=2
	v_add_nc_u64_e32 v[98:99], v[98:99], v[22:23]
	v_add_nc_u64_e32 v[100:101], v[100:101], v[22:23]
	;; [unrolled: 1-line block ×3, first 2 shown]
	v_dual_sub_nc_u32 v119, v119, v103 :: v_dual_sub_nc_u32 v118, v118, v18
	s_branch .LBB4_599
.LBB4_673:                              ;   in Loop: Header=BB4_523 Depth=1
	v_dual_mov_b32 v10, v0 :: v_dual_mov_b32 v17, v102
	s_and_saveexec_b32 s14, s40
	s_cbranch_execnz .LBB4_825
	s_branch .LBB4_908
.LBB4_674:                              ;   in Loop: Header=BB4_523 Depth=1
	s_or_b32 exec_lo, exec_lo, s42
	s_delay_alu instid0(SALU_CYCLE_1)
	s_and_b32 s10, s43, exec_lo
.LBB4_675:                              ;   in Loop: Header=BB4_523 Depth=1
	s_or_b32 exec_lo, exec_lo, s41
	s_and_saveexec_b32 s11, s10
	s_cbranch_execz .LBB4_709
; %bb.676:                              ;   in Loop: Header=BB4_523 Depth=1
	s_clause 0x1
	scratch_load_b128 v[14:17], off, s33 offset:128
	scratch_load_b128 v[10:13], off, s33 offset:112
	s_and_b32 s10, 0xffff, s13
	s_delay_alu instid0(SALU_CYCLE_1) | instskip(SKIP_3) | instid1(VALU_DEP_1)
	s_cmp_eq_u32 s10, 0
	s_cselect_b32 vcc_lo, -1, 0
	s_wait_loadcnt 0x0
	v_lshlrev_b32_e32 v99, 16, v10
	v_dual_max_num_f32 v99, v99, v99 :: v_dual_lshlrev_b32 v98, 16, v14
	s_delay_alu instid0(VALU_DEP_1) | instskip(NEXT) | instid1(VALU_DEP_1)
	v_max_num_f32_e32 v98, v98, v98
	v_dual_min_num_f32 v100, v99, v98 :: v_dual_max_num_f32 v98, v99, v98
	s_delay_alu instid0(VALU_DEP_1) | instskip(NEXT) | instid1(VALU_DEP_1)
	v_cndmask_b32_e32 v99, v98, v100, vcc_lo
	v_and_b32_e32 v98, 0x7f800000, v99
	s_delay_alu instid0(VALU_DEP_1) | instskip(SKIP_2) | instid1(SALU_CYCLE_1)
	v_cmp_ne_u32_e64 s10, 0x7f800000, v98
                                        ; implicit-def: $vgpr98
	s_wait_xcnt 0x0
	s_and_saveexec_b32 s12, s10
	s_xor_b32 s10, exec_lo, s12
; %bb.677:                              ;   in Loop: Header=BB4_523 Depth=1
	v_bfe_u32 v98, v99, 16, 1
	s_delay_alu instid0(VALU_DEP_1)
	v_add3_u32 v98, v99, v98, 0x7fff
                                        ; implicit-def: $vgpr99
; %bb.678:                              ;   in Loop: Header=BB4_523 Depth=1
	s_and_not1_saveexec_b32 s12, s10
; %bb.679:                              ;   in Loop: Header=BB4_523 Depth=1
	v_and_b32_e32 v98, 0xffff, v99
	v_or_b32_e32 v100, 0x10000, v99
	s_delay_alu instid0(VALU_DEP_2) | instskip(NEXT) | instid1(VALU_DEP_1)
	v_cmp_eq_u32_e64 s10, 0, v98
	v_cndmask_b32_e64 v98, v100, v99, s10
; %bb.680:                              ;   in Loop: Header=BB4_523 Depth=1
	s_or_b32 exec_lo, exec_lo, s12
	v_and_b32_e32 v14, 0xffff0000, v14
	v_and_b32_e32 v10, 0xffff0000, v10
	s_delay_alu instid0(VALU_DEP_2) | instskip(NEXT) | instid1(VALU_DEP_2)
	v_max_num_f32_e32 v14, v14, v14
	v_max_num_f32_e32 v10, v10, v10
	s_delay_alu instid0(VALU_DEP_1) | instskip(NEXT) | instid1(VALU_DEP_1)
	v_dual_min_num_f32 v99, v10, v14 :: v_dual_max_num_f32 v10, v10, v14
	v_cndmask_b32_e32 v14, v10, v99, vcc_lo
	s_delay_alu instid0(VALU_DEP_1) | instskip(NEXT) | instid1(VALU_DEP_1)
	v_and_b32_e32 v10, 0x7f800000, v14
	v_cmp_ne_u32_e64 s10, 0x7f800000, v10
                                        ; implicit-def: $vgpr10
	s_and_saveexec_b32 s12, s10
	s_delay_alu instid0(SALU_CYCLE_1)
	s_xor_b32 s10, exec_lo, s12
; %bb.681:                              ;   in Loop: Header=BB4_523 Depth=1
	v_bfe_u32 v10, v14, 16, 1
	s_delay_alu instid0(VALU_DEP_1)
	v_add3_u32 v10, v14, v10, 0x7fff
                                        ; implicit-def: $vgpr14
; %bb.682:                              ;   in Loop: Header=BB4_523 Depth=1
	s_and_not1_saveexec_b32 s12, s10
; %bb.683:                              ;   in Loop: Header=BB4_523 Depth=1
	v_and_b32_e32 v10, 0xffff, v14
	v_or_b32_e32 v99, 0x10000, v14
	s_delay_alu instid0(VALU_DEP_2) | instskip(NEXT) | instid1(VALU_DEP_1)
	v_cmp_eq_u32_e64 s10, 0, v10
	v_cndmask_b32_e64 v10, v99, v14, s10
; %bb.684:                              ;   in Loop: Header=BB4_523 Depth=1
	s_or_b32 exec_lo, exec_lo, s12
	v_lshlrev_b32_e32 v14, 16, v15
	s_delay_alu instid0(VALU_DEP_1) | instskip(NEXT) | instid1(VALU_DEP_1)
	v_dual_max_num_f32 v14, v14, v14 :: v_dual_lshlrev_b32 v99, 16, v11
	v_max_num_f32_e32 v99, v99, v99
	s_delay_alu instid0(VALU_DEP_1) | instskip(NEXT) | instid1(VALU_DEP_1)
	v_dual_min_num_f32 v100, v99, v14 :: v_dual_max_num_f32 v14, v99, v14
	v_cndmask_b32_e32 v99, v14, v100, vcc_lo
	s_delay_alu instid0(VALU_DEP_1) | instskip(NEXT) | instid1(VALU_DEP_1)
	v_and_b32_e32 v14, 0x7f800000, v99
	v_cmp_ne_u32_e64 s10, 0x7f800000, v14
                                        ; implicit-def: $vgpr14
	s_and_saveexec_b32 s12, s10
	s_delay_alu instid0(SALU_CYCLE_1)
	s_xor_b32 s10, exec_lo, s12
; %bb.685:                              ;   in Loop: Header=BB4_523 Depth=1
	v_bfe_u32 v14, v99, 16, 1
	s_delay_alu instid0(VALU_DEP_1)
	v_add3_u32 v14, v99, v14, 0x7fff
                                        ; implicit-def: $vgpr99
; %bb.686:                              ;   in Loop: Header=BB4_523 Depth=1
	s_and_not1_saveexec_b32 s12, s10
; %bb.687:                              ;   in Loop: Header=BB4_523 Depth=1
	v_and_b32_e32 v14, 0xffff, v99
	v_or_b32_e32 v100, 0x10000, v99
	s_delay_alu instid0(VALU_DEP_2) | instskip(NEXT) | instid1(VALU_DEP_1)
	v_cmp_eq_u32_e64 s10, 0, v14
	v_cndmask_b32_e64 v14, v100, v99, s10
; %bb.688:                              ;   in Loop: Header=BB4_523 Depth=1
	s_or_b32 exec_lo, exec_lo, s12
	v_and_b32_e32 v15, 0xffff0000, v15
	v_and_b32_e32 v11, 0xffff0000, v11
	s_delay_alu instid0(VALU_DEP_2) | instskip(NEXT) | instid1(VALU_DEP_2)
	v_max_num_f32_e32 v15, v15, v15
	v_max_num_f32_e32 v11, v11, v11
	s_delay_alu instid0(VALU_DEP_1) | instskip(NEXT) | instid1(VALU_DEP_1)
	v_dual_min_num_f32 v99, v11, v15 :: v_dual_max_num_f32 v11, v11, v15
	v_cndmask_b32_e32 v15, v11, v99, vcc_lo
	s_delay_alu instid0(VALU_DEP_1) | instskip(NEXT) | instid1(VALU_DEP_1)
	v_and_b32_e32 v11, 0x7f800000, v15
	v_cmp_ne_u32_e64 s10, 0x7f800000, v11
                                        ; implicit-def: $vgpr11
	s_and_saveexec_b32 s12, s10
	s_delay_alu instid0(SALU_CYCLE_1)
	s_xor_b32 s10, exec_lo, s12
; %bb.689:                              ;   in Loop: Header=BB4_523 Depth=1
	v_bfe_u32 v11, v15, 16, 1
	s_delay_alu instid0(VALU_DEP_1)
	v_add3_u32 v11, v15, v11, 0x7fff
                                        ; implicit-def: $vgpr15
; %bb.690:                              ;   in Loop: Header=BB4_523 Depth=1
	s_and_not1_saveexec_b32 s12, s10
; %bb.691:                              ;   in Loop: Header=BB4_523 Depth=1
	v_and_b32_e32 v11, 0xffff, v15
	v_or_b32_e32 v99, 0x10000, v15
	s_delay_alu instid0(VALU_DEP_2) | instskip(NEXT) | instid1(VALU_DEP_1)
	v_cmp_eq_u32_e64 s10, 0, v11
	v_cndmask_b32_e64 v11, v99, v15, s10
; %bb.692:                              ;   in Loop: Header=BB4_523 Depth=1
	s_or_b32 exec_lo, exec_lo, s12
	v_lshlrev_b32_e32 v99, 16, v12
	s_delay_alu instid0(VALU_DEP_1) | instskip(NEXT) | instid1(VALU_DEP_1)
	v_dual_lshlrev_b32 v15, 16, v16 :: v_dual_max_num_f32 v99, v99, v99
	v_max_num_f32_e32 v15, v15, v15
	s_delay_alu instid0(VALU_DEP_1) | instskip(NEXT) | instid1(VALU_DEP_1)
	v_dual_min_num_f32 v100, v99, v15 :: v_dual_max_num_f32 v15, v99, v15
	v_cndmask_b32_e32 v99, v15, v100, vcc_lo
	s_delay_alu instid0(VALU_DEP_1) | instskip(NEXT) | instid1(VALU_DEP_1)
	v_and_b32_e32 v15, 0x7f800000, v99
	v_cmp_ne_u32_e64 s10, 0x7f800000, v15
                                        ; implicit-def: $vgpr15
	s_and_saveexec_b32 s12, s10
	s_delay_alu instid0(SALU_CYCLE_1)
	s_xor_b32 s10, exec_lo, s12
; %bb.693:                              ;   in Loop: Header=BB4_523 Depth=1
	v_bfe_u32 v15, v99, 16, 1
	s_delay_alu instid0(VALU_DEP_1)
	v_add3_u32 v15, v99, v15, 0x7fff
                                        ; implicit-def: $vgpr99
; %bb.694:                              ;   in Loop: Header=BB4_523 Depth=1
	s_and_not1_saveexec_b32 s12, s10
; %bb.695:                              ;   in Loop: Header=BB4_523 Depth=1
	v_and_b32_e32 v15, 0xffff, v99
	v_or_b32_e32 v100, 0x10000, v99
	s_delay_alu instid0(VALU_DEP_2) | instskip(NEXT) | instid1(VALU_DEP_1)
	v_cmp_eq_u32_e64 s10, 0, v15
	v_cndmask_b32_e64 v15, v100, v99, s10
; %bb.696:                              ;   in Loop: Header=BB4_523 Depth=1
	s_or_b32 exec_lo, exec_lo, s12
	v_and_b32_e32 v16, 0xffff0000, v16
	v_and_b32_e32 v12, 0xffff0000, v12
	s_delay_alu instid0(VALU_DEP_2) | instskip(NEXT) | instid1(VALU_DEP_2)
	v_max_num_f32_e32 v16, v16, v16
	v_max_num_f32_e32 v12, v12, v12
	s_delay_alu instid0(VALU_DEP_1) | instskip(NEXT) | instid1(VALU_DEP_1)
	v_dual_min_num_f32 v99, v12, v16 :: v_dual_max_num_f32 v12, v12, v16
	v_cndmask_b32_e32 v16, v12, v99, vcc_lo
	s_delay_alu instid0(VALU_DEP_1) | instskip(NEXT) | instid1(VALU_DEP_1)
	v_and_b32_e32 v12, 0x7f800000, v16
	v_cmp_ne_u32_e64 s10, 0x7f800000, v12
                                        ; implicit-def: $vgpr12
	s_and_saveexec_b32 s12, s10
	s_delay_alu instid0(SALU_CYCLE_1)
	s_xor_b32 s10, exec_lo, s12
; %bb.697:                              ;   in Loop: Header=BB4_523 Depth=1
	v_bfe_u32 v12, v16, 16, 1
	s_delay_alu instid0(VALU_DEP_1)
	v_add3_u32 v12, v16, v12, 0x7fff
                                        ; implicit-def: $vgpr16
; %bb.698:                              ;   in Loop: Header=BB4_523 Depth=1
	s_and_not1_saveexec_b32 s12, s10
; %bb.699:                              ;   in Loop: Header=BB4_523 Depth=1
	v_and_b32_e32 v12, 0xffff, v16
	v_or_b32_e32 v99, 0x10000, v16
	s_delay_alu instid0(VALU_DEP_2) | instskip(NEXT) | instid1(VALU_DEP_1)
	v_cmp_eq_u32_e64 s10, 0, v12
	v_cndmask_b32_e64 v12, v99, v16, s10
; %bb.700:                              ;   in Loop: Header=BB4_523 Depth=1
	s_or_b32 exec_lo, exec_lo, s12
	v_lshlrev_b32_e32 v99, 16, v13
	s_delay_alu instid0(VALU_DEP_1) | instskip(NEXT) | instid1(VALU_DEP_1)
	v_dual_max_num_f32 v99, v99, v99 :: v_dual_lshlrev_b32 v16, 16, v17
	v_max_num_f32_e32 v16, v16, v16
	s_delay_alu instid0(VALU_DEP_1) | instskip(NEXT) | instid1(VALU_DEP_1)
	v_dual_min_num_f32 v100, v99, v16 :: v_dual_max_num_f32 v16, v99, v16
	v_cndmask_b32_e32 v99, v16, v100, vcc_lo
	s_delay_alu instid0(VALU_DEP_1) | instskip(NEXT) | instid1(VALU_DEP_1)
	v_and_b32_e32 v16, 0x7f800000, v99
	v_cmp_ne_u32_e64 s10, 0x7f800000, v16
                                        ; implicit-def: $vgpr16
	s_and_saveexec_b32 s12, s10
	s_delay_alu instid0(SALU_CYCLE_1)
	s_xor_b32 s10, exec_lo, s12
; %bb.701:                              ;   in Loop: Header=BB4_523 Depth=1
	v_bfe_u32 v16, v99, 16, 1
	s_delay_alu instid0(VALU_DEP_1)
	v_add3_u32 v16, v99, v16, 0x7fff
                                        ; implicit-def: $vgpr99
; %bb.702:                              ;   in Loop: Header=BB4_523 Depth=1
	s_and_not1_saveexec_b32 s12, s10
; %bb.703:                              ;   in Loop: Header=BB4_523 Depth=1
	v_and_b32_e32 v16, 0xffff, v99
	v_or_b32_e32 v100, 0x10000, v99
	s_delay_alu instid0(VALU_DEP_2) | instskip(NEXT) | instid1(VALU_DEP_1)
	v_cmp_eq_u32_e64 s10, 0, v16
	v_cndmask_b32_e64 v16, v100, v99, s10
; %bb.704:                              ;   in Loop: Header=BB4_523 Depth=1
	s_or_b32 exec_lo, exec_lo, s12
	v_and_b32_e32 v17, 0xffff0000, v17
	v_and_b32_e32 v13, 0xffff0000, v13
	s_delay_alu instid0(VALU_DEP_2) | instskip(NEXT) | instid1(VALU_DEP_2)
	v_max_num_f32_e32 v17, v17, v17
	v_max_num_f32_e32 v13, v13, v13
	s_delay_alu instid0(VALU_DEP_1) | instskip(NEXT) | instid1(VALU_DEP_1)
	v_dual_min_num_f32 v99, v13, v17 :: v_dual_max_num_f32 v13, v13, v17
	v_cndmask_b32_e32 v17, v13, v99, vcc_lo
	s_delay_alu instid0(VALU_DEP_1) | instskip(NEXT) | instid1(VALU_DEP_1)
	v_and_b32_e32 v13, 0x7f800000, v17
	v_cmp_ne_u32_e32 vcc_lo, 0x7f800000, v13
                                        ; implicit-def: $vgpr13
	s_and_saveexec_b32 s10, vcc_lo
	s_delay_alu instid0(SALU_CYCLE_1)
	s_xor_b32 s10, exec_lo, s10
; %bb.705:                              ;   in Loop: Header=BB4_523 Depth=1
	v_bfe_u32 v13, v17, 16, 1
	s_delay_alu instid0(VALU_DEP_1)
	v_add3_u32 v13, v17, v13, 0x7fff
                                        ; implicit-def: $vgpr17
; %bb.706:                              ;   in Loop: Header=BB4_523 Depth=1
	s_and_not1_saveexec_b32 s10, s10
; %bb.707:                              ;   in Loop: Header=BB4_523 Depth=1
	v_and_b32_e32 v13, 0xffff, v17
	v_or_b32_e32 v99, 0x10000, v17
	s_delay_alu instid0(VALU_DEP_2) | instskip(NEXT) | instid1(VALU_DEP_2)
	v_cmp_eq_u32_e32 vcc_lo, 0, v13
	v_cndmask_b32_e32 v13, v99, v17, vcc_lo
; %bb.708:                              ;   in Loop: Header=BB4_523 Depth=1
	s_or_b32 exec_lo, exec_lo, s10
	v_dual_lshrrev_b32 v14, 16, v14 :: v_dual_lshrrev_b32 v15, 16, v15
	v_dual_lshrrev_b32 v17, 16, v98 :: v_dual_lshrrev_b32 v16, 16, v16
	s_delay_alu instid0(VALU_DEP_2) | instskip(NEXT) | instid1(VALU_DEP_3)
	v_and_or_b32 v11, 0xffff0000, v11, v14
	v_and_or_b32 v12, 0xffff0000, v12, v15
	s_delay_alu instid0(VALU_DEP_3) | instskip(NEXT) | instid1(VALU_DEP_4)
	v_and_or_b32 v10, 0xffff0000, v10, v17
	v_and_or_b32 v13, 0xffff0000, v13, v16
	global_store_b128 v[96:97], v[10:13], off th:TH_STORE_NT
.LBB4_709:                              ;   in Loop: Header=BB4_523 Depth=1
	s_wait_xcnt 0x0
	s_or_b32 exec_lo, exec_lo, s11
	v_and_b32_e32 v11, 14, v115
	s_mov_b32 s41, exec_lo
                                        ; implicit-def: $vgpr115
                                        ; implicit-def: $vgpr16
                                        ; implicit-def: $vgpr10
                                        ; implicit-def: $vgpr17
	s_delay_alu instid0(VALU_DEP_1) | instskip(NEXT) | instid1(VALU_DEP_1)
	v_cndmask_b32_e64 v100, v117, v11, s7
	v_cmpx_ne_u32_e32 0, v100
	s_cbranch_execz .LBB4_824
; %bb.710:                              ;   in Loop: Header=BB4_523 Depth=1
	v_cmp_lt_i32_e32 vcc_lo, 0, v118
	s_mov_b32 s10, 0
	s_mov_b32 s42, exec_lo
	v_dual_ashrrev_i32 v14, 31, v100 :: v_dual_sub_nc_u32 v11, v117, v11
	s_delay_alu instid0(VALU_DEP_1) | instskip(NEXT) | instid1(VALU_DEP_1)
	v_dual_cndmask_b32 v10, 0, v18, vcc_lo :: v_dual_cndmask_b32 v11, 0, v11, s7
	v_dual_sub_nc_u32 v10, v10, v118 :: v_dual_add_nc_u32 v101, v11, v116
	s_delay_alu instid0(VALU_DEP_1) | instskip(NEXT) | instid1(VALU_DEP_1)
	v_lshl_or_b32 v10, v10, 5, v102
	v_ashrrev_i32_e32 v12, 31, v10
	s_delay_alu instid0(VALU_DEP_1) | instskip(NEXT) | instid1(VALU_DEP_1)
	v_lshrrev_b32_e32 v12, 27, v12
	v_add_nc_u32_e32 v12, v10, v12
	s_delay_alu instid0(VALU_DEP_1) | instskip(NEXT) | instid1(VALU_DEP_1)
	v_and_b32_e32 v13, 0xffffffe0, v12
	v_dual_sub_nc_u32 v117, v10, v13 :: v_dual_lshrrev_b32 v10, 23, v14
	s_delay_alu instid0(VALU_DEP_1) | instskip(NEXT) | instid1(VALU_DEP_2)
	v_dual_ashrrev_i32 v12, 5, v12 :: v_dual_lshlrev_b32 v13, 4, v117
	v_add_nc_u32_e32 v14, v100, v10
	s_delay_alu instid0(VALU_DEP_2) | instskip(NEXT) | instid1(VALU_DEP_2)
	v_lshl_add_u32 v13, v12, 9, v13
	v_and_b32_e32 v116, 0xfffffe00, v14
	s_delay_alu instid0(VALU_DEP_2) | instskip(NEXT) | instid1(VALU_DEP_2)
	v_dual_ashrrev_i32 v14, 9, v14 :: v_dual_sub_nc_u32 v115, v100, v13
	v_dual_add_nc_u32 v10, v13, v101 :: v_dual_sub_nc_u32 v118, v100, v116
	s_delay_alu instid0(VALU_DEP_1) | instskip(NEXT) | instid1(VALU_DEP_1)
	v_cmp_lt_i32_e64 s7, 15, v118
	v_add_co_ci_u32_e64 v14, null, 0, v14, s7
	s_delay_alu instid0(VALU_DEP_1) | instskip(NEXT) | instid1(VALU_DEP_1)
	v_dual_ashrrev_i32 v11, 31, v10 :: v_dual_sub_nc_u32 v119, v14, v12
	v_add_nc_u64_e32 v[96:97], v[10:11], v[84:85]
	v_cmpx_lt_i32_e32 15, v115
	s_cbranch_execz .LBB4_787
; %bb.711:                              ;   in Loop: Header=BB4_523 Depth=1
	v_add_nc_u64_e32 v[98:99], v[10:11], v[82:83]
	s_wait_dscnt 0x0
	v_add_nc_u64_e32 v[86:87], v[10:11], v[86:87]
	s_and_b32 s10, 0xffff, s13
	s_mov_b32 s45, 0
	s_cmp_eq_u32 s10, 0
	s_mov_b32 s43, 0
	s_cselect_b32 s10, -1, 0
                                        ; implicit-def: $sgpr44
	s_branch .LBB4_713
.LBB4_712:                              ;   in Loop: Header=BB4_713 Depth=2
	s_or_b32 exec_lo, exec_lo, s11
	s_delay_alu instid0(VALU_DEP_2) | instskip(SKIP_3) | instid1(SALU_CYCLE_1)
	v_cmp_gt_i32_e32 vcc_lo, 16, v115
	s_or_b32 s43, vcc_lo, s43
	s_and_not1_b32 s11, s44, exec_lo
	s_and_b32 s12, s45, exec_lo
	s_or_b32 s44, s11, s12
	s_and_not1_b32 exec_lo, exec_lo, s43
	s_cbranch_execz .LBB4_786
.LBB4_713:                              ;   Parent Loop BB4_523 Depth=1
                                        ; =>  This Loop Header: Depth=2
                                        ;       Child Loop BB4_714 Depth 3
                                        ;       Child Loop BB4_751 Depth 3
	s_add_co_i32 s11, s33, 0x50
	s_mov_b64 s[14:15], 0
	s_mov_b32 s46, s11
	s_mov_b32 s47, -1
.LBB4_714:                              ;   Parent Loop BB4_523 Depth=1
                                        ;     Parent Loop BB4_713 Depth=2
                                        ; =>    This Inner Loop Header: Depth=3
	s_cmp_eq_u32 s14, 1
	s_cselect_b32 vcc_lo, -1, 0
	s_cmp_eq_u32 s14, 0
	v_dual_cndmask_b32 v15, v99, v87 :: v_dual_cndmask_b32 v14, v98, v86
	s_cselect_b32 s11, -1, 0
	s_and_b32 s12, exec_lo, s47
	s_mov_b64 s[14:15], 1
	s_mov_b32 s47, 0
	global_load_b128 v[10:13], v[14:15], off th:TH_LOAD_NT
	s_wait_xcnt 0x0
	v_add_nc_u64_e32 v[14:15], 0x200, v[14:15]
	s_delay_alu instid0(VALU_DEP_1)
	v_dual_cndmask_b32 v99, v99, v15, s11 :: v_dual_cndmask_b32 v98, v98, v14, s11
	v_dual_cndmask_b32 v87, v87, v15 :: v_dual_cndmask_b32 v86, v86, v14
	s_mov_b32 vcc_lo, s12
	s_wait_loadcnt 0x0
	scratch_store_b128 off, v[10:13], s46
	s_wait_xcnt 0x0
	s_mov_b32 s46, s26
	s_cbranch_vccnz .LBB4_714
; %bb.715:                              ;   in Loop: Header=BB4_713 Depth=2
	s_and_saveexec_b32 s11, s45
	s_cbranch_execz .LBB4_749
; %bb.716:                              ;   in Loop: Header=BB4_713 Depth=2
	s_clause 0x1
	scratch_load_b128 v[14:17], off, s33 offset:128
	scratch_load_b128 v[10:13], off, s33 offset:112
	s_wait_loadcnt 0x0
	v_lshlrev_b32_e32 v41, 16, v10
	s_delay_alu instid0(VALU_DEP_1) | instskip(NEXT) | instid1(VALU_DEP_1)
	v_dual_max_num_f32 v41, v41, v41 :: v_dual_lshlrev_b32 v40, 16, v14
	v_max_num_f32_e32 v40, v40, v40
	s_delay_alu instid0(VALU_DEP_1) | instskip(NEXT) | instid1(VALU_DEP_1)
	v_dual_min_num_f32 v42, v41, v40 :: v_dual_max_num_f32 v40, v41, v40
	v_cndmask_b32_e64 v41, v40, v42, s10
	s_delay_alu instid0(VALU_DEP_1) | instskip(NEXT) | instid1(VALU_DEP_1)
	v_and_b32_e32 v40, 0x7f800000, v41
	v_cmp_ne_u32_e32 vcc_lo, 0x7f800000, v40
                                        ; implicit-def: $vgpr40
	s_wait_xcnt 0x0
	s_and_saveexec_b32 s12, vcc_lo
	s_delay_alu instid0(SALU_CYCLE_1)
	s_xor_b32 s12, exec_lo, s12
; %bb.717:                              ;   in Loop: Header=BB4_713 Depth=2
	v_bfe_u32 v40, v41, 16, 1
	s_delay_alu instid0(VALU_DEP_1)
	v_add3_u32 v40, v41, v40, 0x7fff
                                        ; implicit-def: $vgpr41
; %bb.718:                              ;   in Loop: Header=BB4_713 Depth=2
	s_and_not1_saveexec_b32 s12, s12
; %bb.719:                              ;   in Loop: Header=BB4_713 Depth=2
	v_and_b32_e32 v40, 0xffff, v41
	v_or_b32_e32 v42, 0x10000, v41
	s_delay_alu instid0(VALU_DEP_2) | instskip(NEXT) | instid1(VALU_DEP_2)
	v_cmp_eq_u32_e32 vcc_lo, 0, v40
	v_cndmask_b32_e32 v40, v42, v41, vcc_lo
; %bb.720:                              ;   in Loop: Header=BB4_713 Depth=2
	s_or_b32 exec_lo, exec_lo, s12
	v_and_b32_e32 v14, 0xffff0000, v14
	v_and_b32_e32 v10, 0xffff0000, v10
	s_delay_alu instid0(VALU_DEP_2) | instskip(NEXT) | instid1(VALU_DEP_2)
	v_max_num_f32_e32 v14, v14, v14
	v_max_num_f32_e32 v10, v10, v10
	s_delay_alu instid0(VALU_DEP_1) | instskip(NEXT) | instid1(VALU_DEP_1)
	v_dual_min_num_f32 v41, v10, v14 :: v_dual_max_num_f32 v10, v10, v14
	v_cndmask_b32_e64 v14, v10, v41, s10
	s_delay_alu instid0(VALU_DEP_1) | instskip(NEXT) | instid1(VALU_DEP_1)
	v_and_b32_e32 v10, 0x7f800000, v14
	v_cmp_ne_u32_e32 vcc_lo, 0x7f800000, v10
                                        ; implicit-def: $vgpr10
	s_and_saveexec_b32 s12, vcc_lo
	s_delay_alu instid0(SALU_CYCLE_1)
	s_xor_b32 s12, exec_lo, s12
; %bb.721:                              ;   in Loop: Header=BB4_713 Depth=2
	v_bfe_u32 v10, v14, 16, 1
	s_delay_alu instid0(VALU_DEP_1)
	v_add3_u32 v10, v14, v10, 0x7fff
                                        ; implicit-def: $vgpr14
; %bb.722:                              ;   in Loop: Header=BB4_713 Depth=2
	s_and_not1_saveexec_b32 s12, s12
; %bb.723:                              ;   in Loop: Header=BB4_713 Depth=2
	v_and_b32_e32 v10, 0xffff, v14
	v_or_b32_e32 v41, 0x10000, v14
	s_delay_alu instid0(VALU_DEP_2) | instskip(NEXT) | instid1(VALU_DEP_2)
	v_cmp_eq_u32_e32 vcc_lo, 0, v10
	v_cndmask_b32_e32 v10, v41, v14, vcc_lo
; %bb.724:                              ;   in Loop: Header=BB4_713 Depth=2
	s_or_b32 exec_lo, exec_lo, s12
	v_lshlrev_b32_e32 v41, 16, v11
	s_delay_alu instid0(VALU_DEP_1) | instskip(NEXT) | instid1(VALU_DEP_1)
	v_dual_max_num_f32 v41, v41, v41 :: v_dual_lshlrev_b32 v14, 16, v15
	v_max_num_f32_e32 v14, v14, v14
	s_delay_alu instid0(VALU_DEP_1) | instskip(NEXT) | instid1(VALU_DEP_1)
	v_dual_min_num_f32 v42, v41, v14 :: v_dual_max_num_f32 v14, v41, v14
	v_cndmask_b32_e64 v41, v14, v42, s10
	s_delay_alu instid0(VALU_DEP_1) | instskip(NEXT) | instid1(VALU_DEP_1)
	v_and_b32_e32 v14, 0x7f800000, v41
	v_cmp_ne_u32_e32 vcc_lo, 0x7f800000, v14
                                        ; implicit-def: $vgpr14
	s_and_saveexec_b32 s12, vcc_lo
	s_delay_alu instid0(SALU_CYCLE_1)
	s_xor_b32 s12, exec_lo, s12
; %bb.725:                              ;   in Loop: Header=BB4_713 Depth=2
	v_bfe_u32 v14, v41, 16, 1
	s_delay_alu instid0(VALU_DEP_1)
	v_add3_u32 v14, v41, v14, 0x7fff
                                        ; implicit-def: $vgpr41
; %bb.726:                              ;   in Loop: Header=BB4_713 Depth=2
	s_and_not1_saveexec_b32 s12, s12
; %bb.727:                              ;   in Loop: Header=BB4_713 Depth=2
	v_and_b32_e32 v14, 0xffff, v41
	v_or_b32_e32 v42, 0x10000, v41
	s_delay_alu instid0(VALU_DEP_2) | instskip(NEXT) | instid1(VALU_DEP_2)
	v_cmp_eq_u32_e32 vcc_lo, 0, v14
	v_cndmask_b32_e32 v14, v42, v41, vcc_lo
; %bb.728:                              ;   in Loop: Header=BB4_713 Depth=2
	s_or_b32 exec_lo, exec_lo, s12
	v_and_b32_e32 v15, 0xffff0000, v15
	v_and_b32_e32 v11, 0xffff0000, v11
	s_delay_alu instid0(VALU_DEP_2) | instskip(NEXT) | instid1(VALU_DEP_2)
	v_max_num_f32_e32 v15, v15, v15
	v_max_num_f32_e32 v11, v11, v11
	s_delay_alu instid0(VALU_DEP_1) | instskip(NEXT) | instid1(VALU_DEP_1)
	v_dual_min_num_f32 v41, v11, v15 :: v_dual_max_num_f32 v11, v11, v15
	v_cndmask_b32_e64 v15, v11, v41, s10
	s_delay_alu instid0(VALU_DEP_1) | instskip(NEXT) | instid1(VALU_DEP_1)
	v_and_b32_e32 v11, 0x7f800000, v15
	v_cmp_ne_u32_e32 vcc_lo, 0x7f800000, v11
                                        ; implicit-def: $vgpr11
	s_and_saveexec_b32 s12, vcc_lo
	s_delay_alu instid0(SALU_CYCLE_1)
	s_xor_b32 s12, exec_lo, s12
; %bb.729:                              ;   in Loop: Header=BB4_713 Depth=2
	v_bfe_u32 v11, v15, 16, 1
	s_delay_alu instid0(VALU_DEP_1)
	v_add3_u32 v11, v15, v11, 0x7fff
                                        ; implicit-def: $vgpr15
; %bb.730:                              ;   in Loop: Header=BB4_713 Depth=2
	s_and_not1_saveexec_b32 s12, s12
; %bb.731:                              ;   in Loop: Header=BB4_713 Depth=2
	v_and_b32_e32 v11, 0xffff, v15
	v_or_b32_e32 v41, 0x10000, v15
	s_delay_alu instid0(VALU_DEP_2) | instskip(NEXT) | instid1(VALU_DEP_2)
	v_cmp_eq_u32_e32 vcc_lo, 0, v11
	v_cndmask_b32_e32 v11, v41, v15, vcc_lo
; %bb.732:                              ;   in Loop: Header=BB4_713 Depth=2
	s_or_b32 exec_lo, exec_lo, s12
	v_lshlrev_b32_e32 v41, 16, v12
	s_delay_alu instid0(VALU_DEP_1) | instskip(NEXT) | instid1(VALU_DEP_1)
	v_dual_lshlrev_b32 v15, 16, v16 :: v_dual_max_num_f32 v41, v41, v41
	v_max_num_f32_e32 v15, v15, v15
	s_delay_alu instid0(VALU_DEP_1) | instskip(NEXT) | instid1(VALU_DEP_1)
	v_dual_min_num_f32 v42, v41, v15 :: v_dual_max_num_f32 v15, v41, v15
	v_cndmask_b32_e64 v41, v15, v42, s10
	s_delay_alu instid0(VALU_DEP_1) | instskip(NEXT) | instid1(VALU_DEP_1)
	v_and_b32_e32 v15, 0x7f800000, v41
	v_cmp_ne_u32_e32 vcc_lo, 0x7f800000, v15
                                        ; implicit-def: $vgpr15
	s_and_saveexec_b32 s12, vcc_lo
	s_delay_alu instid0(SALU_CYCLE_1)
	s_xor_b32 s12, exec_lo, s12
; %bb.733:                              ;   in Loop: Header=BB4_713 Depth=2
	v_bfe_u32 v15, v41, 16, 1
	s_delay_alu instid0(VALU_DEP_1)
	v_add3_u32 v15, v41, v15, 0x7fff
                                        ; implicit-def: $vgpr41
; %bb.734:                              ;   in Loop: Header=BB4_713 Depth=2
	s_and_not1_saveexec_b32 s12, s12
; %bb.735:                              ;   in Loop: Header=BB4_713 Depth=2
	v_and_b32_e32 v15, 0xffff, v41
	v_or_b32_e32 v42, 0x10000, v41
	s_delay_alu instid0(VALU_DEP_2) | instskip(NEXT) | instid1(VALU_DEP_2)
	v_cmp_eq_u32_e32 vcc_lo, 0, v15
	v_cndmask_b32_e32 v15, v42, v41, vcc_lo
; %bb.736:                              ;   in Loop: Header=BB4_713 Depth=2
	s_or_b32 exec_lo, exec_lo, s12
	v_and_b32_e32 v16, 0xffff0000, v16
	v_and_b32_e32 v12, 0xffff0000, v12
	s_delay_alu instid0(VALU_DEP_2) | instskip(NEXT) | instid1(VALU_DEP_2)
	v_max_num_f32_e32 v16, v16, v16
	v_max_num_f32_e32 v12, v12, v12
	s_delay_alu instid0(VALU_DEP_1) | instskip(NEXT) | instid1(VALU_DEP_1)
	v_dual_min_num_f32 v41, v12, v16 :: v_dual_max_num_f32 v12, v12, v16
	v_cndmask_b32_e64 v16, v12, v41, s10
	s_delay_alu instid0(VALU_DEP_1) | instskip(NEXT) | instid1(VALU_DEP_1)
	v_and_b32_e32 v12, 0x7f800000, v16
	v_cmp_ne_u32_e32 vcc_lo, 0x7f800000, v12
                                        ; implicit-def: $vgpr12
	s_and_saveexec_b32 s12, vcc_lo
	s_delay_alu instid0(SALU_CYCLE_1)
	s_xor_b32 s12, exec_lo, s12
; %bb.737:                              ;   in Loop: Header=BB4_713 Depth=2
	v_bfe_u32 v12, v16, 16, 1
	s_delay_alu instid0(VALU_DEP_1)
	v_add3_u32 v12, v16, v12, 0x7fff
                                        ; implicit-def: $vgpr16
; %bb.738:                              ;   in Loop: Header=BB4_713 Depth=2
	s_and_not1_saveexec_b32 s12, s12
; %bb.739:                              ;   in Loop: Header=BB4_713 Depth=2
	v_and_b32_e32 v12, 0xffff, v16
	v_or_b32_e32 v41, 0x10000, v16
	s_delay_alu instid0(VALU_DEP_2) | instskip(NEXT) | instid1(VALU_DEP_2)
	v_cmp_eq_u32_e32 vcc_lo, 0, v12
	v_cndmask_b32_e32 v12, v41, v16, vcc_lo
; %bb.740:                              ;   in Loop: Header=BB4_713 Depth=2
	s_or_b32 exec_lo, exec_lo, s12
	v_lshlrev_b32_e32 v16, 16, v17
	s_delay_alu instid0(VALU_DEP_1) | instskip(NEXT) | instid1(VALU_DEP_1)
	v_dual_max_num_f32 v16, v16, v16 :: v_dual_lshlrev_b32 v41, 16, v13
	v_max_num_f32_e32 v41, v41, v41
	s_delay_alu instid0(VALU_DEP_1) | instskip(NEXT) | instid1(VALU_DEP_1)
	v_dual_min_num_f32 v42, v41, v16 :: v_dual_max_num_f32 v16, v41, v16
	v_cndmask_b32_e64 v41, v16, v42, s10
	s_delay_alu instid0(VALU_DEP_1) | instskip(NEXT) | instid1(VALU_DEP_1)
	v_and_b32_e32 v16, 0x7f800000, v41
	v_cmp_ne_u32_e32 vcc_lo, 0x7f800000, v16
                                        ; implicit-def: $vgpr16
	s_and_saveexec_b32 s12, vcc_lo
	s_delay_alu instid0(SALU_CYCLE_1)
	s_xor_b32 s12, exec_lo, s12
; %bb.741:                              ;   in Loop: Header=BB4_713 Depth=2
	v_bfe_u32 v16, v41, 16, 1
	s_delay_alu instid0(VALU_DEP_1)
	v_add3_u32 v16, v41, v16, 0x7fff
                                        ; implicit-def: $vgpr41
; %bb.742:                              ;   in Loop: Header=BB4_713 Depth=2
	s_and_not1_saveexec_b32 s12, s12
; %bb.743:                              ;   in Loop: Header=BB4_713 Depth=2
	v_and_b32_e32 v16, 0xffff, v41
	v_or_b32_e32 v42, 0x10000, v41
	s_delay_alu instid0(VALU_DEP_2) | instskip(NEXT) | instid1(VALU_DEP_2)
	v_cmp_eq_u32_e32 vcc_lo, 0, v16
	v_cndmask_b32_e32 v16, v42, v41, vcc_lo
; %bb.744:                              ;   in Loop: Header=BB4_713 Depth=2
	s_or_b32 exec_lo, exec_lo, s12
	v_and_b32_e32 v17, 0xffff0000, v17
	v_and_b32_e32 v13, 0xffff0000, v13
	s_delay_alu instid0(VALU_DEP_2) | instskip(NEXT) | instid1(VALU_DEP_2)
	v_max_num_f32_e32 v17, v17, v17
	v_max_num_f32_e32 v13, v13, v13
	s_delay_alu instid0(VALU_DEP_1) | instskip(NEXT) | instid1(VALU_DEP_1)
	v_dual_min_num_f32 v41, v13, v17 :: v_dual_max_num_f32 v13, v13, v17
	v_cndmask_b32_e64 v17, v13, v41, s10
	s_delay_alu instid0(VALU_DEP_1) | instskip(NEXT) | instid1(VALU_DEP_1)
	v_and_b32_e32 v13, 0x7f800000, v17
	v_cmp_ne_u32_e32 vcc_lo, 0x7f800000, v13
                                        ; implicit-def: $vgpr13
	s_and_saveexec_b32 s12, vcc_lo
	s_delay_alu instid0(SALU_CYCLE_1)
	s_xor_b32 s12, exec_lo, s12
; %bb.745:                              ;   in Loop: Header=BB4_713 Depth=2
	v_bfe_u32 v13, v17, 16, 1
	s_delay_alu instid0(VALU_DEP_1)
	v_add3_u32 v13, v17, v13, 0x7fff
                                        ; implicit-def: $vgpr17
; %bb.746:                              ;   in Loop: Header=BB4_713 Depth=2
	s_and_not1_saveexec_b32 s12, s12
; %bb.747:                              ;   in Loop: Header=BB4_713 Depth=2
	v_and_b32_e32 v13, 0xffff, v17
	v_or_b32_e32 v41, 0x10000, v17
	s_delay_alu instid0(VALU_DEP_2) | instskip(NEXT) | instid1(VALU_DEP_2)
	v_cmp_eq_u32_e32 vcc_lo, 0, v13
	v_cndmask_b32_e32 v13, v41, v17, vcc_lo
; %bb.748:                              ;   in Loop: Header=BB4_713 Depth=2
	s_or_b32 exec_lo, exec_lo, s12
	v_dual_lshrrev_b32 v14, 16, v14 :: v_dual_lshrrev_b32 v17, 16, v40
	v_dual_lshrrev_b32 v15, 16, v15 :: v_dual_lshrrev_b32 v16, 16, v16
	s_delay_alu instid0(VALU_DEP_2) | instskip(NEXT) | instid1(VALU_DEP_3)
	v_and_or_b32 v11, 0xffff0000, v11, v14
	v_and_or_b32 v10, 0xffff0000, v10, v17
	s_delay_alu instid0(VALU_DEP_3) | instskip(NEXT) | instid1(VALU_DEP_4)
	v_and_or_b32 v12, 0xffff0000, v12, v15
	v_and_or_b32 v13, 0xffff0000, v13, v16
	global_store_b128 v[96:97], v[10:13], off th:TH_STORE_NT
	s_wait_xcnt 0x0
	v_add_nc_u64_e32 v[96:97], v[64:65], v[96:97]
	scratch_store_b128 off, v[10:13], s33 offset:112
.LBB4_749:                              ;   in Loop: Header=BB4_713 Depth=2
	s_wait_xcnt 0x0
	s_or_b32 exec_lo, exec_lo, s11
	v_sub_nc_u32_e32 v115, v115, v103
	v_add_nc_u64_e32 v[98:99], v[98:99], v[22:23]
	v_add_nc_u64_e32 v[86:87], v[86:87], v[22:23]
	s_delay_alu instid0(VALU_DEP_3)
	v_cmp_lt_i32_e64 s45, 15, v115
	s_and_saveexec_b32 s46, s45
	s_cbranch_execz .LBB4_752
; %bb.750:                              ;   in Loop: Header=BB4_713 Depth=2
	s_add_co_i32 s11, s33, 0x70
	s_mov_b64 s[14:15], 0
	s_mov_b32 s47, s11
	s_mov_b32 s56, -1
.LBB4_751:                              ;   Parent Loop BB4_523 Depth=1
                                        ;     Parent Loop BB4_713 Depth=2
                                        ; =>    This Inner Loop Header: Depth=3
	s_cmp_eq_u32 s14, 1
	s_cselect_b32 vcc_lo, -1, 0
	s_cmp_eq_u32 s14, 0
	v_dual_cndmask_b32 v15, v99, v87 :: v_dual_cndmask_b32 v14, v98, v86
	s_cselect_b32 s11, -1, 0
	s_and_b32 s12, exec_lo, s56
	s_mov_b64 s[14:15], 1
	s_mov_b32 s56, 0
	global_load_b128 v[10:13], v[14:15], off th:TH_LOAD_NT
	s_wait_xcnt 0x0
	v_add_nc_u64_e32 v[14:15], 0x200, v[14:15]
	s_delay_alu instid0(VALU_DEP_1)
	v_dual_cndmask_b32 v99, v99, v15, s11 :: v_dual_cndmask_b32 v98, v98, v14, s11
	v_dual_cndmask_b32 v87, v87, v15 :: v_dual_cndmask_b32 v86, v86, v14
	s_mov_b32 vcc_lo, s12
	s_wait_loadcnt 0x0
	scratch_store_b128 off, v[10:13], s47
	s_wait_xcnt 0x0
	s_mov_b32 s47, s25
	s_cbranch_vccnz .LBB4_751
.LBB4_752:                              ;   in Loop: Header=BB4_713 Depth=2
	s_or_b32 exec_lo, exec_lo, s46
	s_clause 0x1
	scratch_load_b128 v[14:17], off, s33 offset:96
	scratch_load_b128 v[10:13], off, s33 offset:80
	s_wait_loadcnt 0x0
	v_lshlrev_b32_e32 v41, 16, v10
	s_delay_alu instid0(VALU_DEP_1) | instskip(NEXT) | instid1(VALU_DEP_1)
	v_dual_max_num_f32 v41, v41, v41 :: v_dual_lshlrev_b32 v40, 16, v14
	v_max_num_f32_e32 v40, v40, v40
	s_delay_alu instid0(VALU_DEP_1) | instskip(NEXT) | instid1(VALU_DEP_1)
	v_dual_min_num_f32 v42, v41, v40 :: v_dual_max_num_f32 v40, v41, v40
	v_cndmask_b32_e64 v41, v40, v42, s10
	s_delay_alu instid0(VALU_DEP_1) | instskip(NEXT) | instid1(VALU_DEP_1)
	v_and_b32_e32 v40, 0x7f800000, v41
	v_cmp_ne_u32_e32 vcc_lo, 0x7f800000, v40
                                        ; implicit-def: $vgpr40
	s_wait_xcnt 0x0
	s_and_saveexec_b32 s11, vcc_lo
	s_delay_alu instid0(SALU_CYCLE_1)
	s_xor_b32 s11, exec_lo, s11
; %bb.753:                              ;   in Loop: Header=BB4_713 Depth=2
	v_bfe_u32 v40, v41, 16, 1
	s_delay_alu instid0(VALU_DEP_1)
	v_add3_u32 v40, v41, v40, 0x7fff
                                        ; implicit-def: $vgpr41
; %bb.754:                              ;   in Loop: Header=BB4_713 Depth=2
	s_and_not1_saveexec_b32 s11, s11
; %bb.755:                              ;   in Loop: Header=BB4_713 Depth=2
	v_and_b32_e32 v40, 0xffff, v41
	v_or_b32_e32 v42, 0x10000, v41
	s_delay_alu instid0(VALU_DEP_2) | instskip(NEXT) | instid1(VALU_DEP_2)
	v_cmp_eq_u32_e32 vcc_lo, 0, v40
	v_cndmask_b32_e32 v40, v42, v41, vcc_lo
; %bb.756:                              ;   in Loop: Header=BB4_713 Depth=2
	s_or_b32 exec_lo, exec_lo, s11
	v_and_b32_e32 v14, 0xffff0000, v14
	v_and_b32_e32 v10, 0xffff0000, v10
	s_delay_alu instid0(VALU_DEP_2) | instskip(NEXT) | instid1(VALU_DEP_2)
	v_max_num_f32_e32 v14, v14, v14
	v_max_num_f32_e32 v10, v10, v10
	s_delay_alu instid0(VALU_DEP_1) | instskip(NEXT) | instid1(VALU_DEP_1)
	v_dual_min_num_f32 v41, v10, v14 :: v_dual_max_num_f32 v10, v10, v14
	v_cndmask_b32_e64 v14, v10, v41, s10
	s_delay_alu instid0(VALU_DEP_1) | instskip(NEXT) | instid1(VALU_DEP_1)
	v_and_b32_e32 v10, 0x7f800000, v14
	v_cmp_ne_u32_e32 vcc_lo, 0x7f800000, v10
                                        ; implicit-def: $vgpr10
	s_and_saveexec_b32 s11, vcc_lo
	s_delay_alu instid0(SALU_CYCLE_1)
	s_xor_b32 s11, exec_lo, s11
; %bb.757:                              ;   in Loop: Header=BB4_713 Depth=2
	v_bfe_u32 v10, v14, 16, 1
	s_delay_alu instid0(VALU_DEP_1)
	v_add3_u32 v10, v14, v10, 0x7fff
                                        ; implicit-def: $vgpr14
; %bb.758:                              ;   in Loop: Header=BB4_713 Depth=2
	s_and_not1_saveexec_b32 s11, s11
; %bb.759:                              ;   in Loop: Header=BB4_713 Depth=2
	v_and_b32_e32 v10, 0xffff, v14
	v_or_b32_e32 v41, 0x10000, v14
	s_delay_alu instid0(VALU_DEP_2) | instskip(NEXT) | instid1(VALU_DEP_2)
	v_cmp_eq_u32_e32 vcc_lo, 0, v10
	v_cndmask_b32_e32 v10, v41, v14, vcc_lo
; %bb.760:                              ;   in Loop: Header=BB4_713 Depth=2
	s_or_b32 exec_lo, exec_lo, s11
	v_lshlrev_b32_e32 v41, 16, v11
	s_delay_alu instid0(VALU_DEP_1) | instskip(NEXT) | instid1(VALU_DEP_1)
	v_dual_max_num_f32 v41, v41, v41 :: v_dual_lshlrev_b32 v14, 16, v15
	v_max_num_f32_e32 v14, v14, v14
	s_delay_alu instid0(VALU_DEP_1) | instskip(NEXT) | instid1(VALU_DEP_1)
	v_dual_min_num_f32 v42, v41, v14 :: v_dual_max_num_f32 v14, v41, v14
	v_cndmask_b32_e64 v41, v14, v42, s10
	s_delay_alu instid0(VALU_DEP_1) | instskip(NEXT) | instid1(VALU_DEP_1)
	v_and_b32_e32 v14, 0x7f800000, v41
	v_cmp_ne_u32_e32 vcc_lo, 0x7f800000, v14
                                        ; implicit-def: $vgpr14
	s_and_saveexec_b32 s11, vcc_lo
	s_delay_alu instid0(SALU_CYCLE_1)
	s_xor_b32 s11, exec_lo, s11
; %bb.761:                              ;   in Loop: Header=BB4_713 Depth=2
	v_bfe_u32 v14, v41, 16, 1
	s_delay_alu instid0(VALU_DEP_1)
	v_add3_u32 v14, v41, v14, 0x7fff
                                        ; implicit-def: $vgpr41
; %bb.762:                              ;   in Loop: Header=BB4_713 Depth=2
	s_and_not1_saveexec_b32 s11, s11
; %bb.763:                              ;   in Loop: Header=BB4_713 Depth=2
	v_and_b32_e32 v14, 0xffff, v41
	v_or_b32_e32 v42, 0x10000, v41
	s_delay_alu instid0(VALU_DEP_2) | instskip(NEXT) | instid1(VALU_DEP_2)
	v_cmp_eq_u32_e32 vcc_lo, 0, v14
	v_cndmask_b32_e32 v14, v42, v41, vcc_lo
; %bb.764:                              ;   in Loop: Header=BB4_713 Depth=2
	s_or_b32 exec_lo, exec_lo, s11
	v_and_b32_e32 v15, 0xffff0000, v15
	v_and_b32_e32 v11, 0xffff0000, v11
	s_delay_alu instid0(VALU_DEP_2) | instskip(NEXT) | instid1(VALU_DEP_2)
	v_max_num_f32_e32 v15, v15, v15
	v_max_num_f32_e32 v11, v11, v11
	s_delay_alu instid0(VALU_DEP_1) | instskip(NEXT) | instid1(VALU_DEP_1)
	v_dual_min_num_f32 v41, v11, v15 :: v_dual_max_num_f32 v11, v11, v15
	v_cndmask_b32_e64 v15, v11, v41, s10
	s_delay_alu instid0(VALU_DEP_1) | instskip(NEXT) | instid1(VALU_DEP_1)
	v_and_b32_e32 v11, 0x7f800000, v15
	v_cmp_ne_u32_e32 vcc_lo, 0x7f800000, v11
                                        ; implicit-def: $vgpr11
	s_and_saveexec_b32 s11, vcc_lo
	s_delay_alu instid0(SALU_CYCLE_1)
	s_xor_b32 s11, exec_lo, s11
; %bb.765:                              ;   in Loop: Header=BB4_713 Depth=2
	v_bfe_u32 v11, v15, 16, 1
	s_delay_alu instid0(VALU_DEP_1)
	v_add3_u32 v11, v15, v11, 0x7fff
                                        ; implicit-def: $vgpr15
; %bb.766:                              ;   in Loop: Header=BB4_713 Depth=2
	s_and_not1_saveexec_b32 s11, s11
; %bb.767:                              ;   in Loop: Header=BB4_713 Depth=2
	v_and_b32_e32 v11, 0xffff, v15
	v_or_b32_e32 v41, 0x10000, v15
	s_delay_alu instid0(VALU_DEP_2) | instskip(NEXT) | instid1(VALU_DEP_2)
	v_cmp_eq_u32_e32 vcc_lo, 0, v11
	v_cndmask_b32_e32 v11, v41, v15, vcc_lo
; %bb.768:                              ;   in Loop: Header=BB4_713 Depth=2
	s_or_b32 exec_lo, exec_lo, s11
	v_lshlrev_b32_e32 v41, 16, v12
	s_delay_alu instid0(VALU_DEP_1) | instskip(NEXT) | instid1(VALU_DEP_1)
	v_dual_lshlrev_b32 v15, 16, v16 :: v_dual_max_num_f32 v41, v41, v41
	v_max_num_f32_e32 v15, v15, v15
	s_delay_alu instid0(VALU_DEP_1) | instskip(NEXT) | instid1(VALU_DEP_1)
	v_dual_min_num_f32 v42, v41, v15 :: v_dual_max_num_f32 v15, v41, v15
	v_cndmask_b32_e64 v41, v15, v42, s10
	s_delay_alu instid0(VALU_DEP_1) | instskip(NEXT) | instid1(VALU_DEP_1)
	v_and_b32_e32 v15, 0x7f800000, v41
	v_cmp_ne_u32_e32 vcc_lo, 0x7f800000, v15
                                        ; implicit-def: $vgpr15
	s_and_saveexec_b32 s11, vcc_lo
	s_delay_alu instid0(SALU_CYCLE_1)
	s_xor_b32 s11, exec_lo, s11
; %bb.769:                              ;   in Loop: Header=BB4_713 Depth=2
	v_bfe_u32 v15, v41, 16, 1
	s_delay_alu instid0(VALU_DEP_1)
	v_add3_u32 v15, v41, v15, 0x7fff
                                        ; implicit-def: $vgpr41
; %bb.770:                              ;   in Loop: Header=BB4_713 Depth=2
	s_and_not1_saveexec_b32 s11, s11
; %bb.771:                              ;   in Loop: Header=BB4_713 Depth=2
	v_and_b32_e32 v15, 0xffff, v41
	v_or_b32_e32 v42, 0x10000, v41
	s_delay_alu instid0(VALU_DEP_2) | instskip(NEXT) | instid1(VALU_DEP_2)
	v_cmp_eq_u32_e32 vcc_lo, 0, v15
	v_cndmask_b32_e32 v15, v42, v41, vcc_lo
; %bb.772:                              ;   in Loop: Header=BB4_713 Depth=2
	s_or_b32 exec_lo, exec_lo, s11
	v_and_b32_e32 v16, 0xffff0000, v16
	v_and_b32_e32 v12, 0xffff0000, v12
	s_delay_alu instid0(VALU_DEP_2) | instskip(NEXT) | instid1(VALU_DEP_2)
	v_max_num_f32_e32 v16, v16, v16
	v_max_num_f32_e32 v12, v12, v12
	s_delay_alu instid0(VALU_DEP_1) | instskip(NEXT) | instid1(VALU_DEP_1)
	v_dual_min_num_f32 v41, v12, v16 :: v_dual_max_num_f32 v12, v12, v16
	v_cndmask_b32_e64 v16, v12, v41, s10
	s_delay_alu instid0(VALU_DEP_1) | instskip(NEXT) | instid1(VALU_DEP_1)
	v_and_b32_e32 v12, 0x7f800000, v16
	v_cmp_ne_u32_e32 vcc_lo, 0x7f800000, v12
                                        ; implicit-def: $vgpr12
	s_and_saveexec_b32 s11, vcc_lo
	s_delay_alu instid0(SALU_CYCLE_1)
	s_xor_b32 s11, exec_lo, s11
; %bb.773:                              ;   in Loop: Header=BB4_713 Depth=2
	v_bfe_u32 v12, v16, 16, 1
	s_delay_alu instid0(VALU_DEP_1)
	v_add3_u32 v12, v16, v12, 0x7fff
                                        ; implicit-def: $vgpr16
; %bb.774:                              ;   in Loop: Header=BB4_713 Depth=2
	s_and_not1_saveexec_b32 s11, s11
; %bb.775:                              ;   in Loop: Header=BB4_713 Depth=2
	v_and_b32_e32 v12, 0xffff, v16
	v_or_b32_e32 v41, 0x10000, v16
	s_delay_alu instid0(VALU_DEP_2) | instskip(NEXT) | instid1(VALU_DEP_2)
	v_cmp_eq_u32_e32 vcc_lo, 0, v12
	v_cndmask_b32_e32 v12, v41, v16, vcc_lo
; %bb.776:                              ;   in Loop: Header=BB4_713 Depth=2
	s_or_b32 exec_lo, exec_lo, s11
	v_lshlrev_b32_e32 v16, 16, v17
	s_delay_alu instid0(VALU_DEP_1) | instskip(NEXT) | instid1(VALU_DEP_1)
	v_dual_max_num_f32 v16, v16, v16 :: v_dual_lshlrev_b32 v41, 16, v13
	v_max_num_f32_e32 v41, v41, v41
	s_delay_alu instid0(VALU_DEP_1) | instskip(NEXT) | instid1(VALU_DEP_1)
	v_dual_min_num_f32 v42, v41, v16 :: v_dual_max_num_f32 v16, v41, v16
	v_cndmask_b32_e64 v41, v16, v42, s10
	s_delay_alu instid0(VALU_DEP_1) | instskip(NEXT) | instid1(VALU_DEP_1)
	v_and_b32_e32 v16, 0x7f800000, v41
	v_cmp_ne_u32_e32 vcc_lo, 0x7f800000, v16
                                        ; implicit-def: $vgpr16
	s_and_saveexec_b32 s11, vcc_lo
	s_delay_alu instid0(SALU_CYCLE_1)
	s_xor_b32 s11, exec_lo, s11
; %bb.777:                              ;   in Loop: Header=BB4_713 Depth=2
	v_bfe_u32 v16, v41, 16, 1
	s_delay_alu instid0(VALU_DEP_1)
	v_add3_u32 v16, v41, v16, 0x7fff
                                        ; implicit-def: $vgpr41
; %bb.778:                              ;   in Loop: Header=BB4_713 Depth=2
	s_and_not1_saveexec_b32 s11, s11
; %bb.779:                              ;   in Loop: Header=BB4_713 Depth=2
	v_and_b32_e32 v16, 0xffff, v41
	v_or_b32_e32 v42, 0x10000, v41
	s_delay_alu instid0(VALU_DEP_2) | instskip(NEXT) | instid1(VALU_DEP_2)
	v_cmp_eq_u32_e32 vcc_lo, 0, v16
	v_cndmask_b32_e32 v16, v42, v41, vcc_lo
; %bb.780:                              ;   in Loop: Header=BB4_713 Depth=2
	s_or_b32 exec_lo, exec_lo, s11
	v_and_b32_e32 v17, 0xffff0000, v17
	v_and_b32_e32 v13, 0xffff0000, v13
	s_delay_alu instid0(VALU_DEP_2) | instskip(NEXT) | instid1(VALU_DEP_2)
	v_max_num_f32_e32 v17, v17, v17
	v_max_num_f32_e32 v13, v13, v13
	s_delay_alu instid0(VALU_DEP_1) | instskip(NEXT) | instid1(VALU_DEP_1)
	v_dual_min_num_f32 v41, v13, v17 :: v_dual_max_num_f32 v13, v13, v17
	v_cndmask_b32_e64 v17, v13, v41, s10
	s_delay_alu instid0(VALU_DEP_1) | instskip(NEXT) | instid1(VALU_DEP_1)
	v_and_b32_e32 v13, 0x7f800000, v17
	v_cmp_ne_u32_e32 vcc_lo, 0x7f800000, v13
                                        ; implicit-def: $vgpr13
	s_and_saveexec_b32 s11, vcc_lo
	s_delay_alu instid0(SALU_CYCLE_1)
	s_xor_b32 s11, exec_lo, s11
; %bb.781:                              ;   in Loop: Header=BB4_713 Depth=2
	v_bfe_u32 v13, v17, 16, 1
	s_delay_alu instid0(VALU_DEP_1)
	v_add3_u32 v13, v17, v13, 0x7fff
                                        ; implicit-def: $vgpr17
; %bb.782:                              ;   in Loop: Header=BB4_713 Depth=2
	s_and_not1_saveexec_b32 s11, s11
; %bb.783:                              ;   in Loop: Header=BB4_713 Depth=2
	v_and_b32_e32 v13, 0xffff, v17
	v_or_b32_e32 v41, 0x10000, v17
	s_delay_alu instid0(VALU_DEP_2) | instskip(NEXT) | instid1(VALU_DEP_2)
	v_cmp_eq_u32_e32 vcc_lo, 0, v13
	v_cndmask_b32_e32 v13, v41, v17, vcc_lo
; %bb.784:                              ;   in Loop: Header=BB4_713 Depth=2
	s_or_b32 exec_lo, exec_lo, s11
	v_dual_lshrrev_b32 v14, 16, v14 :: v_dual_lshrrev_b32 v17, 16, v40
	v_dual_lshrrev_b32 v15, 16, v15 :: v_dual_lshrrev_b32 v16, 16, v16
	v_sub_nc_u32_e32 v119, v119, v18
	s_delay_alu instid0(VALU_DEP_3) | instskip(NEXT) | instid1(VALU_DEP_4)
	v_and_or_b32 v11, 0xffff0000, v11, v14
	v_and_or_b32 v10, 0xffff0000, v10, v17
	s_delay_alu instid0(VALU_DEP_4)
	v_and_or_b32 v12, 0xffff0000, v12, v15
	v_and_or_b32 v13, 0xffff0000, v13, v16
	global_store_b128 v[96:97], v[10:13], off th:TH_STORE_NT
	s_wait_xcnt 0x0
	v_add_nc_u64_e32 v[96:97], 0x200, v[96:97]
	scratch_store_b128 off, v[10:13], s33 offset:80
	s_wait_xcnt 0x0
	s_and_saveexec_b32 s11, s45
	s_cbranch_execz .LBB4_712
; %bb.785:                              ;   in Loop: Header=BB4_713 Depth=2
	v_add_nc_u64_e32 v[98:99], v[98:99], v[22:23]
	v_add_nc_u64_e32 v[86:87], v[86:87], v[22:23]
	;; [unrolled: 1-line block ×3, first 2 shown]
	v_sub_nc_u32_e32 v115, v115, v103
	v_sub_nc_u32_e32 v119, v119, v18
	s_branch .LBB4_712
.LBB4_786:                              ;   in Loop: Header=BB4_523 Depth=1
	s_or_b32 exec_lo, exec_lo, s43
	s_delay_alu instid0(SALU_CYCLE_1)
	s_and_b32 s10, s44, exec_lo
.LBB4_787:                              ;   in Loop: Header=BB4_523 Depth=1
	s_or_b32 exec_lo, exec_lo, s42
	s_and_saveexec_b32 s11, s10
	s_cbranch_execz .LBB4_821
; %bb.788:                              ;   in Loop: Header=BB4_523 Depth=1
	s_clause 0x1
	scratch_load_b128 v[14:17], off, s33 offset:128
	scratch_load_b128 v[10:13], off, s33 offset:112
	s_and_b32 s10, 0xffff, s13
	s_delay_alu instid0(SALU_CYCLE_1) | instskip(SKIP_3) | instid1(VALU_DEP_1)
	s_cmp_eq_u32 s10, 0
	s_cselect_b32 vcc_lo, -1, 0
	s_wait_loadcnt_dscnt 0x0
	v_lshlrev_b32_e32 v87, 16, v10
	v_dual_max_num_f32 v87, v87, v87 :: v_dual_lshlrev_b32 v86, 16, v14
	s_delay_alu instid0(VALU_DEP_1) | instskip(NEXT) | instid1(VALU_DEP_1)
	v_max_num_f32_e32 v86, v86, v86
	v_dual_min_num_f32 v98, v87, v86 :: v_dual_max_num_f32 v86, v87, v86
	s_delay_alu instid0(VALU_DEP_1) | instskip(NEXT) | instid1(VALU_DEP_1)
	v_cndmask_b32_e32 v87, v86, v98, vcc_lo
	v_and_b32_e32 v86, 0x7f800000, v87
	s_delay_alu instid0(VALU_DEP_1) | instskip(SKIP_2) | instid1(SALU_CYCLE_1)
	v_cmp_ne_u32_e64 s10, 0x7f800000, v86
                                        ; implicit-def: $vgpr86
	s_wait_xcnt 0x0
	s_and_saveexec_b32 s12, s10
	s_xor_b32 s10, exec_lo, s12
; %bb.789:                              ;   in Loop: Header=BB4_523 Depth=1
	v_bfe_u32 v86, v87, 16, 1
	s_delay_alu instid0(VALU_DEP_1)
	v_add3_u32 v86, v87, v86, 0x7fff
                                        ; implicit-def: $vgpr87
; %bb.790:                              ;   in Loop: Header=BB4_523 Depth=1
	s_and_not1_saveexec_b32 s12, s10
; %bb.791:                              ;   in Loop: Header=BB4_523 Depth=1
	v_and_b32_e32 v86, 0xffff, v87
	v_or_b32_e32 v98, 0x10000, v87
	s_delay_alu instid0(VALU_DEP_2) | instskip(NEXT) | instid1(VALU_DEP_1)
	v_cmp_eq_u32_e64 s10, 0, v86
	v_cndmask_b32_e64 v86, v98, v87, s10
; %bb.792:                              ;   in Loop: Header=BB4_523 Depth=1
	s_or_b32 exec_lo, exec_lo, s12
	v_and_b32_e32 v14, 0xffff0000, v14
	v_and_b32_e32 v10, 0xffff0000, v10
	s_delay_alu instid0(VALU_DEP_2) | instskip(NEXT) | instid1(VALU_DEP_2)
	v_max_num_f32_e32 v14, v14, v14
	v_max_num_f32_e32 v10, v10, v10
	s_delay_alu instid0(VALU_DEP_1) | instskip(NEXT) | instid1(VALU_DEP_1)
	v_dual_min_num_f32 v87, v10, v14 :: v_dual_max_num_f32 v10, v10, v14
	v_cndmask_b32_e32 v14, v10, v87, vcc_lo
	s_delay_alu instid0(VALU_DEP_1) | instskip(NEXT) | instid1(VALU_DEP_1)
	v_and_b32_e32 v10, 0x7f800000, v14
	v_cmp_ne_u32_e64 s10, 0x7f800000, v10
                                        ; implicit-def: $vgpr10
	s_and_saveexec_b32 s12, s10
	s_delay_alu instid0(SALU_CYCLE_1)
	s_xor_b32 s10, exec_lo, s12
; %bb.793:                              ;   in Loop: Header=BB4_523 Depth=1
	v_bfe_u32 v10, v14, 16, 1
	s_delay_alu instid0(VALU_DEP_1)
	v_add3_u32 v10, v14, v10, 0x7fff
                                        ; implicit-def: $vgpr14
; %bb.794:                              ;   in Loop: Header=BB4_523 Depth=1
	s_and_not1_saveexec_b32 s12, s10
; %bb.795:                              ;   in Loop: Header=BB4_523 Depth=1
	v_and_b32_e32 v10, 0xffff, v14
	v_or_b32_e32 v87, 0x10000, v14
	s_delay_alu instid0(VALU_DEP_2) | instskip(NEXT) | instid1(VALU_DEP_1)
	v_cmp_eq_u32_e64 s10, 0, v10
	v_cndmask_b32_e64 v10, v87, v14, s10
; %bb.796:                              ;   in Loop: Header=BB4_523 Depth=1
	s_or_b32 exec_lo, exec_lo, s12
	v_lshlrev_b32_e32 v14, 16, v15
	s_delay_alu instid0(VALU_DEP_1) | instskip(NEXT) | instid1(VALU_DEP_1)
	v_dual_max_num_f32 v14, v14, v14 :: v_dual_lshlrev_b32 v87, 16, v11
	v_max_num_f32_e32 v87, v87, v87
	s_delay_alu instid0(VALU_DEP_1) | instskip(NEXT) | instid1(VALU_DEP_1)
	v_dual_min_num_f32 v98, v87, v14 :: v_dual_max_num_f32 v14, v87, v14
	v_cndmask_b32_e32 v87, v14, v98, vcc_lo
	s_delay_alu instid0(VALU_DEP_1) | instskip(NEXT) | instid1(VALU_DEP_1)
	v_and_b32_e32 v14, 0x7f800000, v87
	v_cmp_ne_u32_e64 s10, 0x7f800000, v14
                                        ; implicit-def: $vgpr14
	s_and_saveexec_b32 s12, s10
	s_delay_alu instid0(SALU_CYCLE_1)
	s_xor_b32 s10, exec_lo, s12
; %bb.797:                              ;   in Loop: Header=BB4_523 Depth=1
	v_bfe_u32 v14, v87, 16, 1
	s_delay_alu instid0(VALU_DEP_1)
	v_add3_u32 v14, v87, v14, 0x7fff
                                        ; implicit-def: $vgpr87
; %bb.798:                              ;   in Loop: Header=BB4_523 Depth=1
	s_and_not1_saveexec_b32 s12, s10
; %bb.799:                              ;   in Loop: Header=BB4_523 Depth=1
	v_and_b32_e32 v14, 0xffff, v87
	v_or_b32_e32 v98, 0x10000, v87
	s_delay_alu instid0(VALU_DEP_2) | instskip(NEXT) | instid1(VALU_DEP_1)
	v_cmp_eq_u32_e64 s10, 0, v14
	v_cndmask_b32_e64 v14, v98, v87, s10
; %bb.800:                              ;   in Loop: Header=BB4_523 Depth=1
	s_or_b32 exec_lo, exec_lo, s12
	v_and_b32_e32 v15, 0xffff0000, v15
	v_and_b32_e32 v11, 0xffff0000, v11
	s_delay_alu instid0(VALU_DEP_2) | instskip(NEXT) | instid1(VALU_DEP_2)
	v_max_num_f32_e32 v15, v15, v15
	v_max_num_f32_e32 v11, v11, v11
	s_delay_alu instid0(VALU_DEP_1) | instskip(NEXT) | instid1(VALU_DEP_1)
	v_dual_min_num_f32 v87, v11, v15 :: v_dual_max_num_f32 v11, v11, v15
	v_cndmask_b32_e32 v15, v11, v87, vcc_lo
	s_delay_alu instid0(VALU_DEP_1) | instskip(NEXT) | instid1(VALU_DEP_1)
	v_and_b32_e32 v11, 0x7f800000, v15
	v_cmp_ne_u32_e64 s10, 0x7f800000, v11
                                        ; implicit-def: $vgpr11
	s_and_saveexec_b32 s12, s10
	s_delay_alu instid0(SALU_CYCLE_1)
	s_xor_b32 s10, exec_lo, s12
; %bb.801:                              ;   in Loop: Header=BB4_523 Depth=1
	v_bfe_u32 v11, v15, 16, 1
	s_delay_alu instid0(VALU_DEP_1)
	v_add3_u32 v11, v15, v11, 0x7fff
                                        ; implicit-def: $vgpr15
; %bb.802:                              ;   in Loop: Header=BB4_523 Depth=1
	s_and_not1_saveexec_b32 s12, s10
; %bb.803:                              ;   in Loop: Header=BB4_523 Depth=1
	v_and_b32_e32 v11, 0xffff, v15
	v_or_b32_e32 v87, 0x10000, v15
	s_delay_alu instid0(VALU_DEP_2) | instskip(NEXT) | instid1(VALU_DEP_1)
	v_cmp_eq_u32_e64 s10, 0, v11
	v_cndmask_b32_e64 v11, v87, v15, s10
; %bb.804:                              ;   in Loop: Header=BB4_523 Depth=1
	s_or_b32 exec_lo, exec_lo, s12
	v_lshlrev_b32_e32 v87, 16, v12
	s_delay_alu instid0(VALU_DEP_1) | instskip(NEXT) | instid1(VALU_DEP_1)
	v_dual_lshlrev_b32 v15, 16, v16 :: v_dual_max_num_f32 v87, v87, v87
	v_max_num_f32_e32 v15, v15, v15
	s_delay_alu instid0(VALU_DEP_1) | instskip(NEXT) | instid1(VALU_DEP_1)
	v_dual_min_num_f32 v98, v87, v15 :: v_dual_max_num_f32 v15, v87, v15
	v_cndmask_b32_e32 v87, v15, v98, vcc_lo
	s_delay_alu instid0(VALU_DEP_1) | instskip(NEXT) | instid1(VALU_DEP_1)
	v_and_b32_e32 v15, 0x7f800000, v87
	v_cmp_ne_u32_e64 s10, 0x7f800000, v15
                                        ; implicit-def: $vgpr15
	s_and_saveexec_b32 s12, s10
	s_delay_alu instid0(SALU_CYCLE_1)
	s_xor_b32 s10, exec_lo, s12
; %bb.805:                              ;   in Loop: Header=BB4_523 Depth=1
	v_bfe_u32 v15, v87, 16, 1
	s_delay_alu instid0(VALU_DEP_1)
	v_add3_u32 v15, v87, v15, 0x7fff
                                        ; implicit-def: $vgpr87
; %bb.806:                              ;   in Loop: Header=BB4_523 Depth=1
	s_and_not1_saveexec_b32 s12, s10
; %bb.807:                              ;   in Loop: Header=BB4_523 Depth=1
	v_and_b32_e32 v15, 0xffff, v87
	v_or_b32_e32 v98, 0x10000, v87
	s_delay_alu instid0(VALU_DEP_2) | instskip(NEXT) | instid1(VALU_DEP_1)
	v_cmp_eq_u32_e64 s10, 0, v15
	v_cndmask_b32_e64 v15, v98, v87, s10
; %bb.808:                              ;   in Loop: Header=BB4_523 Depth=1
	s_or_b32 exec_lo, exec_lo, s12
	v_and_b32_e32 v16, 0xffff0000, v16
	v_and_b32_e32 v12, 0xffff0000, v12
	s_delay_alu instid0(VALU_DEP_2) | instskip(NEXT) | instid1(VALU_DEP_2)
	v_max_num_f32_e32 v16, v16, v16
	v_max_num_f32_e32 v12, v12, v12
	s_delay_alu instid0(VALU_DEP_1) | instskip(NEXT) | instid1(VALU_DEP_1)
	v_dual_min_num_f32 v87, v12, v16 :: v_dual_max_num_f32 v12, v12, v16
	v_cndmask_b32_e32 v16, v12, v87, vcc_lo
	s_delay_alu instid0(VALU_DEP_1) | instskip(NEXT) | instid1(VALU_DEP_1)
	v_and_b32_e32 v12, 0x7f800000, v16
	v_cmp_ne_u32_e64 s10, 0x7f800000, v12
                                        ; implicit-def: $vgpr12
	s_and_saveexec_b32 s12, s10
	s_delay_alu instid0(SALU_CYCLE_1)
	s_xor_b32 s10, exec_lo, s12
; %bb.809:                              ;   in Loop: Header=BB4_523 Depth=1
	v_bfe_u32 v12, v16, 16, 1
	s_delay_alu instid0(VALU_DEP_1)
	v_add3_u32 v12, v16, v12, 0x7fff
                                        ; implicit-def: $vgpr16
; %bb.810:                              ;   in Loop: Header=BB4_523 Depth=1
	s_and_not1_saveexec_b32 s12, s10
; %bb.811:                              ;   in Loop: Header=BB4_523 Depth=1
	v_and_b32_e32 v12, 0xffff, v16
	v_or_b32_e32 v87, 0x10000, v16
	s_delay_alu instid0(VALU_DEP_2) | instskip(NEXT) | instid1(VALU_DEP_1)
	v_cmp_eq_u32_e64 s10, 0, v12
	v_cndmask_b32_e64 v12, v87, v16, s10
; %bb.812:                              ;   in Loop: Header=BB4_523 Depth=1
	s_or_b32 exec_lo, exec_lo, s12
	v_lshlrev_b32_e32 v87, 16, v13
	s_delay_alu instid0(VALU_DEP_1) | instskip(NEXT) | instid1(VALU_DEP_1)
	v_dual_max_num_f32 v87, v87, v87 :: v_dual_lshlrev_b32 v16, 16, v17
	v_max_num_f32_e32 v16, v16, v16
	s_delay_alu instid0(VALU_DEP_1) | instskip(NEXT) | instid1(VALU_DEP_1)
	v_dual_min_num_f32 v98, v87, v16 :: v_dual_max_num_f32 v16, v87, v16
	v_cndmask_b32_e32 v87, v16, v98, vcc_lo
	s_delay_alu instid0(VALU_DEP_1) | instskip(NEXT) | instid1(VALU_DEP_1)
	v_and_b32_e32 v16, 0x7f800000, v87
	v_cmp_ne_u32_e64 s10, 0x7f800000, v16
                                        ; implicit-def: $vgpr16
	s_and_saveexec_b32 s12, s10
	s_delay_alu instid0(SALU_CYCLE_1)
	s_xor_b32 s10, exec_lo, s12
; %bb.813:                              ;   in Loop: Header=BB4_523 Depth=1
	v_bfe_u32 v16, v87, 16, 1
	s_delay_alu instid0(VALU_DEP_1)
	v_add3_u32 v16, v87, v16, 0x7fff
                                        ; implicit-def: $vgpr87
; %bb.814:                              ;   in Loop: Header=BB4_523 Depth=1
	s_and_not1_saveexec_b32 s12, s10
; %bb.815:                              ;   in Loop: Header=BB4_523 Depth=1
	v_and_b32_e32 v16, 0xffff, v87
	v_or_b32_e32 v98, 0x10000, v87
	s_delay_alu instid0(VALU_DEP_2) | instskip(NEXT) | instid1(VALU_DEP_1)
	v_cmp_eq_u32_e64 s10, 0, v16
	v_cndmask_b32_e64 v16, v98, v87, s10
; %bb.816:                              ;   in Loop: Header=BB4_523 Depth=1
	s_or_b32 exec_lo, exec_lo, s12
	v_and_b32_e32 v17, 0xffff0000, v17
	v_and_b32_e32 v13, 0xffff0000, v13
	s_delay_alu instid0(VALU_DEP_2) | instskip(NEXT) | instid1(VALU_DEP_2)
	v_max_num_f32_e32 v17, v17, v17
	v_max_num_f32_e32 v13, v13, v13
	s_delay_alu instid0(VALU_DEP_1) | instskip(NEXT) | instid1(VALU_DEP_1)
	v_dual_min_num_f32 v87, v13, v17 :: v_dual_max_num_f32 v13, v13, v17
	v_cndmask_b32_e32 v17, v13, v87, vcc_lo
	s_delay_alu instid0(VALU_DEP_1) | instskip(NEXT) | instid1(VALU_DEP_1)
	v_and_b32_e32 v13, 0x7f800000, v17
	v_cmp_ne_u32_e32 vcc_lo, 0x7f800000, v13
                                        ; implicit-def: $vgpr13
	s_and_saveexec_b32 s10, vcc_lo
	s_delay_alu instid0(SALU_CYCLE_1)
	s_xor_b32 s10, exec_lo, s10
; %bb.817:                              ;   in Loop: Header=BB4_523 Depth=1
	v_bfe_u32 v13, v17, 16, 1
	s_delay_alu instid0(VALU_DEP_1)
	v_add3_u32 v13, v17, v13, 0x7fff
                                        ; implicit-def: $vgpr17
; %bb.818:                              ;   in Loop: Header=BB4_523 Depth=1
	s_and_not1_saveexec_b32 s10, s10
; %bb.819:                              ;   in Loop: Header=BB4_523 Depth=1
	v_and_b32_e32 v13, 0xffff, v17
	v_or_b32_e32 v87, 0x10000, v17
	s_delay_alu instid0(VALU_DEP_2) | instskip(NEXT) | instid1(VALU_DEP_2)
	v_cmp_eq_u32_e32 vcc_lo, 0, v13
	v_cndmask_b32_e32 v13, v87, v17, vcc_lo
; %bb.820:                              ;   in Loop: Header=BB4_523 Depth=1
	s_or_b32 exec_lo, exec_lo, s10
	v_dual_lshrrev_b32 v14, 16, v14 :: v_dual_lshrrev_b32 v15, 16, v15
	v_dual_lshrrev_b32 v17, 16, v86 :: v_dual_lshrrev_b32 v16, 16, v16
	s_delay_alu instid0(VALU_DEP_2) | instskip(NEXT) | instid1(VALU_DEP_3)
	v_and_or_b32 v11, 0xffff0000, v11, v14
	v_and_or_b32 v12, 0xffff0000, v12, v15
	s_delay_alu instid0(VALU_DEP_3) | instskip(NEXT) | instid1(VALU_DEP_4)
	v_and_or_b32 v10, 0xffff0000, v10, v17
	v_and_or_b32 v13, 0xffff0000, v13, v16
	global_store_b128 v[96:97], v[10:13], off th:TH_STORE_NT
.LBB4_821:                              ;   in Loop: Header=BB4_523 Depth=1
	s_wait_xcnt 0x0
	s_or_b32 exec_lo, exec_lo, s11
	v_and_b32_e32 v11, 14, v100
	s_mov_b32 s11, s40
	s_mov_b32 s10, exec_lo
                                        ; implicit-def: $vgpr16
                                        ; implicit-def: $vgpr10
                                        ; implicit-def: $vgpr17
	s_delay_alu instid0(VALU_DEP_1) | instskip(NEXT) | instid1(VALU_DEP_1)
	v_cndmask_b32_e64 v115, v118, v11, s7
	v_cmpx_ne_u32_e32 0, v115
	s_cbranch_execz .LBB4_823
; %bb.822:                              ;   in Loop: Header=BB4_523 Depth=1
	v_cmp_lt_i32_e32 vcc_lo, 0, v119
	s_or_b32 s11, s40, exec_lo
	v_dual_cndmask_b32 v10, 0, v18 :: v_dual_sub_nc_u32 v11, v118, v11
	s_delay_alu instid0(VALU_DEP_1) | instskip(NEXT) | instid1(VALU_DEP_2)
	v_cndmask_b32_e64 v11, 0, v11, s7
	v_sub_nc_u32_e32 v10, v10, v119
	s_delay_alu instid0(VALU_DEP_2) | instskip(NEXT) | instid1(VALU_DEP_2)
	v_add3_u32 v16, v116, v101, v11
	v_lshl_add_u32 v10, v10, 5, v117
	s_delay_alu instid0(VALU_DEP_1) | instskip(NEXT) | instid1(VALU_DEP_1)
	v_ashrrev_i32_e32 v12, 31, v10
	v_lshrrev_b32_e32 v12, 27, v12
	s_delay_alu instid0(VALU_DEP_1) | instskip(NEXT) | instid1(VALU_DEP_1)
	v_add_nc_u32_e32 v12, v10, v12
	v_and_b32_e32 v12, 0xffffffe0, v12
	s_delay_alu instid0(VALU_DEP_1)
	v_sub_nc_u32_e32 v17, v10, v12
.LBB4_823:                              ;   in Loop: Header=BB4_523 Depth=1
	s_or_b32 exec_lo, exec_lo, s10
	s_delay_alu instid0(SALU_CYCLE_1) | instskip(SKIP_1) | instid1(SALU_CYCLE_1)
	s_and_not1_b32 s7, s40, exec_lo
	s_and_b32 s10, s11, exec_lo
	s_or_b32 s40, s7, s10
.LBB4_824:                              ;   in Loop: Header=BB4_523 Depth=1
	s_or_b32 exec_lo, exec_lo, s41
	s_and_saveexec_b32 s14, s40
	s_cbranch_execz .LBB4_908
.LBB4_825:                              ;   in Loop: Header=BB4_523 Depth=1
	s_delay_alu instid0(VALU_DEP_1) | instskip(SKIP_2) | instid1(VALU_DEP_3)
	v_dual_ashrrev_i32 v11, 31, v10 :: v_dual_ashrrev_i32 v12, 31, v115
	v_dual_mov_b32 v118, 0 :: v_dual_mov_b32 v116, 0
	v_dual_mov_b32 v119, 0 :: v_dual_mov_b32 v117, 0
	v_dual_lshrrev_b32 v11, 27, v11 :: v_dual_mov_b32 v97, 0
	s_mov_b32 s7, 0
	s_mov_b32 s10, exec_lo
	s_delay_alu instid0(VALU_DEP_1) | instskip(SKIP_1) | instid1(VALU_DEP_1)
	v_dual_mov_b32 v96, 0 :: v_dual_add_nc_u32 v10, v10, v11
	v_dual_lshrrev_b32 v11, 24, v12 :: v_dual_lshlrev_b32 v12, 1, v17
	v_dual_ashrrev_i32 v10, 5, v10 :: v_dual_add_nc_u32 v11, v115, v11
	s_wait_dscnt 0x0
	s_delay_alu instid0(VALU_DEP_1) | instskip(NEXT) | instid1(VALU_DEP_1)
	v_dual_lshlrev_b32 v13, 8, v10 :: v_dual_ashrrev_i32 v86, 8, v11
	v_add3_u32 v14, v16, v12, v13
	s_delay_alu instid0(VALU_DEP_2) | instskip(NEXT) | instid1(VALU_DEP_2)
	v_dual_sub_nc_u32 v87, v86, v10 :: v_dual_mov_b32 v13, 0
	v_dual_mov_b32 v12, 0 :: v_dual_ashrrev_i32 v15, 31, v14
	s_delay_alu instid0(VALU_DEP_1) | instskip(NEXT) | instid1(VALU_DEP_3)
	v_add_nc_u64_e32 v[10:11], v[84:85], v[14:15]
	v_cmpx_lt_i32_e32 0, v87
	s_cbranch_execz .LBB4_865
; %bb.826:                              ;   in Loop: Header=BB4_523 Depth=1
	s_trap 2
	ds_load_b64 v[96:97], v0
	v_add_nc_u64_e32 v[12:13], v[14:15], v[82:83]
	s_and_b32 s7, s13, 0xff
	s_mov_b32 s15, 0
	s_cmp_eq_u32 s7, 0
	s_mov_b32 s12, 0
	s_cselect_b32 vcc_lo, -1, 0
                                        ; implicit-def: $sgpr11
                                        ; implicit-def: $vgpr40
                                        ; implicit-def: $vgpr117
                                        ; implicit-def: $vgpr101
                                        ; implicit-def: $vgpr100
                                        ; implicit-def: $vgpr98
                                        ; implicit-def: $vgpr99
	s_wait_dscnt 0x0
	v_add_nc_u64_e32 v[14:15], v[96:97], v[14:15]
                                        ; implicit-def: $vgpr96
                                        ; implicit-def: $vgpr97
	s_branch .LBB4_828
.LBB4_827:                              ;   in Loop: Header=BB4_828 Depth=2
	s_or_b32 exec_lo, exec_lo, s40
	v_dual_cndmask_b32 v118, 0, v18, s15 :: v_dual_cndmask_b32 v59, 0, v67, s15
	v_add_nc_u64_e32 v[46:47], v[12:13], v[24:25]
	v_add_nc_u64_e32 v[56:57], v[14:15], v[24:25]
	v_cndmask_b32_e64 v58, 0x100, v66, s15
	s_delay_alu instid0(VALU_DEP_4)
	v_sub_nc_u32_e32 v87, v87, v118
	s_clause 0x3
	flat_store_d16_hi_b16 v[10:11], v45 th:TH_STORE_NT
	flat_store_d16_hi_b16 v[10:11], v42 offset:64 th:TH_STORE_NT
	flat_store_d16_hi_b16 v[10:11], v119 offset:128 th:TH_STORE_NT
	;; [unrolled: 1-line block ×3, first 2 shown]
	v_cndmask_b32_e64 v13, v13, v47, s15
	v_cmp_gt_i32_e64 s7, 1, v87
	s_wait_xcnt 0x0
	v_add_nc_u64_e32 v[10:11], v[10:11], v[58:59]
	v_dual_cndmask_b32 v12, v12, v46, s15 :: v_dual_cndmask_b32 v15, v15, v57, s15
	v_cndmask_b32_e64 v14, v14, v56, s15
	s_or_b32 s12, s7, s12
	s_and_not1_b32 s7, s11, exec_lo
	s_and_b32 s11, s15, exec_lo
	s_delay_alu instid0(SALU_CYCLE_1)
	s_or_b32 s11, s7, s11
	s_and_not1_b32 exec_lo, exec_lo, s12
	s_cbranch_execz .LBB4_864
.LBB4_828:                              ;   Parent Loop BB4_523 Depth=1
                                        ; =>  This Inner Loop Header: Depth=2
	s_clause 0x3
	flat_load_u16 v45, v[12:13] th:TH_LOAD_NT
	flat_load_u16 v42, v[12:13] offset:64 th:TH_LOAD_NT
	flat_load_u16 v119, v[12:13] offset:128 th:TH_LOAD_NT
	;; [unrolled: 1-line block ×3, first 2 shown]
	s_clause 0x3
	flat_load_u16 v46, v[14:15] th:TH_LOAD_NT
	flat_load_u16 v43, v[14:15] offset:64 th:TH_LOAD_NT
	flat_load_u16 v41, v[14:15] offset:128 th:TH_LOAD_NT
	;; [unrolled: 1-line block ×3, first 2 shown]
	s_wait_xcnt 0x0
	s_and_saveexec_b32 s40, s15
	s_cbranch_execz .LBB4_846
; %bb.829:                              ;   in Loop: Header=BB4_828 Depth=2
	v_lshlrev_b32_e32 v47, 16, v96
	s_delay_alu instid0(VALU_DEP_1) | instskip(NEXT) | instid1(VALU_DEP_1)
	v_dual_max_num_f32 v47, v47, v47 :: v_dual_lshlrev_b32 v40, 16, v40
	v_max_num_f32_e32 v40, v40, v40
	s_delay_alu instid0(VALU_DEP_1) | instskip(NEXT) | instid1(VALU_DEP_1)
	v_dual_min_num_f32 v56, v40, v47 :: v_dual_max_num_f32 v40, v40, v47
	v_cndmask_b32_e32 v47, v40, v56, vcc_lo
	s_delay_alu instid0(VALU_DEP_1) | instskip(NEXT) | instid1(VALU_DEP_1)
	v_and_b32_e32 v40, 0x7f800000, v47
	v_cmp_ne_u32_e64 s7, 0x7f800000, v40
                                        ; implicit-def: $vgpr40
	s_and_saveexec_b32 s15, s7
	s_delay_alu instid0(SALU_CYCLE_1)
	s_xor_b32 s7, exec_lo, s15
; %bb.830:                              ;   in Loop: Header=BB4_828 Depth=2
	v_bfe_u32 v40, v47, 16, 1
	s_delay_alu instid0(VALU_DEP_1)
	v_add3_u32 v40, v47, v40, 0x7fff
                                        ; implicit-def: $vgpr47
; %bb.831:                              ;   in Loop: Header=BB4_828 Depth=2
	s_and_not1_saveexec_b32 s15, s7
; %bb.832:                              ;   in Loop: Header=BB4_828 Depth=2
	v_and_b32_e32 v40, 0xffff, v47
	v_or_b32_e32 v56, 0x10000, v47
	s_delay_alu instid0(VALU_DEP_2) | instskip(NEXT) | instid1(VALU_DEP_1)
	v_cmp_eq_u32_e64 s7, 0, v40
	v_cndmask_b32_e64 v40, v56, v47, s7
; %bb.833:                              ;   in Loop: Header=BB4_828 Depth=2
	s_or_b32 exec_lo, exec_lo, s15
	v_lshlrev_b32_e32 v47, 16, v97
	s_delay_alu instid0(VALU_DEP_1) | instskip(NEXT) | instid1(VALU_DEP_1)
	v_dual_lshlrev_b32 v117, 16, v117 :: v_dual_max_num_f32 v47, v47, v47
	v_max_num_f32_e32 v117, v117, v117
	s_delay_alu instid0(VALU_DEP_1) | instskip(NEXT) | instid1(VALU_DEP_1)
	v_dual_min_num_f32 v56, v117, v47 :: v_dual_max_num_f32 v117, v117, v47
	v_cndmask_b32_e32 v47, v117, v56, vcc_lo
	s_delay_alu instid0(VALU_DEP_1) | instskip(NEXT) | instid1(VALU_DEP_1)
	v_and_b32_e32 v117, 0x7f800000, v47
	v_cmp_ne_u32_e64 s7, 0x7f800000, v117
                                        ; implicit-def: $vgpr117
	s_and_saveexec_b32 s15, s7
	s_delay_alu instid0(SALU_CYCLE_1)
	s_xor_b32 s7, exec_lo, s15
; %bb.834:                              ;   in Loop: Header=BB4_828 Depth=2
	v_bfe_u32 v117, v47, 16, 1
	s_delay_alu instid0(VALU_DEP_1)
	v_add3_u32 v117, v47, v117, 0x7fff
                                        ; implicit-def: $vgpr47
; %bb.835:                              ;   in Loop: Header=BB4_828 Depth=2
	s_and_not1_saveexec_b32 s15, s7
; %bb.836:                              ;   in Loop: Header=BB4_828 Depth=2
	v_and_b32_e32 v117, 0xffff, v47
	v_or_b32_e32 v56, 0x10000, v47
	s_delay_alu instid0(VALU_DEP_2) | instskip(NEXT) | instid1(VALU_DEP_1)
	v_cmp_eq_u32_e64 s7, 0, v117
	v_cndmask_b32_e64 v117, v56, v47, s7
; %bb.837:                              ;   in Loop: Header=BB4_828 Depth=2
	s_or_b32 exec_lo, exec_lo, s15
	v_dual_lshlrev_b32 v47, 16, v98 :: v_dual_lshlrev_b32 v101, 16, v101
	s_delay_alu instid0(VALU_DEP_1) | instskip(NEXT) | instid1(VALU_DEP_1)
	v_dual_max_num_f32 v47, v47, v47 :: v_dual_max_num_f32 v101, v101, v101
	v_dual_min_num_f32 v56, v101, v47 :: v_dual_max_num_f32 v101, v101, v47
	s_delay_alu instid0(VALU_DEP_1) | instskip(NEXT) | instid1(VALU_DEP_1)
	v_cndmask_b32_e32 v47, v101, v56, vcc_lo
	v_and_b32_e32 v101, 0x7f800000, v47
	s_delay_alu instid0(VALU_DEP_1) | instskip(SKIP_1) | instid1(SALU_CYCLE_1)
	v_cmp_ne_u32_e64 s7, 0x7f800000, v101
                                        ; implicit-def: $vgpr101
	s_and_saveexec_b32 s15, s7
	s_xor_b32 s7, exec_lo, s15
; %bb.838:                              ;   in Loop: Header=BB4_828 Depth=2
	v_bfe_u32 v101, v47, 16, 1
	s_delay_alu instid0(VALU_DEP_1)
	v_add3_u32 v101, v47, v101, 0x7fff
                                        ; implicit-def: $vgpr47
; %bb.839:                              ;   in Loop: Header=BB4_828 Depth=2
	s_and_not1_saveexec_b32 s15, s7
; %bb.840:                              ;   in Loop: Header=BB4_828 Depth=2
	v_and_b32_e32 v101, 0xffff, v47
	v_or_b32_e32 v56, 0x10000, v47
	s_delay_alu instid0(VALU_DEP_2) | instskip(NEXT) | instid1(VALU_DEP_1)
	v_cmp_eq_u32_e64 s7, 0, v101
	v_cndmask_b32_e64 v101, v56, v47, s7
; %bb.841:                              ;   in Loop: Header=BB4_828 Depth=2
	s_or_b32 exec_lo, exec_lo, s15
	v_dual_lshlrev_b32 v47, 16, v99 :: v_dual_lshlrev_b32 v100, 16, v100
	s_delay_alu instid0(VALU_DEP_1) | instskip(NEXT) | instid1(VALU_DEP_1)
	v_dual_max_num_f32 v47, v47, v47 :: v_dual_max_num_f32 v100, v100, v100
	v_dual_min_num_f32 v56, v100, v47 :: v_dual_max_num_f32 v100, v100, v47
	s_delay_alu instid0(VALU_DEP_1) | instskip(NEXT) | instid1(VALU_DEP_1)
	v_cndmask_b32_e32 v47, v100, v56, vcc_lo
	v_and_b32_e32 v100, 0x7f800000, v47
	s_delay_alu instid0(VALU_DEP_1) | instskip(SKIP_1) | instid1(SALU_CYCLE_1)
	v_cmp_ne_u32_e64 s7, 0x7f800000, v100
                                        ; implicit-def: $vgpr100
	s_and_saveexec_b32 s15, s7
	s_xor_b32 s7, exec_lo, s15
; %bb.842:                              ;   in Loop: Header=BB4_828 Depth=2
	v_bfe_u32 v100, v47, 16, 1
	s_delay_alu instid0(VALU_DEP_1)
	v_add3_u32 v100, v47, v100, 0x7fff
                                        ; implicit-def: $vgpr47
; %bb.843:                              ;   in Loop: Header=BB4_828 Depth=2
	s_and_not1_saveexec_b32 s15, s7
; %bb.844:                              ;   in Loop: Header=BB4_828 Depth=2
	v_and_b32_e32 v100, 0xffff, v47
	v_or_b32_e32 v56, 0x10000, v47
	s_delay_alu instid0(VALU_DEP_2) | instskip(NEXT) | instid1(VALU_DEP_1)
	v_cmp_eq_u32_e64 s7, 0, v100
	v_cndmask_b32_e64 v100, v56, v47, s7
; %bb.845:                              ;   in Loop: Header=BB4_828 Depth=2
	s_or_b32 exec_lo, exec_lo, s15
	v_dual_lshrrev_b32 v40, 16, v40 :: v_dual_lshrrev_b32 v117, 16, v117
	s_delay_alu instid0(VALU_DEP_2)
	v_dual_lshrrev_b32 v101, 16, v101 :: v_dual_lshrrev_b32 v100, 16, v100
	s_clause 0x3
	flat_store_b16 v[10:11], v40 th:TH_STORE_NT
	flat_store_b16 v[10:11], v117 offset:64 th:TH_STORE_NT
	flat_store_b16 v[10:11], v101 offset:128 th:TH_STORE_NT
	;; [unrolled: 1-line block ×3, first 2 shown]
	s_wait_xcnt 0x0
	v_add_nc_u64_e32 v[10:11], v[10:11], v[66:67]
.LBB4_846:                              ;   in Loop: Header=BB4_828 Depth=2
	s_or_b32 exec_lo, exec_lo, s40
	v_sub_nc_u32_e32 v87, v87, v18
	v_add_nc_u64_e32 v[12:13], v[12:13], v[66:67]
	v_add_nc_u64_e32 v[14:15], v[14:15], v[66:67]
	s_delay_alu instid0(VALU_DEP_3)
	v_cmp_lt_i32_e64 s15, 0, v87
	s_and_saveexec_b32 s7, s15
	s_cbranch_execz .LBB4_848
; %bb.847:                              ;   in Loop: Header=BB4_828 Depth=2
	s_clause 0x3
	flat_load_u16 v40, v[12:13] th:TH_LOAD_NT
	flat_load_u16 v117, v[12:13] offset:64 th:TH_LOAD_NT
	flat_load_u16 v101, v[12:13] offset:128 th:TH_LOAD_NT
	;; [unrolled: 1-line block ×3, first 2 shown]
	s_clause 0x3
	flat_load_u16 v96, v[14:15] th:TH_LOAD_NT
	flat_load_u16 v97, v[14:15] offset:64 th:TH_LOAD_NT
	flat_load_u16 v98, v[14:15] offset:128 th:TH_LOAD_NT
	;; [unrolled: 1-line block ×3, first 2 shown]
	s_wait_xcnt 0x4
	v_add_nc_u64_e32 v[12:13], 0x100, v[12:13]
	s_wait_xcnt 0x0
	v_add_nc_u64_e32 v[14:15], 0x100, v[14:15]
.LBB4_848:                              ;   in Loop: Header=BB4_828 Depth=2
	s_or_b32 exec_lo, exec_lo, s7
	s_wait_loadcnt_dscnt 0x303
	v_dual_lshlrev_b32 v46, 16, v46 :: v_dual_lshlrev_b32 v45, 16, v45
	s_delay_alu instid0(VALU_DEP_1) | instskip(NEXT) | instid1(VALU_DEP_1)
	v_dual_max_num_f32 v46, v46, v46 :: v_dual_max_num_f32 v45, v45, v45
	v_dual_min_num_f32 v47, v45, v46 :: v_dual_max_num_f32 v45, v45, v46
	s_delay_alu instid0(VALU_DEP_1) | instskip(NEXT) | instid1(VALU_DEP_1)
	v_cndmask_b32_e32 v46, v45, v47, vcc_lo
	v_and_b32_e32 v45, 0x7f800000, v46
	s_delay_alu instid0(VALU_DEP_1) | instskip(SKIP_1) | instid1(SALU_CYCLE_1)
	v_cmp_ne_u32_e64 s7, 0x7f800000, v45
                                        ; implicit-def: $vgpr45
	s_and_saveexec_b32 s40, s7
	s_xor_b32 s7, exec_lo, s40
; %bb.849:                              ;   in Loop: Header=BB4_828 Depth=2
	v_bfe_u32 v45, v46, 16, 1
	s_delay_alu instid0(VALU_DEP_1)
	v_add3_u32 v45, v46, v45, 0x7fff
                                        ; implicit-def: $vgpr46
; %bb.850:                              ;   in Loop: Header=BB4_828 Depth=2
	s_and_not1_saveexec_b32 s40, s7
; %bb.851:                              ;   in Loop: Header=BB4_828 Depth=2
	v_and_b32_e32 v45, 0xffff, v46
	v_or_b32_e32 v47, 0x10000, v46
	s_delay_alu instid0(VALU_DEP_2) | instskip(NEXT) | instid1(VALU_DEP_1)
	v_cmp_eq_u32_e64 s7, 0, v45
	v_cndmask_b32_e64 v45, v47, v46, s7
; %bb.852:                              ;   in Loop: Header=BB4_828 Depth=2
	s_or_b32 exec_lo, exec_lo, s40
	s_wait_loadcnt_dscnt 0x202
	v_dual_lshlrev_b32 v43, 16, v43 :: v_dual_lshlrev_b32 v42, 16, v42
	s_delay_alu instid0(VALU_DEP_1) | instskip(NEXT) | instid1(VALU_DEP_1)
	v_dual_max_num_f32 v43, v43, v43 :: v_dual_max_num_f32 v42, v42, v42
	v_dual_min_num_f32 v46, v42, v43 :: v_dual_max_num_f32 v42, v42, v43
	s_delay_alu instid0(VALU_DEP_1) | instskip(NEXT) | instid1(VALU_DEP_1)
	v_cndmask_b32_e32 v43, v42, v46, vcc_lo
	v_and_b32_e32 v42, 0x7f800000, v43
	s_delay_alu instid0(VALU_DEP_1) | instskip(SKIP_1) | instid1(SALU_CYCLE_1)
	v_cmp_ne_u32_e64 s7, 0x7f800000, v42
                                        ; implicit-def: $vgpr42
	s_and_saveexec_b32 s40, s7
	s_xor_b32 s7, exec_lo, s40
; %bb.853:                              ;   in Loop: Header=BB4_828 Depth=2
	v_bfe_u32 v42, v43, 16, 1
	s_delay_alu instid0(VALU_DEP_1)
	v_add3_u32 v42, v43, v42, 0x7fff
                                        ; implicit-def: $vgpr43
; %bb.854:                              ;   in Loop: Header=BB4_828 Depth=2
	s_and_not1_saveexec_b32 s40, s7
; %bb.855:                              ;   in Loop: Header=BB4_828 Depth=2
	v_and_b32_e32 v42, 0xffff, v43
	v_or_b32_e32 v46, 0x10000, v43
	s_delay_alu instid0(VALU_DEP_2) | instskip(NEXT) | instid1(VALU_DEP_1)
	v_cmp_eq_u32_e64 s7, 0, v42
	v_cndmask_b32_e64 v42, v46, v43, s7
; %bb.856:                              ;   in Loop: Header=BB4_828 Depth=2
	s_or_b32 exec_lo, exec_lo, s40
	s_wait_loadcnt_dscnt 0x101
	v_dual_lshlrev_b32 v41, 16, v41 :: v_dual_lshlrev_b32 v119, 16, v119
	s_delay_alu instid0(VALU_DEP_1) | instskip(NEXT) | instid1(VALU_DEP_1)
	v_dual_max_num_f32 v41, v41, v41 :: v_dual_max_num_f32 v119, v119, v119
	v_dual_min_num_f32 v43, v119, v41 :: v_dual_max_num_f32 v119, v119, v41
	s_delay_alu instid0(VALU_DEP_1) | instskip(NEXT) | instid1(VALU_DEP_1)
	v_cndmask_b32_e32 v41, v119, v43, vcc_lo
	v_and_b32_e32 v119, 0x7f800000, v41
	s_delay_alu instid0(VALU_DEP_1) | instskip(SKIP_1) | instid1(SALU_CYCLE_1)
	v_cmp_ne_u32_e64 s7, 0x7f800000, v119
                                        ; implicit-def: $vgpr119
	s_and_saveexec_b32 s40, s7
	s_xor_b32 s7, exec_lo, s40
; %bb.857:                              ;   in Loop: Header=BB4_828 Depth=2
	v_bfe_u32 v119, v41, 16, 1
	s_delay_alu instid0(VALU_DEP_1)
	v_add3_u32 v119, v41, v119, 0x7fff
                                        ; implicit-def: $vgpr41
; %bb.858:                              ;   in Loop: Header=BB4_828 Depth=2
	s_and_not1_saveexec_b32 s40, s7
; %bb.859:                              ;   in Loop: Header=BB4_828 Depth=2
	v_and_b32_e32 v119, 0xffff, v41
	v_or_b32_e32 v43, 0x10000, v41
	s_delay_alu instid0(VALU_DEP_2) | instskip(NEXT) | instid1(VALU_DEP_1)
	v_cmp_eq_u32_e64 s7, 0, v119
	v_cndmask_b32_e64 v119, v43, v41, s7
; %bb.860:                              ;   in Loop: Header=BB4_828 Depth=2
	s_or_b32 exec_lo, exec_lo, s40
	s_wait_loadcnt_dscnt 0x0
	v_dual_lshlrev_b32 v118, 16, v118 :: v_dual_lshlrev_b32 v116, 16, v116
	s_delay_alu instid0(VALU_DEP_1) | instskip(NEXT) | instid1(VALU_DEP_1)
	v_dual_max_num_f32 v118, v118, v118 :: v_dual_max_num_f32 v116, v116, v116
	v_dual_min_num_f32 v41, v116, v118 :: v_dual_max_num_f32 v116, v116, v118
	s_delay_alu instid0(VALU_DEP_1) | instskip(NEXT) | instid1(VALU_DEP_1)
	v_cndmask_b32_e32 v118, v116, v41, vcc_lo
	v_and_b32_e32 v116, 0x7f800000, v118
	s_delay_alu instid0(VALU_DEP_1) | instskip(SKIP_1) | instid1(SALU_CYCLE_1)
	v_cmp_ne_u32_e64 s7, 0x7f800000, v116
                                        ; implicit-def: $vgpr116
	s_and_saveexec_b32 s40, s7
	s_xor_b32 s7, exec_lo, s40
; %bb.861:                              ;   in Loop: Header=BB4_828 Depth=2
	v_bfe_u32 v116, v118, 16, 1
	s_delay_alu instid0(VALU_DEP_1)
	v_add3_u32 v116, v118, v116, 0x7fff
                                        ; implicit-def: $vgpr118
; %bb.862:                              ;   in Loop: Header=BB4_828 Depth=2
	s_and_not1_saveexec_b32 s40, s7
	s_cbranch_execz .LBB4_827
; %bb.863:                              ;   in Loop: Header=BB4_828 Depth=2
	v_and_b32_e32 v116, 0xffff, v118
	v_or_b32_e32 v41, 0x10000, v118
	s_delay_alu instid0(VALU_DEP_2) | instskip(NEXT) | instid1(VALU_DEP_1)
	v_cmp_eq_u32_e64 s7, 0, v116
	v_cndmask_b32_e64 v116, v41, v118, s7
	s_branch .LBB4_827
.LBB4_864:                              ;   in Loop: Header=BB4_523 Depth=1
	s_or_b32 exec_lo, exec_lo, s12
	v_dual_lshlrev_b32 v118, 16, v40 :: v_dual_lshlrev_b32 v116, 16, v117
	v_dual_lshlrev_b32 v119, 16, v96 :: v_dual_lshlrev_b32 v117, 16, v97
	;; [unrolled: 1-line block ×4, first 2 shown]
	s_and_b32 s7, s11, exec_lo
.LBB4_865:                              ;   in Loop: Header=BB4_523 Depth=1
	s_or_b32 exec_lo, exec_lo, s10
	s_and_saveexec_b32 s10, s7
	s_cbranch_execz .LBB4_883
; %bb.866:                              ;   in Loop: Header=BB4_523 Depth=1
	v_dual_max_num_f32 v14, v119, v119 :: v_dual_max_num_f32 v15, v118, v118
	s_and_b32 s7, s13, 0xff
	s_delay_alu instid0(SALU_CYCLE_1) | instskip(NEXT) | instid1(VALU_DEP_1)
	s_cmp_eq_u32 s7, 0
	v_dual_min_num_f32 v98, v15, v14 :: v_dual_max_num_f32 v14, v15, v14
	s_cselect_b32 vcc_lo, -1, 0
	s_delay_alu instid0(VALU_DEP_1) | instskip(NEXT) | instid1(VALU_DEP_1)
	v_cndmask_b32_e32 v15, v14, v98, vcc_lo
	v_and_b32_e32 v14, 0x7f800000, v15
	s_delay_alu instid0(VALU_DEP_1) | instskip(SKIP_1) | instid1(SALU_CYCLE_1)
	v_cmp_ne_u32_e64 s7, 0x7f800000, v14
                                        ; implicit-def: $vgpr14
	s_and_saveexec_b32 s11, s7
	s_xor_b32 s7, exec_lo, s11
; %bb.867:                              ;   in Loop: Header=BB4_523 Depth=1
	v_bfe_u32 v14, v15, 16, 1
	s_delay_alu instid0(VALU_DEP_1)
	v_add3_u32 v14, v15, v14, 0x7fff
                                        ; implicit-def: $vgpr15
; %bb.868:                              ;   in Loop: Header=BB4_523 Depth=1
	s_and_not1_saveexec_b32 s11, s7
; %bb.869:                              ;   in Loop: Header=BB4_523 Depth=1
	v_and_b32_e32 v14, 0xffff, v15
	v_or_b32_e32 v98, 0x10000, v15
	s_delay_alu instid0(VALU_DEP_2) | instskip(NEXT) | instid1(VALU_DEP_1)
	v_cmp_eq_u32_e64 s7, 0, v14
	v_cndmask_b32_e64 v14, v98, v15, s7
; %bb.870:                              ;   in Loop: Header=BB4_523 Depth=1
	s_or_b32 exec_lo, exec_lo, s11
	v_dual_max_num_f32 v15, v117, v117 :: v_dual_max_num_f32 v98, v116, v116
	s_delay_alu instid0(VALU_DEP_1) | instskip(NEXT) | instid1(VALU_DEP_1)
	v_dual_min_num_f32 v99, v98, v15 :: v_dual_max_num_f32 v15, v98, v15
	v_cndmask_b32_e32 v98, v15, v99, vcc_lo
	s_delay_alu instid0(VALU_DEP_1) | instskip(NEXT) | instid1(VALU_DEP_1)
	v_and_b32_e32 v15, 0x7f800000, v98
	v_cmp_ne_u32_e64 s7, 0x7f800000, v15
                                        ; implicit-def: $vgpr15
	s_and_saveexec_b32 s11, s7
	s_delay_alu instid0(SALU_CYCLE_1)
	s_xor_b32 s7, exec_lo, s11
; %bb.871:                              ;   in Loop: Header=BB4_523 Depth=1
	v_bfe_u32 v15, v98, 16, 1
	s_delay_alu instid0(VALU_DEP_1)
	v_add3_u32 v15, v98, v15, 0x7fff
                                        ; implicit-def: $vgpr98
; %bb.872:                              ;   in Loop: Header=BB4_523 Depth=1
	s_and_not1_saveexec_b32 s11, s7
; %bb.873:                              ;   in Loop: Header=BB4_523 Depth=1
	v_and_b32_e32 v15, 0xffff, v98
	v_or_b32_e32 v99, 0x10000, v98
	s_delay_alu instid0(VALU_DEP_2) | instskip(NEXT) | instid1(VALU_DEP_1)
	v_cmp_eq_u32_e64 s7, 0, v15
	v_cndmask_b32_e64 v15, v99, v98, s7
; %bb.874:                              ;   in Loop: Header=BB4_523 Depth=1
	s_or_b32 exec_lo, exec_lo, s11
	v_dual_max_num_f32 v97, v97, v97 :: v_dual_max_num_f32 v96, v96, v96
	s_delay_alu instid0(VALU_DEP_1) | instskip(NEXT) | instid1(VALU_DEP_1)
	v_dual_min_num_f32 v98, v96, v97 :: v_dual_max_num_f32 v96, v96, v97
	v_cndmask_b32_e32 v97, v96, v98, vcc_lo
	s_delay_alu instid0(VALU_DEP_1) | instskip(NEXT) | instid1(VALU_DEP_1)
	v_and_b32_e32 v96, 0x7f800000, v97
	v_cmp_ne_u32_e64 s7, 0x7f800000, v96
                                        ; implicit-def: $vgpr96
	s_and_saveexec_b32 s11, s7
	s_delay_alu instid0(SALU_CYCLE_1)
	s_xor_b32 s7, exec_lo, s11
; %bb.875:                              ;   in Loop: Header=BB4_523 Depth=1
	v_bfe_u32 v96, v97, 16, 1
	s_delay_alu instid0(VALU_DEP_1)
	v_add3_u32 v96, v97, v96, 0x7fff
                                        ; implicit-def: $vgpr97
; %bb.876:                              ;   in Loop: Header=BB4_523 Depth=1
	s_and_not1_saveexec_b32 s11, s7
; %bb.877:                              ;   in Loop: Header=BB4_523 Depth=1
	v_and_b32_e32 v96, 0xffff, v97
	v_or_b32_e32 v98, 0x10000, v97
	s_delay_alu instid0(VALU_DEP_2) | instskip(NEXT) | instid1(VALU_DEP_1)
	v_cmp_eq_u32_e64 s7, 0, v96
	v_cndmask_b32_e64 v96, v98, v97, s7
; %bb.878:                              ;   in Loop: Header=BB4_523 Depth=1
	s_or_b32 exec_lo, exec_lo, s11
	v_dual_max_num_f32 v13, v13, v13 :: v_dual_max_num_f32 v12, v12, v12
	s_delay_alu instid0(VALU_DEP_1) | instskip(NEXT) | instid1(VALU_DEP_1)
	v_dual_min_num_f32 v97, v12, v13 :: v_dual_max_num_f32 v12, v12, v13
	v_cndmask_b32_e32 v12, v12, v97, vcc_lo
	s_delay_alu instid0(VALU_DEP_1) | instskip(NEXT) | instid1(VALU_DEP_1)
	v_and_b32_e32 v13, 0x7f800000, v12
	v_cmp_ne_u32_e32 vcc_lo, 0x7f800000, v13
                                        ; implicit-def: $vgpr13
	s_and_saveexec_b32 s7, vcc_lo
	s_delay_alu instid0(SALU_CYCLE_1)
	s_xor_b32 s7, exec_lo, s7
; %bb.879:                              ;   in Loop: Header=BB4_523 Depth=1
	v_bfe_u32 v13, v12, 16, 1
	s_delay_alu instid0(VALU_DEP_1)
	v_add3_u32 v13, v12, v13, 0x7fff
                                        ; implicit-def: $vgpr12
; %bb.880:                              ;   in Loop: Header=BB4_523 Depth=1
	s_and_not1_saveexec_b32 s7, s7
; %bb.881:                              ;   in Loop: Header=BB4_523 Depth=1
	v_and_b32_e32 v13, 0xffff, v12
	v_or_b32_e32 v97, 0x10000, v12
	s_delay_alu instid0(VALU_DEP_2) | instskip(NEXT) | instid1(VALU_DEP_2)
	v_cmp_eq_u32_e32 vcc_lo, 0, v13
	v_cndmask_b32_e32 v13, v97, v12, vcc_lo
; %bb.882:                              ;   in Loop: Header=BB4_523 Depth=1
	s_or_b32 exec_lo, exec_lo, s7
	s_clause 0x3
	flat_store_d16_hi_b16 v[10:11], v14 th:TH_STORE_NT
	flat_store_d16_hi_b16 v[10:11], v15 offset:64 th:TH_STORE_NT
	flat_store_d16_hi_b16 v[10:11], v96 offset:128 th:TH_STORE_NT
	;; [unrolled: 1-line block ×3, first 2 shown]
.LBB4_883:                              ;   in Loop: Header=BB4_523 Depth=1
	s_wait_xcnt 0x0
	s_or_b32 exec_lo, exec_lo, s10
	v_lshlrev_b32_e32 v10, 8, v86
	s_delay_alu instid0(VALU_DEP_1)
	v_cmp_ne_u32_e32 vcc_lo, v115, v10
	s_and_b32 exec_lo, exec_lo, vcc_lo
	s_cbranch_execz .LBB4_908
; %bb.884:                              ;   in Loop: Header=BB4_523 Depth=1
	v_lshlrev_b32_e32 v11, 5, v87
	s_delay_alu instid0(VALU_DEP_1) | instskip(NEXT) | instid1(VALU_DEP_1)
	v_sub_nc_u32_e32 v11, v17, v11
	v_ashrrev_i32_e32 v12, 31, v11
	s_delay_alu instid0(VALU_DEP_1) | instskip(NEXT) | instid1(VALU_DEP_1)
	v_lshrrev_b32_e32 v12, 27, v12
	v_add_nc_u32_e32 v12, v11, v12
	s_delay_alu instid0(VALU_DEP_1) | instskip(NEXT) | instid1(VALU_DEP_1)
	v_and_b32_e32 v13, 0x7fffffe0, v12
	v_dual_lshlrev_b32 v12, 1, v12 :: v_dual_sub_nc_u32 v11, v11, v13
	s_delay_alu instid0(VALU_DEP_1) | instskip(NEXT) | instid1(VALU_DEP_2)
	v_and_b32_e32 v12, 0xffffffc0, v12
	v_lshlrev_b32_e32 v11, 1, v11
	s_delay_alu instid0(VALU_DEP_1) | instskip(NEXT) | instid1(VALU_DEP_1)
	v_add3_u32 v10, v12, v11, v10
	v_sub_nc_u32_e32 v17, v115, v10
	s_delay_alu instid0(VALU_DEP_1)
	v_cmp_lt_i32_e32 vcc_lo, 1, v17
	s_and_b32 exec_lo, exec_lo, vcc_lo
	s_cbranch_execz .LBB4_908
; %bb.885:                              ;   in Loop: Header=BB4_523 Depth=1
	s_trap 2
	ds_load_b64 v[12:13], v0
	v_add_nc_u32_e32 v86, v10, v16
	s_and_b32 s7, s13, 0xff
	s_mov_b32 s41, 0
	s_cmp_eq_u32 s7, 0
	s_mov_b32 s15, 0
	v_ashrrev_i32_e32 v87, 31, v86
	s_cselect_b32 s7, -1, 0
                                        ; implicit-def: $sgpr40
	s_delay_alu instid0(VALU_DEP_1)
	v_add_nc_u64_e32 v[10:11], v[84:85], v[86:87]
	v_add_nc_u64_e32 v[14:15], v[86:87], v[82:83]
	s_wait_dscnt 0x0
	v_add_nc_u64_e32 v[12:13], v[12:13], v[86:87]
	s_branch .LBB4_887
.LBB4_886:                              ;   in Loop: Header=BB4_887 Depth=2
	s_or_b32 exec_lo, exec_lo, s10
	s_delay_alu instid0(VALU_DEP_1) | instskip(SKIP_2) | instid1(VALU_DEP_3)
	v_dual_cndmask_b32 v86, 0, v112, s41 :: v_dual_lshrrev_b32 v96, 16, v17
	v_add_nc_u64_e32 v[82:83], v[12:13], v[52:53]
	v_dual_cndmask_b32 v85, 0, v69, s41 :: v_dual_cndmask_b32 v84, 64, v68, s41
	v_sub_nc_u32_e32 v17, v16, v86
	v_add_nc_u64_e32 v[86:87], v[14:15], v[52:53]
	flat_store_b16 v[10:11], v96 th:TH_STORE_NT
	scratch_store_b16 off, v96, s33 offset:80
	v_cndmask_b32_e64 v13, v13, v83, s41
	v_cmp_gt_i32_e32 vcc_lo, 2, v17
	s_wait_xcnt 0x1
	v_add_nc_u64_e32 v[10:11], v[10:11], v[84:85]
	v_dual_cndmask_b32 v12, v12, v82, s41 :: v_dual_cndmask_b32 v15, v15, v87, s41
	v_cndmask_b32_e64 v14, v14, v86, s41
	s_or_b32 s15, vcc_lo, s15
	s_and_not1_b32 s10, s40, exec_lo
	s_and_b32 s11, s41, exec_lo
	s_delay_alu instid0(SALU_CYCLE_1)
	s_or_b32 s40, s10, s11
	s_wait_xcnt 0x0
	s_and_not1_b32 exec_lo, exec_lo, s15
	s_cbranch_execz .LBB4_902
.LBB4_887:                              ;   Parent Loop BB4_523 Depth=1
                                        ; =>  This Loop Header: Depth=2
                                        ;       Child Loop BB4_888 Depth 3
                                        ;       Child Loop BB4_897 Depth 3
	s_add_co_i32 s10, s33, 0x50
	s_mov_b64 s[12:13], 0
	s_mov_b32 s42, s10
	s_mov_b32 s43, -1
.LBB4_888:                              ;   Parent Loop BB4_523 Depth=1
                                        ;     Parent Loop BB4_887 Depth=2
                                        ; =>    This Inner Loop Header: Depth=3
	s_cmp_eq_u32 s12, 1
	s_cselect_b32 vcc_lo, -1, 0
	s_cmp_eq_u32 s12, 0
	v_dual_cndmask_b32 v83, v15, v13 :: v_dual_cndmask_b32 v82, v14, v12
	s_cselect_b32 s10, -1, 0
	s_and_b32 s11, exec_lo, s43
	s_mov_b64 s[12:13], 1
	s_mov_b32 s43, 0
	flat_load_u16 v16, v[82:83] th:TH_LOAD_NT
	s_wait_xcnt 0x0
	v_add_nc_u64_e32 v[82:83], 64, v[82:83]
	s_delay_alu instid0(VALU_DEP_1)
	v_dual_cndmask_b32 v13, v13, v83 :: v_dual_cndmask_b32 v12, v12, v82
	v_dual_cndmask_b32 v15, v15, v83, s10 :: v_dual_cndmask_b32 v14, v14, v82, s10
	s_add_co_i32 s10, s33, 0x70
	s_mov_b32 vcc_lo, s11
	s_wait_loadcnt_dscnt 0x0
	scratch_store_b16 off, v16, s42
	s_wait_xcnt 0x0
	s_mov_b32 s42, s10
	s_cbranch_vccnz .LBB4_888
; %bb.889:                              ;   in Loop: Header=BB4_887 Depth=2
	s_and_saveexec_b32 s10, s41
	s_cbranch_execz .LBB4_895
; %bb.890:                              ;   in Loop: Header=BB4_887 Depth=2
	s_clause 0x1
	scratch_load_u16 v16, off, s33 offset:74
	scratch_load_u16 v82, off, s33 offset:72
	s_wait_loadcnt 0x0
	v_dual_lshlrev_b32 v16, 16, v16 :: v_dual_lshlrev_b32 v82, 16, v82
	s_delay_alu instid0(VALU_DEP_1) | instskip(NEXT) | instid1(VALU_DEP_1)
	v_dual_max_num_f32 v16, v16, v16 :: v_dual_max_num_f32 v82, v82, v82
	v_dual_min_num_f32 v83, v82, v16 :: v_dual_max_num_f32 v16, v82, v16
	s_delay_alu instid0(VALU_DEP_1) | instskip(NEXT) | instid1(VALU_DEP_1)
	v_cndmask_b32_e64 v16, v16, v83, s7
	v_and_b32_e32 v82, 0x7f800000, v16
	s_delay_alu instid0(VALU_DEP_1) | instskip(SKIP_2) | instid1(SALU_CYCLE_1)
	v_cmp_ne_u32_e32 vcc_lo, 0x7f800000, v82
                                        ; implicit-def: $vgpr82
	s_wait_xcnt 0x0
	s_and_saveexec_b32 s11, vcc_lo
	s_xor_b32 s11, exec_lo, s11
; %bb.891:                              ;   in Loop: Header=BB4_887 Depth=2
	v_bfe_u32 v82, v16, 16, 1
	s_delay_alu instid0(VALU_DEP_1)
	v_add3_u32 v82, v16, v82, 0x7fff
                                        ; implicit-def: $vgpr16
; %bb.892:                              ;   in Loop: Header=BB4_887 Depth=2
	s_and_not1_saveexec_b32 s11, s11
; %bb.893:                              ;   in Loop: Header=BB4_887 Depth=2
	v_and_b32_e32 v82, 0xffff, v16
	v_or_b32_e32 v83, 0x10000, v16
	s_delay_alu instid0(VALU_DEP_2) | instskip(NEXT) | instid1(VALU_DEP_2)
	v_cmp_eq_u32_e32 vcc_lo, 0, v82
	v_cndmask_b32_e32 v82, v83, v16, vcc_lo
; %bb.894:                              ;   in Loop: Header=BB4_887 Depth=2
	s_or_b32 exec_lo, exec_lo, s11
	s_delay_alu instid0(VALU_DEP_1)
	v_lshrrev_b32_e32 v16, 16, v82
	flat_store_b16 v[10:11], v16 th:TH_STORE_NT
	s_wait_xcnt 0x0
	v_add_nc_u64_e32 v[10:11], v[10:11], v[68:69]
	scratch_store_b16 off, v16, s33 offset:72
.LBB4_895:                              ;   in Loop: Header=BB4_887 Depth=2
	s_wait_xcnt 0x0
	s_or_b32 exec_lo, exec_lo, s10
	v_sub_nc_u32_e32 v16, v17, v112
	v_add_nc_u64_e32 v[14:15], v[14:15], v[52:53]
	v_add_nc_u64_e32 v[12:13], v[12:13], v[52:53]
	s_delay_alu instid0(VALU_DEP_3)
	v_cmp_lt_i32_e64 s41, 1, v16
	s_and_saveexec_b32 s42, s41
	s_cbranch_execz .LBB4_898
; %bb.896:                              ;   in Loop: Header=BB4_887 Depth=2
	s_add_co_i32 s10, s33, 0x48
	s_mov_b64 s[12:13], 0
	s_mov_b32 s43, s10
	s_mov_b32 s44, -1
.LBB4_897:                              ;   Parent Loop BB4_523 Depth=1
                                        ;     Parent Loop BB4_887 Depth=2
                                        ; =>    This Inner Loop Header: Depth=3
	s_cmp_eq_u32 s12, 1
	s_cselect_b32 vcc_lo, -1, 0
	s_cmp_eq_u32 s12, 0
	v_dual_cndmask_b32 v83, v15, v13 :: v_dual_cndmask_b32 v82, v14, v12
	s_cselect_b32 s10, -1, 0
	s_and_b32 s11, exec_lo, s44
	s_mov_b64 s[12:13], 1
	s_mov_b32 s44, 0
	flat_load_u16 v17, v[82:83] th:TH_LOAD_NT
	s_wait_xcnt 0x0
	v_add_nc_u64_e32 v[82:83], 64, v[82:83]
	s_delay_alu instid0(VALU_DEP_1)
	v_dual_cndmask_b32 v15, v15, v83, s10 :: v_dual_cndmask_b32 v14, v14, v82, s10
	v_dual_cndmask_b32 v13, v13, v83 :: v_dual_cndmask_b32 v12, v12, v82
	s_add_co_i32 s10, s33, 0x4a
	s_mov_b32 vcc_lo, s11
	s_wait_loadcnt_dscnt 0x0
	scratch_store_b16 off, v17, s43
	s_wait_xcnt 0x0
	s_mov_b32 s43, s10
	s_cbranch_vccnz .LBB4_897
.LBB4_898:                              ;   in Loop: Header=BB4_887 Depth=2
	s_or_b32 exec_lo, exec_lo, s42
	s_clause 0x1
	scratch_load_u16 v17, off, s33 offset:112
	scratch_load_u16 v82, off, s33 offset:80
	s_wait_loadcnt 0x0
	v_dual_lshlrev_b32 v17, 16, v17 :: v_dual_lshlrev_b32 v82, 16, v82
	s_delay_alu instid0(VALU_DEP_1) | instskip(NEXT) | instid1(VALU_DEP_1)
	v_dual_max_num_f32 v17, v17, v17 :: v_dual_max_num_f32 v82, v82, v82
	v_dual_min_num_f32 v83, v82, v17 :: v_dual_max_num_f32 v17, v82, v17
	s_delay_alu instid0(VALU_DEP_1) | instskip(NEXT) | instid1(VALU_DEP_1)
	v_cndmask_b32_e64 v82, v17, v83, s7
	v_and_b32_e32 v17, 0x7f800000, v82
	s_delay_alu instid0(VALU_DEP_1) | instskip(SKIP_2) | instid1(SALU_CYCLE_1)
	v_cmp_ne_u32_e32 vcc_lo, 0x7f800000, v17
                                        ; implicit-def: $vgpr17
	s_wait_xcnt 0x0
	s_and_saveexec_b32 s10, vcc_lo
	s_xor_b32 s10, exec_lo, s10
; %bb.899:                              ;   in Loop: Header=BB4_887 Depth=2
	v_bfe_u32 v17, v82, 16, 1
	s_delay_alu instid0(VALU_DEP_1)
	v_add3_u32 v17, v82, v17, 0x7fff
                                        ; implicit-def: $vgpr82
; %bb.900:                              ;   in Loop: Header=BB4_887 Depth=2
	s_and_not1_saveexec_b32 s10, s10
	s_cbranch_execz .LBB4_886
; %bb.901:                              ;   in Loop: Header=BB4_887 Depth=2
	v_and_b32_e32 v17, 0xffff, v82
	v_or_b32_e32 v83, 0x10000, v82
	s_delay_alu instid0(VALU_DEP_2) | instskip(NEXT) | instid1(VALU_DEP_2)
	v_cmp_eq_u32_e32 vcc_lo, 0, v17
	v_cndmask_b32_e32 v17, v83, v82, vcc_lo
	s_branch .LBB4_886
.LBB4_902:                              ;   in Loop: Header=BB4_523 Depth=1
	s_or_b32 exec_lo, exec_lo, s15
	s_delay_alu instid0(SALU_CYCLE_1)
	s_and_b32 exec_lo, exec_lo, s40
	s_cbranch_execz .LBB4_908
; %bb.903:                              ;   in Loop: Header=BB4_523 Depth=1
	s_clause 0x1
	scratch_load_u16 v12, off, s33 offset:74
	scratch_load_u16 v13, off, s33 offset:72
	s_wait_loadcnt 0x0
	v_dual_lshlrev_b32 v12, 16, v12 :: v_dual_lshlrev_b32 v13, 16, v13
	s_delay_alu instid0(VALU_DEP_1) | instskip(NEXT) | instid1(VALU_DEP_1)
	v_dual_max_num_f32 v12, v12, v12 :: v_dual_max_num_f32 v13, v13, v13
	v_dual_min_num_f32 v14, v13, v12 :: v_dual_max_num_f32 v12, v13, v12
	s_delay_alu instid0(VALU_DEP_1) | instskip(NEXT) | instid1(VALU_DEP_1)
	v_cndmask_b32_e64 v12, v12, v14, s7
	v_and_b32_e32 v13, 0x7f800000, v12
	s_delay_alu instid0(VALU_DEP_1) | instskip(SKIP_2) | instid1(SALU_CYCLE_1)
	v_cmp_ne_u32_e32 vcc_lo, 0x7f800000, v13
                                        ; implicit-def: $vgpr13
	s_wait_xcnt 0x0
	s_and_saveexec_b32 s7, vcc_lo
	s_xor_b32 s7, exec_lo, s7
; %bb.904:                              ;   in Loop: Header=BB4_523 Depth=1
	v_bfe_u32 v13, v12, 16, 1
	s_delay_alu instid0(VALU_DEP_1)
	v_add3_u32 v13, v12, v13, 0x7fff
                                        ; implicit-def: $vgpr12
; %bb.905:                              ;   in Loop: Header=BB4_523 Depth=1
	s_and_not1_saveexec_b32 s7, s7
; %bb.906:                              ;   in Loop: Header=BB4_523 Depth=1
	v_and_b32_e32 v13, 0xffff, v12
	v_or_b32_e32 v14, 0x10000, v12
	s_delay_alu instid0(VALU_DEP_2) | instskip(NEXT) | instid1(VALU_DEP_2)
	v_cmp_eq_u32_e32 vcc_lo, 0, v13
	v_cndmask_b32_e32 v13, v14, v12, vcc_lo
; %bb.907:                              ;   in Loop: Header=BB4_523 Depth=1
	s_or_b32 exec_lo, exec_lo, s7
	flat_store_d16_hi_b16 v[10:11], v13 th:TH_STORE_NT
.LBB4_908:                              ;   in Loop: Header=BB4_523 Depth=1
	s_wait_xcnt 0x0
	s_or_b32 exec_lo, exec_lo, s14
	v_cmp_ne_u32_e64 s7, 0, v20
	s_and_saveexec_b32 s10, s2
	s_cbranch_execz .LBB4_927
.LBB4_909:                              ;   in Loop: Header=BB4_523 Depth=1
	s_and_saveexec_b32 s11, s3
	s_delay_alu instid0(SALU_CYCLE_1)
	s_xor_b32 s11, exec_lo, s11
	s_cbranch_execz .LBB4_924
; %bb.910:                              ;   in Loop: Header=BB4_523 Depth=1
	s_and_saveexec_b32 s12, s4
	s_cbranch_execz .LBB4_923
; %bb.911:                              ;   in Loop: Header=BB4_523 Depth=1
	s_mov_b32 s14, exec_lo
	s_mov_b32 s13, exec_lo
	v_mbcnt_lo_u32_b32 v10, s14, 0
	global_wb scope:SCOPE_DEV
	s_wait_storecnt 0x0
	s_wait_loadcnt_dscnt 0x0
	global_inv scope:SCOPE_DEV
	v_cmpx_eq_u32_e32 0, v10
	s_cbranch_execz .LBB4_913
; %bb.912:                              ;   in Loop: Header=BB4_523 Depth=1
	s_bcnt1_i32_b32 s14, s14
	s_delay_alu instid0(SALU_CYCLE_1)
	v_mov_b32_e32 v20, s14
	s_wait_loadcnt 0x0
	ds_add_u64 v0, v[20:21]
	s_trap 2
.LBB4_913:                              ;   in Loop: Header=BB4_523 Depth=1
	s_or_b32 exec_lo, exec_lo, s13
	s_trap 2
	ds_load_b64 v[10:11], v0
	s_wait_dscnt 0x0
	v_add_nc_u64_e32 v[48:49], v[48:49], v[18:19]
	s_mov_b32 s13, exec_lo
	s_delay_alu instid0(VALU_DEP_1)
	v_cmpx_lt_u64_e64 v[10:11], v[48:49]
	s_cbranch_execz .LBB4_922
; %bb.914:                              ;   in Loop: Header=BB4_523 Depth=1
	s_mov_b32 s14, 0
	s_mov_b32 s41, 0
                                        ; implicit-def: $sgpr15
                                        ; implicit-def: $sgpr40
	s_branch .LBB4_916
.LBB4_915:                              ;   in Loop: Header=BB4_916 Depth=2
	s_or_b32 exec_lo, exec_lo, s43
	s_delay_alu instid0(SALU_CYCLE_1) | instskip(NEXT) | instid1(SALU_CYCLE_1)
	s_and_b32 s42, exec_lo, s44
	s_or_b32 s14, s42, s14
	s_and_not1_b32 s15, s15, exec_lo
	s_and_b32 s42, s40, exec_lo
	s_delay_alu instid0(SALU_CYCLE_1)
	s_or_b32 s15, s15, s42
	s_and_not1_b32 exec_lo, exec_lo, s14
	s_cbranch_execz .LBB4_920
.LBB4_916:                              ;   Parent Loop BB4_523 Depth=1
                                        ; =>  This Inner Loop Header: Depth=2
	s_add_co_i32 s41, s41, 1
	s_delay_alu instid0(SALU_CYCLE_1) | instskip(SKIP_1) | instid1(SALU_CYCLE_1)
	s_cmp_lg_u32 s41, 0x2710
	s_cselect_b32 s42, -1, 0
	s_and_b32 vcc_lo, exec_lo, s42
	s_cbranch_vccz .LBB4_918
; %bb.917:                              ;   in Loop: Header=BB4_916 Depth=2
	s_mov_b32 s44, -1
	s_or_b32 s40, s40, exec_lo
	s_and_saveexec_b32 s43, s42
	s_cbranch_execz .LBB4_915
	s_branch .LBB4_919
.LBB4_918:                              ;   in Loop: Header=BB4_916 Depth=2
	s_trap 2
	ds_load_b64 v[10:11], v0
	s_and_not1_b32 s42, s42, exec_lo
	s_mov_b32 s41, 0
	s_wait_loadcnt_dscnt 0x0
	flat_load_b32 v10, v[10:11] scope:SCOPE_SYS
	s_wait_loadcnt_dscnt 0x0
	global_inv scope:SCOPE_SYS
	v_cmp_eq_u32_e32 vcc_lo, 0, v10
	s_and_b32 s43, vcc_lo, exec_lo
	s_delay_alu instid0(SALU_CYCLE_1)
	s_or_b32 s42, s42, s43
	s_mov_b32 s44, -1
	s_or_b32 s40, s40, exec_lo
	s_and_saveexec_b32 s43, s42
	s_cbranch_execz .LBB4_915
.LBB4_919:                              ;   in Loop: Header=BB4_916 Depth=2
	s_sleep 1
	s_trap 2
	ds_load_b64 v[10:11], v0
	s_wait_dscnt 0x0
	s_and_not1_b32 s40, s40, exec_lo
	v_cmp_ge_u64_e32 vcc_lo, v[10:11], v[48:49]
	s_or_not1_b32 s44, vcc_lo, exec_lo
	s_branch .LBB4_915
.LBB4_920:                              ;   in Loop: Header=BB4_523 Depth=1
	s_or_b32 exec_lo, exec_lo, s14
	s_and_saveexec_b32 s14, s15
	s_delay_alu instid0(SALU_CYCLE_1)
	s_xor_b32 s14, exec_lo, s14
	s_cbranch_execz .LBB4_922
; %bb.921:                              ;   in Loop: Header=BB4_523 Depth=1
	ds_store_b32 v0, v114
	s_trap 2
.LBB4_922:                              ;   in Loop: Header=BB4_523 Depth=1
	s_or_b32 exec_lo, exec_lo, s13
	;;#ASMSTART
	s_wakeup
	;;#ASMEND
.LBB4_923:                              ;   in Loop: Header=BB4_523 Depth=1
	s_or_b32 exec_lo, exec_lo, s12
.LBB4_924:                              ;   in Loop: Header=BB4_523 Depth=1
	s_and_not1_saveexec_b32 s11, s11
	s_cbranch_execz .LBB4_926
; %bb.925:                              ;   in Loop: Header=BB4_523 Depth=1
	global_wb scope:SCOPE_DEV
	s_wait_storecnt 0x0
	s_wait_loadcnt_dscnt 0x0
	global_inv scope:SCOPE_DEV
	s_barrier_signal -1
	s_barrier_wait -1
.LBB4_926:                              ;   in Loop: Header=BB4_523 Depth=1
	s_or_b32 exec_lo, exec_lo, s11
.LBB4_927:                              ;   in Loop: Header=BB4_523 Depth=1
	s_delay_alu instid0(SALU_CYCLE_1) | instskip(SKIP_1) | instid1(VALU_DEP_1)
	s_or_b32 exec_lo, exec_lo, s10
	v_and_b32_e32 v10, 16, v30
	v_cmp_ne_u32_e32 vcc_lo, 0, v10
	s_and_b32 s10, vcc_lo, s7
	s_delay_alu instid0(SALU_CYCLE_1)
	s_and_saveexec_b32 s7, s10
	s_cbranch_execz .LBB4_929
; %bb.928:                              ;   in Loop: Header=BB4_523 Depth=1
	global_wb scope:SCOPE_SYS
	s_wait_storecnt 0x0
	s_wait_loadcnt_dscnt 0x0
	global_inv scope:SCOPE_SYS
.LBB4_929:                              ;   in Loop: Header=BB4_523 Depth=1
	s_or_b32 exec_lo, exec_lo, s7
	v_and_b32_e32 v10, 32, v30
	s_mov_b32 s7, exec_lo
	s_delay_alu instid0(VALU_DEP_1)
	v_cmpx_ne_u32_e32 0, v10
	s_cbranch_execz .LBB4_931
; %bb.930:                              ;   in Loop: Header=BB4_523 Depth=1
	v_add_nc_u64_e32 v[8:9], 1, v[8:9]
	global_wb scope:SCOPE_SYS
	s_wait_storecnt 0x0
	s_wait_loadcnt_dscnt 0x0
	flat_store_b64 v[32:33], v[8:9] scope:SCOPE_SYS
.LBB4_931:                              ;   in Loop: Header=BB4_523 Depth=1
	s_wait_xcnt 0x0
	s_or_b32 exec_lo, exec_lo, s7
	v_mov_b32_e32 v14, v81
.LBB4_932:                              ;   in Loop: Header=BB4_523 Depth=1
	s_or_b32 exec_lo, exec_lo, s29
	s_and_saveexec_b32 s10, s28
	s_cbranch_execz .LBB4_522
; %bb.933:                              ;   in Loop: Header=BB4_523 Depth=1
	v_and_b32_e32 v10, 4, v30
	s_mov_b32 s11, exec_lo
	s_delay_alu instid0(VALU_DEP_1)
	v_cmpx_ne_u32_e32 0, v10
	s_cbranch_execz .LBB4_955
; %bb.934:                              ;   in Loop: Header=BB4_523 Depth=1
	v_add_nc_u64_e32 v[10:11], 1, v[8:9]
	s_mov_b32 s12, exec_lo
	s_wait_loadcnt 0x0
	s_delay_alu instid0(VALU_DEP_1)
	v_cmpx_lt_u64_e64 v[38:39], v[10:11]
	s_cbranch_execz .LBB4_946
; %bb.935:                              ;   in Loop: Header=BB4_523 Depth=1
	v_and_b32_e32 v9, 64, v30
	s_mov_b32 s13, 0
	s_mov_b32 s29, 0
                                        ; implicit-def: $sgpr14
                                        ; implicit-def: $sgpr15
                                        ; implicit-def: $sgpr28
	s_delay_alu instid0(VALU_DEP_1)
	v_cmp_eq_u32_e32 vcc_lo, 0, v9
	s_branch .LBB4_939
.LBB4_936:                              ;   in Loop: Header=BB4_939 Depth=2
	s_wait_loadcnt_dscnt 0x0
	v_cmp_ge_u64_e64 s7, v[38:39], v[10:11]
	s_or_b32 s42, s42, exec_lo
	s_or_not1_b32 s41, s7, exec_lo
.LBB4_937:                              ;   in Loop: Header=BB4_939 Depth=2
	s_or_b32 exec_lo, exec_lo, s44
	s_delay_alu instid0(SALU_CYCLE_1)
	s_and_not1_b32 s7, s28, exec_lo
	s_and_b32 s28, s42, exec_lo
	s_and_not1_b32 s15, s15, exec_lo
	s_and_b32 s41, s41, exec_lo
	s_or_b32 s28, s7, s28
	s_or_b32 s15, s15, s41
.LBB4_938:                              ;   in Loop: Header=BB4_939 Depth=2
	s_or_b32 exec_lo, exec_lo, s40
	s_delay_alu instid0(SALU_CYCLE_1) | instskip(NEXT) | instid1(SALU_CYCLE_1)
	s_and_b32 s7, exec_lo, s15
	s_or_b32 s13, s7, s13
	s_and_not1_b32 s7, s14, exec_lo
	s_and_b32 s14, s28, exec_lo
	s_delay_alu instid0(SALU_CYCLE_1)
	s_or_b32 s14, s7, s14
	s_and_not1_b32 exec_lo, exec_lo, s13
	s_cbranch_execz .LBB4_943
.LBB4_939:                              ;   Parent Loop BB4_523 Depth=1
                                        ; =>  This Inner Loop Header: Depth=2
	s_sleep 1
	s_wait_loadcnt_dscnt 0x0
	flat_load_b64 v[38:39], v[32:33] scope:SCOPE_SYS
	s_or_b32 s28, s28, exec_lo
	s_or_b32 s15, s15, exec_lo
                                        ; implicit-def: $vgpr9
	s_wait_xcnt 0x0
	s_and_saveexec_b32 s40, vcc_lo
	s_cbranch_execz .LBB4_938
; %bb.940:                              ;   in Loop: Header=BB4_939 Depth=2
	s_cmp_lt_i32 s29, 0x270f
	s_mov_b32 s41, -1
	s_cselect_b32 s43, -1, 0
	s_cmp_gt_i32 s29, 0x270e
	s_cbranch_scc0 .LBB4_942
; %bb.941:                              ;   in Loop: Header=BB4_939 Depth=2
	s_trap 2
	ds_load_b64 v[12:13], v0
	s_and_not1_b32 s29, s43, exec_lo
	s_mov_b32 s42, 0
	s_wait_storecnt 0x0
	s_wait_loadcnt_dscnt 0x0
	flat_load_b32 v9, v[12:13] scope:SCOPE_SYS
	s_wait_loadcnt_dscnt 0x0
	global_inv scope:SCOPE_SYS
	v_cmp_eq_u32_e64 s7, 0, v9
	s_and_b32 s7, s7, exec_lo
	s_delay_alu instid0(SALU_CYCLE_1)
	s_or_b32 s43, s29, s7
	s_mov_b32 s29, 0
	s_and_saveexec_b32 s44, s43
	s_cbranch_execz .LBB4_937
	s_branch .LBB4_936
.LBB4_942:                              ;   in Loop: Header=BB4_939 Depth=2
	s_add_co_i32 s29, s29, 1
	s_mov_b32 s42, -1
                                        ; implicit-def: $vgpr9
	s_and_saveexec_b32 s44, s43
	s_cbranch_execz .LBB4_937
	s_branch .LBB4_936
.LBB4_943:                              ;   in Loop: Header=BB4_523 Depth=1
	s_or_b32 exec_lo, exec_lo, s13
	s_xor_b32 s7, s14, -1
	s_delay_alu instid0(SALU_CYCLE_1) | instskip(NEXT) | instid1(SALU_CYCLE_1)
	s_and_saveexec_b32 s13, s7
	s_xor_b32 s7, exec_lo, s13
	s_cbranch_execz .LBB4_945
; %bb.944:                              ;   in Loop: Header=BB4_523 Depth=1
	v_or_b32_e32 v30, 64, v30
	s_wait_storecnt 0x0
	s_wait_loadcnt_dscnt 0x0
	ds_store_b32 v0, v9
	s_trap 2
.LBB4_945:                              ;   in Loop: Header=BB4_523 Depth=1
	s_or_b32 exec_lo, exec_lo, s7
.LBB4_946:                              ;   in Loop: Header=BB4_523 Depth=1
	s_delay_alu instid0(SALU_CYCLE_1) | instskip(SKIP_4) | instid1(VALU_DEP_2)
	s_or_b32 exec_lo, exec_lo, s12
	v_and_b32_e32 v9, 0x100, v30
	v_and_b32_e32 v20, 7, v8
	s_mov_b32 s7, -1
	;;#ASMSTART
	s_wakeup
	;;#ASMEND
	v_cmp_ne_u32_e32 vcc_lo, 0, v9
                                        ; implicit-def: $vgpr8_vgpr9
	s_and_saveexec_b32 s12, vcc_lo
	s_cbranch_execz .LBB4_950
; %bb.947:                              ;   in Loop: Header=BB4_523 Depth=1
	v_mad_nc_u64_u32 v[12:13], v20, 24, v[6:7]
	flat_load_b32 v8, v[12:13]
	s_wait_loadcnt_dscnt 0x0
	v_cmp_eq_u32_e64 s7, 1, v8
	v_cmp_ne_u32_e32 vcc_lo, 1, v8
                                        ; implicit-def: $vgpr8_vgpr9
	s_wait_xcnt 0x0
	s_and_saveexec_b32 s13, s7
	s_cbranch_execz .LBB4_949
; %bb.948:                              ;   in Loop: Header=BB4_523 Depth=1
	flat_load_b32 v8, v[12:13] offset:4 scope:SCOPE_SYS
	s_wait_loadcnt_dscnt 0x0
	v_ashrrev_i32_e32 v9, 31, v8
	s_delay_alu instid0(VALU_DEP_1)
	v_lshrrev_b64 v[8:9], 1, v[8:9]
.LBB4_949:                              ;   in Loop: Header=BB4_523 Depth=1
	s_wait_xcnt 0x0
	s_or_b32 exec_lo, exec_lo, s13
	s_delay_alu instid0(SALU_CYCLE_1)
	s_or_not1_b32 s7, vcc_lo, exec_lo
.LBB4_950:                              ;   in Loop: Header=BB4_523 Depth=1
	s_or_b32 exec_lo, exec_lo, s12
	s_and_saveexec_b32 s12, s7
; %bb.951:                              ;   in Loop: Header=BB4_523 Depth=1
	v_mul_u64_e32 v[8:9], v[20:21], v[34:35]
; %bb.952:                              ;   in Loop: Header=BB4_523 Depth=1
	s_or_b32 exec_lo, exec_lo, s12
	v_and_b32_e32 v12, 0x2000, v30
	s_delay_alu instid0(VALU_DEP_2)
	v_lshl_add_u64 v[8:9], v[8:9], 1, v[36:37]
	s_mov_b32 s7, exec_lo
	ds_store_b64 v0, v[8:9] offset:728
	v_cmpx_ne_u32_e32 0, v12
	s_cbranch_execz .LBB4_954
; %bb.953:                              ;   in Loop: Header=BB4_523 Depth=1
	ds_load_b64 v[8:9], v0 offset:872
	s_wait_dscnt 0x0
	v_add_nc_u64_e32 v[8:9], 1, v[8:9]
	ds_store_b64 v0, v[8:9] offset:872
.LBB4_954:                              ;   in Loop: Header=BB4_523 Depth=1
	s_or_b32 exec_lo, exec_lo, s7
	v_mov_b64_e32 v[8:9], v[10:11]
.LBB4_955:                              ;   in Loop: Header=BB4_523 Depth=1
	s_or_b32 exec_lo, exec_lo, s11
	s_and_saveexec_b32 s7, s2
	s_cbranch_execz .LBB4_974
; %bb.956:                              ;   in Loop: Header=BB4_523 Depth=1
	s_and_saveexec_b32 s11, s3
	s_delay_alu instid0(SALU_CYCLE_1)
	s_xor_b32 s11, exec_lo, s11
	s_cbranch_execz .LBB4_971
; %bb.957:                              ;   in Loop: Header=BB4_523 Depth=1
	s_and_saveexec_b32 s12, s4
	s_cbranch_execz .LBB4_970
; %bb.958:                              ;   in Loop: Header=BB4_523 Depth=1
	s_mov_b32 s14, exec_lo
	s_mov_b32 s13, exec_lo
	v_mbcnt_lo_u32_b32 v10, s14, 0
	global_wb scope:SCOPE_DEV
	s_wait_storecnt 0x0
	s_wait_loadcnt_dscnt 0x0
	global_inv scope:SCOPE_DEV
	v_cmpx_eq_u32_e32 0, v10
	s_cbranch_execz .LBB4_960
; %bb.959:                              ;   in Loop: Header=BB4_523 Depth=1
	s_bcnt1_i32_b32 s14, s14
	s_delay_alu instid0(SALU_CYCLE_1)
	v_mov_b32_e32 v20, s14
	s_wait_loadcnt 0x0
	ds_add_u64 v0, v[20:21]
	s_trap 2
.LBB4_960:                              ;   in Loop: Header=BB4_523 Depth=1
	s_or_b32 exec_lo, exec_lo, s13
	s_trap 2
	ds_load_b64 v[10:11], v0
	s_wait_dscnt 0x0
	v_add_nc_u64_e32 v[48:49], v[48:49], v[18:19]
	s_mov_b32 s13, exec_lo
	s_delay_alu instid0(VALU_DEP_1)
	v_cmpx_lt_u64_e64 v[10:11], v[48:49]
	s_cbranch_execz .LBB4_969
; %bb.961:                              ;   in Loop: Header=BB4_523 Depth=1
	s_mov_b32 s14, 0
	s_mov_b32 s29, 0
                                        ; implicit-def: $sgpr15
                                        ; implicit-def: $sgpr28
	s_branch .LBB4_963
.LBB4_962:                              ;   in Loop: Header=BB4_963 Depth=2
	s_or_b32 exec_lo, exec_lo, s41
	s_delay_alu instid0(SALU_CYCLE_1) | instskip(NEXT) | instid1(SALU_CYCLE_1)
	s_and_b32 s40, exec_lo, s42
	s_or_b32 s14, s40, s14
	s_and_not1_b32 s15, s15, exec_lo
	s_and_b32 s40, s28, exec_lo
	s_delay_alu instid0(SALU_CYCLE_1)
	s_or_b32 s15, s15, s40
	s_and_not1_b32 exec_lo, exec_lo, s14
	s_cbranch_execz .LBB4_967
.LBB4_963:                              ;   Parent Loop BB4_523 Depth=1
                                        ; =>  This Inner Loop Header: Depth=2
	s_add_co_i32 s29, s29, 1
	s_delay_alu instid0(SALU_CYCLE_1) | instskip(SKIP_1) | instid1(SALU_CYCLE_1)
	s_cmp_lg_u32 s29, 0x2710
	s_cselect_b32 s40, -1, 0
	s_and_b32 vcc_lo, exec_lo, s40
	s_cbranch_vccz .LBB4_965
; %bb.964:                              ;   in Loop: Header=BB4_963 Depth=2
	s_mov_b32 s42, -1
	s_or_b32 s28, s28, exec_lo
	s_and_saveexec_b32 s41, s40
	s_cbranch_execz .LBB4_962
	s_branch .LBB4_966
.LBB4_965:                              ;   in Loop: Header=BB4_963 Depth=2
	s_trap 2
	ds_load_b64 v[10:11], v0
	s_and_not1_b32 s40, s40, exec_lo
	s_mov_b32 s29, 0
	s_wait_loadcnt_dscnt 0x0
	flat_load_b32 v10, v[10:11] scope:SCOPE_SYS
	s_wait_loadcnt_dscnt 0x0
	global_inv scope:SCOPE_SYS
	v_cmp_eq_u32_e32 vcc_lo, 0, v10
	s_and_b32 s41, vcc_lo, exec_lo
	s_delay_alu instid0(SALU_CYCLE_1)
	s_or_b32 s40, s40, s41
	s_mov_b32 s42, -1
	s_or_b32 s28, s28, exec_lo
	s_and_saveexec_b32 s41, s40
	s_cbranch_execz .LBB4_962
.LBB4_966:                              ;   in Loop: Header=BB4_963 Depth=2
	s_sleep 1
	s_trap 2
	ds_load_b64 v[10:11], v0
	s_wait_dscnt 0x0
	s_and_not1_b32 s28, s28, exec_lo
	v_cmp_ge_u64_e32 vcc_lo, v[10:11], v[48:49]
	s_or_not1_b32 s42, vcc_lo, exec_lo
	s_branch .LBB4_962
.LBB4_967:                              ;   in Loop: Header=BB4_523 Depth=1
	s_or_b32 exec_lo, exec_lo, s14
	s_and_saveexec_b32 s14, s15
	s_delay_alu instid0(SALU_CYCLE_1)
	s_xor_b32 s14, exec_lo, s14
	s_cbranch_execz .LBB4_969
; %bb.968:                              ;   in Loop: Header=BB4_523 Depth=1
	ds_store_b32 v0, v114
	s_trap 2
.LBB4_969:                              ;   in Loop: Header=BB4_523 Depth=1
	s_or_b32 exec_lo, exec_lo, s13
	;;#ASMSTART
	s_wakeup
	;;#ASMEND
.LBB4_970:                              ;   in Loop: Header=BB4_523 Depth=1
	s_or_b32 exec_lo, exec_lo, s12
.LBB4_971:                              ;   in Loop: Header=BB4_523 Depth=1
	s_and_not1_saveexec_b32 s11, s11
	s_cbranch_execz .LBB4_973
; %bb.972:                              ;   in Loop: Header=BB4_523 Depth=1
	global_wb scope:SCOPE_DEV
	s_wait_storecnt 0x0
	s_wait_loadcnt_dscnt 0x0
	global_inv scope:SCOPE_DEV
	s_barrier_signal -1
	s_barrier_wait -1
.LBB4_973:                              ;   in Loop: Header=BB4_523 Depth=1
	s_or_b32 exec_lo, exec_lo, s11
.LBB4_974:                              ;   in Loop: Header=BB4_523 Depth=1
	s_delay_alu instid0(SALU_CYCLE_1) | instskip(SKIP_3) | instid1(VALU_DEP_1)
	s_or_b32 exec_lo, exec_lo, s7
	s_trap 2
	ds_load_b32 v10, v0
	v_sub_nc_u32_e32 v11, v80, v14
	v_min_i32_e32 v11, v81, v11
	s_delay_alu instid0(VALU_DEP_1) | instskip(SKIP_4) | instid1(VALU_DEP_1)
	v_cmp_lt_i32_e32 vcc_lo, 0, v11
	s_wait_dscnt 0x0
	v_readfirstlane_b32 s7, v10
	v_and_b32_e32 v10, 16, v30
	s_cmp_eq_u32 s7, 0
	v_cmp_ne_u32_e64 s7, 0, v10
	s_cselect_b32 s11, -1, 0
	s_delay_alu instid0(SALU_CYCLE_1) | instskip(NEXT) | instid1(SALU_CYCLE_1)
	s_and_b32 s11, vcc_lo, s11
	s_and_b32 s11, s7, s11
	s_delay_alu instid0(SALU_CYCLE_1)
	s_and_saveexec_b32 s7, s11
	s_cbranch_execz .LBB4_976
; %bb.975:                              ;   in Loop: Header=BB4_523 Depth=1
	global_wb scope:SCOPE_SYS
	s_wait_loadcnt 0x0
	s_wait_storecnt 0x0
	global_inv scope:SCOPE_SYS
.LBB4_976:                              ;   in Loop: Header=BB4_523 Depth=1
	s_or_b32 exec_lo, exec_lo, s7
	v_and_b32_e32 v10, 32, v30
	s_mov_b32 s7, exec_lo
	s_delay_alu instid0(VALU_DEP_1)
	v_cmpx_ne_u32_e32 0, v10
	s_cbranch_execz .LBB4_521
; %bb.977:                              ;   in Loop: Header=BB4_523 Depth=1
	v_add_nc_u64_e32 v[8:9], 1, v[8:9]
	global_wb scope:SCOPE_SYS
	s_wait_loadcnt 0x0
	s_wait_storecnt 0x0
	flat_store_b64 v[32:33], v[8:9] scope:SCOPE_SYS
	s_branch .LBB4_521
.LBB4_978:
	s_or_b32 exec_lo, exec_lo, s22
.LBB4_979:
	s_delay_alu instid0(SALU_CYCLE_1)
	s_or_b32 exec_lo, exec_lo, s20
.LBB4_980:
	s_delay_alu instid0(SALU_CYCLE_1)
	s_or_b32 exec_lo, exec_lo, s19
                                        ; implicit-def: $vgpr26_vgpr27
                                        ; implicit-def: $vgpr4_vgpr5
                                        ; implicit-def: $vgpr52_vgpr53
                                        ; implicit-def: $vgpr34
                                        ; implicit-def: $vgpr38_vgpr39
                                        ; implicit-def: $vgpr36_vgpr37
                                        ; implicit-def: $vgpr32_vgpr33
                                        ; implicit-def: $vgpr0
                                        ; implicit-def: $vgpr15
                                        ; implicit-def: $vgpr50_vgpr51
.LBB4_981:
	s_and_not1_saveexec_b32 s11, s18
	s_cbranch_execz .LBB4_1186
; %bb.982:
	v_mov_b64_e32 v[48:49], 0
	s_mov_b32 s12, exec_lo
	v_cmpx_ne_u64_e32 0, v[4:5]
	s_cbranch_execz .LBB4_1185
; %bb.983:
	v_dual_mov_b32 v55, 0 :: v_dual_bitop2_b32 v45, 31, v0 bitop3:0x40
	v_dual_lshrrev_b32 v64, 5, v1 :: v_dual_ashrrev_i32 v35, 31, v34
	s_delay_alu instid0(VALU_DEP_2) | instskip(SKIP_1) | instid1(VALU_DEP_3)
	v_dual_mov_b32 v65, v55 :: v_dual_bitop2_b32 v10, 31, v31 bitop3:0x40
	v_lshrrev_b32_e32 v56, 5, v0
	v_dual_lshlrev_b32 v46, 9, v64 :: v_dual_lshlrev_b32 v47, 6, v64
	v_lshl_add_u32 v66, v64, 10, 0xfffffc00
	v_lshl_add_u32 v70, v64, 8, 0xffffff00
	s_delay_alu instid0(VALU_DEP_3) | instskip(NEXT) | instid1(VALU_DEP_4)
	v_dual_mov_b32 v83, v55 :: v_dual_add_nc_u32 v68, 0xfffffe00, v46
	v_subrev_nc_u32_e32 v80, 64, v47
	s_delay_alu instid0(VALU_DEP_4) | instskip(NEXT) | instid1(VALU_DEP_4)
	v_ashrrev_i32_e32 v67, 31, v66
	v_ashrrev_i32_e32 v71, 31, v70
	v_cmp_eq_u32_e64 s4, 0, v10
	v_ashrrev_i32_e32 v69, 31, v68
	v_dual_ashrrev_i32 v81, 31, v80 :: v_dual_lshlrev_b32 v10, 4, v45
	s_lshr_b32 s2, s17, 27
	v_cmp_eq_u32_e32 vcc_lo, 32, v1
	v_add_nc_u64_e32 v[84:85], 0x400, v[66:67]
	s_wait_dscnt 0x0
	v_add_nc_u64_e32 v[86:87], 0x200, v[68:69]
	v_add_nc_u64_e32 v[96:97], 0x100, v[70:71]
	;; [unrolled: 1-line block ×3, first 2 shown]
	v_mov_b64_e32 v[100:101], 0
	v_cmp_ne_u64_e64 s7, 0, v[52:53]
	v_mov_b64_e32 v[102:103], 0
	v_mov_b64_e32 v[48:49], 0
	v_cmp_ge_u32_e64 s1, v0, v1
	s_add_co_i32 s17, s17, s2
	v_cmp_ne_u32_e64 s2, 32, v1
	v_cmp_ne_u32_e64 s3, v1, v44
	v_cmp_eq_u32_e64 s5, 0, v45
	v_cmp_lt_u32_e64 s6, v45, v15
	v_lshl_or_b32 v82, v56, 10, v10
	v_mov_b32_e32 v57, 1
	s_ashr_i32 s14, s17, 5
	s_mov_b32 s13, 0
	s_xor_b32 s15, vcc_lo, -1
	s_trap 2
	s_branch .LBB4_987
.LBB4_984:                              ;   in Loop: Header=BB4_987 Depth=1
	s_wait_xcnt 0x0
	s_or_b32 exec_lo, exec_lo, s17
	v_add_nc_u64_e32 v[8:9], 1, v[8:9]
	global_wb scope:SCOPE_SYS
	s_wait_storecnt 0x0
	s_wait_loadcnt_dscnt 0x0
	flat_store_b64 v[32:33], v[8:9] scope:SCOPE_SYS
.LBB4_985:                              ;   in Loop: Header=BB4_987 Depth=1
	s_wait_xcnt 0x0
	s_or_b32 exec_lo, exec_lo, s10
.LBB4_986:                              ;   in Loop: Header=BB4_987 Depth=1
	s_delay_alu instid0(SALU_CYCLE_1) | instskip(SKIP_1) | instid1(VALU_DEP_1)
	s_or_b32 exec_lo, exec_lo, s18
	v_add_nc_u64_e32 v[102:103], v[102:103], v[50:51]
	v_cmp_ge_u64_e32 vcc_lo, v[102:103], v[4:5]
	s_or_b32 s13, vcc_lo, s13
	s_delay_alu instid0(SALU_CYCLE_1)
	s_and_not1_b32 exec_lo, exec_lo, s13
	s_cbranch_execz .LBB4_1184
.LBB4_987:                              ; =>This Loop Header: Depth=1
                                        ;     Child Loop BB4_996 Depth 2
                                        ;     Child Loop BB4_1020 Depth 2
                                        ;     Child Loop BB4_1039 Depth 2
                                        ;     Child Loop BB4_1064 Depth 2
                                        ;     Child Loop BB4_1076 Depth 2
                                        ;     Child Loop BB4_1092 Depth 2
                                        ;     Child Loop BB4_1103 Depth 2
                                        ;     Child Loop BB4_1117 Depth 2
                                        ;     Child Loop BB4_1142 Depth 2
                                        ;     Child Loop BB4_1166 Depth 2
	v_sub_nc_u64_e32 v[10:11], v[4:5], v[102:103]
	s_delay_alu instid0(VALU_DEP_1) | instskip(NEXT) | instid1(VALU_DEP_1)
	v_min_u64 v[112:113], v[50:51], v[10:11]
	v_add_nc_u32_e32 v10, 15, v112
	s_delay_alu instid0(VALU_DEP_2) | instskip(NEXT) | instid1(VALU_DEP_2)
	v_cmp_eq_u64_e32 vcc_lo, 0, v[112:113]
	v_and_b32_e32 v10, 0x3ffffff0, v10
	s_or_b32 s17, s1, vcc_lo
	s_delay_alu instid0(SALU_CYCLE_1) | instskip(NEXT) | instid1(VALU_DEP_1)
	s_xor_b32 s10, s17, -1
	v_dual_mov_b32 v10, 0 :: v_dual_max_i32 v113, s14, v10
	s_and_saveexec_b32 s18, s10
	s_cbranch_execz .LBB4_1135
; %bb.988:                              ;   in Loop: Header=BB4_987 Depth=1
	s_and_saveexec_b32 s10, s0
	s_cbranch_execz .LBB4_990
; %bb.989:                              ;   in Loop: Header=BB4_987 Depth=1
	s_trap 2
	ds_load_b64 v[10:11], v0
	s_wait_dscnt 0x0
	v_lshl_add_u64 v[10:11], v[26:27], 1, v[10:11]
	s_delay_alu instid0(VALU_DEP_1)
	v_lshl_add_u64 v[10:11], v[102:103], 1, v[10:11]
	ds_store_b64 v0, v[10:11]
	ds_store_b64 v0, v[100:101]
.LBB4_990:                              ;   in Loop: Header=BB4_987 Depth=1
	s_or_b32 exec_lo, exec_lo, s10
	v_and_b32_e32 v10, 8, v30
	v_min_u32_e32 v113, v113, v112
	s_mov_b32 s19, exec_lo
	s_delay_alu instid0(VALU_DEP_2)
	v_cmpx_ne_u32_e32 0, v10
	s_cbranch_execz .LBB4_1012
; %bb.991:                              ;   in Loop: Header=BB4_987 Depth=1
	s_wait_loadcnt 0x0
	v_add_nc_u64_e32 v[12:13], 8, v[38:39]
	v_add_nc_u64_e32 v[10:11], 1, v[8:9]
	s_mov_b32 s20, exec_lo
	s_delay_alu instid0(VALU_DEP_1)
	v_cmpx_lt_u64_e64 v[12:13], v[10:11]
	s_cbranch_execz .LBB4_1003
; %bb.992:                              ;   in Loop: Header=BB4_987 Depth=1
	v_and_b32_e32 v9, 64, v30
	s_mov_b32 s21, 0
	s_mov_b32 s25, 0
                                        ; implicit-def: $sgpr22
                                        ; implicit-def: $sgpr23
                                        ; implicit-def: $sgpr24
	s_delay_alu instid0(VALU_DEP_1)
	v_cmp_eq_u32_e32 vcc_lo, 0, v9
	s_branch .LBB4_996
.LBB4_993:                              ;   in Loop: Header=BB4_996 Depth=2
	s_wait_loadcnt_dscnt 0x0
	v_add_nc_u64_e32 v[12:13], 8, v[38:39]
	s_or_b32 s28, s28, exec_lo
	s_delay_alu instid0(VALU_DEP_1)
	v_cmp_ge_u64_e64 s10, v[12:13], v[10:11]
	s_or_not1_b32 s27, s10, exec_lo
.LBB4_994:                              ;   in Loop: Header=BB4_996 Depth=2
	s_or_b32 exec_lo, exec_lo, s40
	s_delay_alu instid0(SALU_CYCLE_1)
	s_and_not1_b32 s10, s24, exec_lo
	s_and_b32 s24, s28, exec_lo
	s_and_not1_b32 s23, s23, exec_lo
	s_and_b32 s27, s27, exec_lo
	s_or_b32 s24, s10, s24
	s_or_b32 s23, s23, s27
.LBB4_995:                              ;   in Loop: Header=BB4_996 Depth=2
	s_or_b32 exec_lo, exec_lo, s26
	s_delay_alu instid0(SALU_CYCLE_1) | instskip(NEXT) | instid1(SALU_CYCLE_1)
	s_and_b32 s10, exec_lo, s23
	s_or_b32 s21, s10, s21
	s_and_not1_b32 s10, s22, exec_lo
	s_and_b32 s22, s24, exec_lo
	s_delay_alu instid0(SALU_CYCLE_1)
	s_or_b32 s22, s10, s22
	s_and_not1_b32 exec_lo, exec_lo, s21
	s_cbranch_execz .LBB4_1000
.LBB4_996:                              ;   Parent Loop BB4_987 Depth=1
                                        ; =>  This Inner Loop Header: Depth=2
	s_sleep 1
	s_wait_loadcnt_dscnt 0x0
	flat_load_b64 v[38:39], v[32:33] scope:SCOPE_SYS
	s_or_b32 s24, s24, exec_lo
	s_or_b32 s23, s23, exec_lo
                                        ; implicit-def: $vgpr9
	s_wait_xcnt 0x0
	s_and_saveexec_b32 s26, vcc_lo
	s_cbranch_execz .LBB4_995
; %bb.997:                              ;   in Loop: Header=BB4_996 Depth=2
	s_cmp_lt_i32 s25, 0x270f
	s_mov_b32 s27, -1
	s_cselect_b32 s29, -1, 0
	s_cmp_gt_i32 s25, 0x270e
	s_cbranch_scc0 .LBB4_999
; %bb.998:                              ;   in Loop: Header=BB4_996 Depth=2
	s_trap 2
	ds_load_b64 v[12:13], v0
	s_and_not1_b32 s25, s29, exec_lo
	s_mov_b32 s28, 0
	s_wait_storecnt 0x0
	s_wait_loadcnt_dscnt 0x0
	flat_load_b32 v9, v[12:13] scope:SCOPE_SYS
	s_wait_loadcnt_dscnt 0x0
	global_inv scope:SCOPE_SYS
	v_cmp_eq_u32_e64 s10, 0, v9
	s_and_b32 s10, s10, exec_lo
	s_delay_alu instid0(SALU_CYCLE_1)
	s_or_b32 s29, s25, s10
	s_mov_b32 s25, 0
	s_wait_xcnt 0x0
	s_and_saveexec_b32 s40, s29
	s_cbranch_execz .LBB4_994
	s_branch .LBB4_993
.LBB4_999:                              ;   in Loop: Header=BB4_996 Depth=2
	s_add_co_i32 s25, s25, 1
	s_mov_b32 s28, -1
                                        ; implicit-def: $vgpr9
	s_and_saveexec_b32 s40, s29
	s_cbranch_execz .LBB4_994
	s_branch .LBB4_993
.LBB4_1000:                             ;   in Loop: Header=BB4_987 Depth=1
	s_or_b32 exec_lo, exec_lo, s21
	s_xor_b32 s10, s22, -1
	s_delay_alu instid0(SALU_CYCLE_1) | instskip(NEXT) | instid1(SALU_CYCLE_1)
	s_and_saveexec_b32 s21, s10
	s_xor_b32 s10, exec_lo, s21
	s_cbranch_execz .LBB4_1002
; %bb.1001:                             ;   in Loop: Header=BB4_987 Depth=1
	v_or_b32_e32 v30, 64, v30
	s_wait_storecnt 0x0
	s_wait_loadcnt_dscnt 0x0
	ds_store_b32 v0, v9
	s_trap 2
.LBB4_1002:                             ;   in Loop: Header=BB4_987 Depth=1
	s_or_b32 exec_lo, exec_lo, s10
.LBB4_1003:                             ;   in Loop: Header=BB4_987 Depth=1
	s_delay_alu instid0(SALU_CYCLE_1) | instskip(SKIP_4) | instid1(VALU_DEP_2)
	s_or_b32 exec_lo, exec_lo, s20
	v_and_b32_e32 v9, 0x100, v30
	v_and_b32_e32 v54, 7, v8
	s_mov_b32 s10, -1
	;;#ASMSTART
	s_wakeup
	;;#ASMEND
	v_cmp_ne_u32_e32 vcc_lo, 0, v9
                                        ; implicit-def: $vgpr8_vgpr9
	s_and_saveexec_b32 s20, vcc_lo
	s_cbranch_execz .LBB4_1007
; %bb.1004:                             ;   in Loop: Header=BB4_987 Depth=1
	v_mad_nc_u64_u32 v[12:13], v54, 24, v[6:7]
	v_dual_mov_b32 v9, v55 :: v_dual_lshlrev_b32 v8, 1, v113
	s_mov_b32 s21, exec_lo
	s_clause 0x1
	flat_load_b32 v14, v[12:13]
	flat_store_b64 v[12:13], v[8:9] offset:8
                                        ; implicit-def: $vgpr8_vgpr9
	s_wait_loadcnt_dscnt 0x1
	v_cmp_ne_u32_e32 vcc_lo, 1, v14
	s_wait_xcnt 0x0
	v_cmpx_eq_u32_e32 1, v14
	s_cbranch_execz .LBB4_1006
; %bb.1005:                             ;   in Loop: Header=BB4_987 Depth=1
	flat_load_b32 v8, v[12:13] offset:4 scope:SCOPE_SYS
	s_wait_loadcnt_dscnt 0x0
	v_ashrrev_i32_e32 v9, 31, v8
	s_delay_alu instid0(VALU_DEP_1)
	v_lshrrev_b64 v[8:9], 1, v[8:9]
.LBB4_1006:                             ;   in Loop: Header=BB4_987 Depth=1
	s_wait_xcnt 0x0
	s_or_b32 exec_lo, exec_lo, s21
	s_delay_alu instid0(SALU_CYCLE_1)
	s_or_not1_b32 s10, vcc_lo, exec_lo
.LBB4_1007:                             ;   in Loop: Header=BB4_987 Depth=1
	s_or_b32 exec_lo, exec_lo, s20
	s_and_saveexec_b32 s20, s10
; %bb.1008:                             ;   in Loop: Header=BB4_987 Depth=1
	v_mul_u64_e32 v[8:9], v[54:55], v[34:35]
; %bb.1009:                             ;   in Loop: Header=BB4_987 Depth=1
	s_or_b32 exec_lo, exec_lo, s20
	v_and_b32_e32 v12, 0x2000, v30
	s_delay_alu instid0(VALU_DEP_2)
	v_lshl_add_u64 v[8:9], v[8:9], 1, v[36:37]
	s_mov_b32 s10, exec_lo
	ds_store_b64 v0, v[8:9] offset:784
	v_cmpx_ne_u32_e32 0, v12
	s_cbranch_execz .LBB4_1011
; %bb.1010:                             ;   in Loop: Header=BB4_987 Depth=1
	ds_load_b64 v[8:9], v0 offset:872
	s_wait_dscnt 0x0
	v_add_nc_u64_e32 v[8:9], 1, v[8:9]
	ds_store_b64 v0, v[8:9] offset:872
.LBB4_1011:                             ;   in Loop: Header=BB4_987 Depth=1
	s_or_b32 exec_lo, exec_lo, s10
	v_mov_b64_e32 v[8:9], v[10:11]
.LBB4_1012:                             ;   in Loop: Header=BB4_987 Depth=1
	s_or_b32 exec_lo, exec_lo, s19
	s_and_saveexec_b32 s10, s2
	s_cbranch_execz .LBB4_1031
; %bb.1013:                             ;   in Loop: Header=BB4_987 Depth=1
	s_and_saveexec_b32 s19, s3
	s_delay_alu instid0(SALU_CYCLE_1)
	s_xor_b32 s19, exec_lo, s19
	s_cbranch_execz .LBB4_1028
; %bb.1014:                             ;   in Loop: Header=BB4_987 Depth=1
	s_and_saveexec_b32 s20, s4
	s_cbranch_execz .LBB4_1027
; %bb.1015:                             ;   in Loop: Header=BB4_987 Depth=1
	s_mov_b32 s22, exec_lo
	s_mov_b32 s21, exec_lo
	v_mbcnt_lo_u32_b32 v10, s22, 0
	global_wb scope:SCOPE_DEV
	s_wait_storecnt 0x0
	s_wait_loadcnt_dscnt 0x0
	global_inv scope:SCOPE_DEV
	v_cmpx_eq_u32_e32 0, v10
	s_cbranch_execz .LBB4_1017
; %bb.1016:                             ;   in Loop: Header=BB4_987 Depth=1
	s_bcnt1_i32_b32 s22, s22
	s_delay_alu instid0(SALU_CYCLE_1)
	v_mov_b32_e32 v54, s22
	s_wait_loadcnt 0x0
	ds_add_u64 v0, v[54:55]
	s_trap 2
.LBB4_1017:                             ;   in Loop: Header=BB4_987 Depth=1
	s_or_b32 exec_lo, exec_lo, s21
	s_trap 2
	ds_load_b64 v[10:11], v0
	s_wait_dscnt 0x0
	v_add_nc_u64_e32 v[48:49], v[48:49], v[64:65]
	s_mov_b32 s21, exec_lo
	s_delay_alu instid0(VALU_DEP_1)
	v_cmpx_lt_u64_e64 v[10:11], v[48:49]
	s_cbranch_execz .LBB4_1026
; %bb.1018:                             ;   in Loop: Header=BB4_987 Depth=1
	s_mov_b32 s22, 0
	s_mov_b32 s25, 0
                                        ; implicit-def: $sgpr23
                                        ; implicit-def: $sgpr24
	s_branch .LBB4_1020
.LBB4_1019:                             ;   in Loop: Header=BB4_1020 Depth=2
	s_or_b32 exec_lo, exec_lo, s27
	s_delay_alu instid0(SALU_CYCLE_1) | instskip(NEXT) | instid1(SALU_CYCLE_1)
	s_and_b32 s26, exec_lo, s28
	s_or_b32 s22, s26, s22
	s_and_not1_b32 s23, s23, exec_lo
	s_and_b32 s26, s24, exec_lo
	s_delay_alu instid0(SALU_CYCLE_1)
	s_or_b32 s23, s23, s26
	s_and_not1_b32 exec_lo, exec_lo, s22
	s_cbranch_execz .LBB4_1024
.LBB4_1020:                             ;   Parent Loop BB4_987 Depth=1
                                        ; =>  This Inner Loop Header: Depth=2
	s_add_co_i32 s25, s25, 1
	s_delay_alu instid0(SALU_CYCLE_1) | instskip(SKIP_1) | instid1(SALU_CYCLE_1)
	s_cmp_lg_u32 s25, 0x2710
	s_cselect_b32 s26, -1, 0
	s_and_b32 vcc_lo, exec_lo, s26
	s_cbranch_vccz .LBB4_1022
; %bb.1021:                             ;   in Loop: Header=BB4_1020 Depth=2
	s_mov_b32 s28, -1
	s_or_b32 s24, s24, exec_lo
	s_and_saveexec_b32 s27, s26
	s_cbranch_execz .LBB4_1019
	s_branch .LBB4_1023
.LBB4_1022:                             ;   in Loop: Header=BB4_1020 Depth=2
	s_trap 2
	ds_load_b64 v[10:11], v0
	s_and_not1_b32 s26, s26, exec_lo
	s_mov_b32 s25, 0
	s_wait_loadcnt_dscnt 0x0
	flat_load_b32 v10, v[10:11] scope:SCOPE_SYS
	s_wait_loadcnt_dscnt 0x0
	global_inv scope:SCOPE_SYS
	v_cmp_eq_u32_e32 vcc_lo, 0, v10
	s_and_b32 s27, vcc_lo, exec_lo
	s_delay_alu instid0(SALU_CYCLE_1)
	s_or_b32 s26, s26, s27
	s_mov_b32 s28, -1
	s_or_b32 s24, s24, exec_lo
	s_wait_xcnt 0x0
	s_and_saveexec_b32 s27, s26
	s_cbranch_execz .LBB4_1019
.LBB4_1023:                             ;   in Loop: Header=BB4_1020 Depth=2
	s_sleep 1
	s_trap 2
	ds_load_b64 v[10:11], v0
	s_wait_dscnt 0x0
	s_and_not1_b32 s24, s24, exec_lo
	v_cmp_ge_u64_e32 vcc_lo, v[10:11], v[48:49]
	s_or_not1_b32 s28, vcc_lo, exec_lo
	s_branch .LBB4_1019
.LBB4_1024:                             ;   in Loop: Header=BB4_987 Depth=1
	s_or_b32 exec_lo, exec_lo, s22
	s_and_saveexec_b32 s22, s23
	s_delay_alu instid0(SALU_CYCLE_1)
	s_xor_b32 s22, exec_lo, s22
	s_cbranch_execz .LBB4_1026
; %bb.1025:                             ;   in Loop: Header=BB4_987 Depth=1
	ds_store_b32 v0, v57
	s_trap 2
.LBB4_1026:                             ;   in Loop: Header=BB4_987 Depth=1
	s_or_b32 exec_lo, exec_lo, s21
	;;#ASMSTART
	s_wakeup
	;;#ASMEND
.LBB4_1027:                             ;   in Loop: Header=BB4_987 Depth=1
	s_or_b32 exec_lo, exec_lo, s20
.LBB4_1028:                             ;   in Loop: Header=BB4_987 Depth=1
	s_and_not1_saveexec_b32 s19, s19
	s_cbranch_execz .LBB4_1030
; %bb.1029:                             ;   in Loop: Header=BB4_987 Depth=1
	global_wb scope:SCOPE_DEV
	s_wait_storecnt 0x0
	s_wait_loadcnt_dscnt 0x0
	global_inv scope:SCOPE_DEV
	s_barrier_signal -1
	s_barrier_wait -1
.LBB4_1030:                             ;   in Loop: Header=BB4_987 Depth=1
	s_or_b32 exec_lo, exec_lo, s19
.LBB4_1031:                             ;   in Loop: Header=BB4_987 Depth=1
	s_delay_alu instid0(SALU_CYCLE_1) | instskip(SKIP_3) | instid1(VALU_DEP_1)
	s_or_b32 exec_lo, exec_lo, s10
	s_trap 2
	ds_load_b32 v10, v0
	v_and_b32_e32 v11, 0x4000, v30
	v_cmp_ne_u32_e32 vcc_lo, 0, v11
	s_and_b32 s19, s15, vcc_lo
	s_delay_alu instid0(SALU_CYCLE_1)
	s_and_saveexec_b32 s10, s19
	s_cbranch_execz .LBB4_1050
; %bb.1032:                             ;   in Loop: Header=BB4_987 Depth=1
	s_and_saveexec_b32 s19, s3
	s_delay_alu instid0(SALU_CYCLE_1)
	s_xor_b32 s19, exec_lo, s19
	s_cbranch_execz .LBB4_1047
; %bb.1033:                             ;   in Loop: Header=BB4_987 Depth=1
	s_and_saveexec_b32 s20, s4
	s_cbranch_execz .LBB4_1046
; %bb.1034:                             ;   in Loop: Header=BB4_987 Depth=1
	s_mov_b32 s22, exec_lo
	s_mov_b32 s21, exec_lo
	v_mbcnt_lo_u32_b32 v11, s22, 0
	global_wb scope:SCOPE_DEV
	s_wait_storecnt 0x0
	s_wait_loadcnt_dscnt 0x0
	global_inv scope:SCOPE_DEV
	v_cmpx_eq_u32_e32 0, v11
	s_cbranch_execz .LBB4_1036
; %bb.1035:                             ;   in Loop: Header=BB4_987 Depth=1
	s_bcnt1_i32_b32 s22, s22
	s_delay_alu instid0(SALU_CYCLE_1)
	v_mov_b32_e32 v54, s22
	s_wait_loadcnt 0x0
	ds_add_u64 v0, v[54:55]
	s_trap 2
.LBB4_1036:                             ;   in Loop: Header=BB4_987 Depth=1
	s_or_b32 exec_lo, exec_lo, s21
	s_trap 2
	ds_load_b64 v[12:13], v0
	s_wait_dscnt 0x0
	v_add_nc_u64_e32 v[48:49], v[48:49], v[64:65]
	s_mov_b32 s21, exec_lo
	s_delay_alu instid0(VALU_DEP_1)
	v_cmpx_lt_u64_e64 v[12:13], v[48:49]
	s_cbranch_execz .LBB4_1045
; %bb.1037:                             ;   in Loop: Header=BB4_987 Depth=1
	s_mov_b32 s22, 0
	s_mov_b32 s25, 0
                                        ; implicit-def: $sgpr23
                                        ; implicit-def: $sgpr24
	s_branch .LBB4_1039
.LBB4_1038:                             ;   in Loop: Header=BB4_1039 Depth=2
	s_or_b32 exec_lo, exec_lo, s27
	s_delay_alu instid0(SALU_CYCLE_1) | instskip(NEXT) | instid1(SALU_CYCLE_1)
	s_and_b32 s26, exec_lo, s28
	s_or_b32 s22, s26, s22
	s_and_not1_b32 s23, s23, exec_lo
	s_and_b32 s26, s24, exec_lo
	s_delay_alu instid0(SALU_CYCLE_1)
	s_or_b32 s23, s23, s26
	s_and_not1_b32 exec_lo, exec_lo, s22
	s_cbranch_execz .LBB4_1043
.LBB4_1039:                             ;   Parent Loop BB4_987 Depth=1
                                        ; =>  This Inner Loop Header: Depth=2
	s_add_co_i32 s25, s25, 1
	s_delay_alu instid0(SALU_CYCLE_1) | instskip(SKIP_1) | instid1(SALU_CYCLE_1)
	s_cmp_lg_u32 s25, 0x2710
	s_cselect_b32 s26, -1, 0
	s_and_b32 vcc_lo, exec_lo, s26
	s_cbranch_vccz .LBB4_1041
; %bb.1040:                             ;   in Loop: Header=BB4_1039 Depth=2
	s_mov_b32 s28, -1
	s_or_b32 s24, s24, exec_lo
	s_and_saveexec_b32 s27, s26
	s_cbranch_execz .LBB4_1038
	s_branch .LBB4_1042
.LBB4_1041:                             ;   in Loop: Header=BB4_1039 Depth=2
	s_trap 2
	ds_load_b64 v[12:13], v0
	s_and_not1_b32 s26, s26, exec_lo
	s_mov_b32 s25, 0
	s_wait_loadcnt_dscnt 0x0
	flat_load_b32 v11, v[12:13] scope:SCOPE_SYS
	s_wait_loadcnt_dscnt 0x0
	global_inv scope:SCOPE_SYS
	v_cmp_eq_u32_e32 vcc_lo, 0, v11
	s_and_b32 s27, vcc_lo, exec_lo
	s_delay_alu instid0(SALU_CYCLE_1)
	s_or_b32 s26, s26, s27
	s_mov_b32 s28, -1
	s_or_b32 s24, s24, exec_lo
	s_wait_xcnt 0x0
	s_and_saveexec_b32 s27, s26
	s_cbranch_execz .LBB4_1038
.LBB4_1042:                             ;   in Loop: Header=BB4_1039 Depth=2
	s_sleep 1
	s_trap 2
	ds_load_b64 v[12:13], v0
	s_wait_dscnt 0x0
	s_and_not1_b32 s24, s24, exec_lo
	v_cmp_ge_u64_e32 vcc_lo, v[12:13], v[48:49]
	s_or_not1_b32 s28, vcc_lo, exec_lo
	s_branch .LBB4_1038
.LBB4_1043:                             ;   in Loop: Header=BB4_987 Depth=1
	s_or_b32 exec_lo, exec_lo, s22
	s_and_saveexec_b32 s22, s23
	s_delay_alu instid0(SALU_CYCLE_1)
	s_xor_b32 s22, exec_lo, s22
	s_cbranch_execz .LBB4_1045
; %bb.1044:                             ;   in Loop: Header=BB4_987 Depth=1
	ds_store_b32 v0, v57
	s_trap 2
.LBB4_1045:                             ;   in Loop: Header=BB4_987 Depth=1
	s_or_b32 exec_lo, exec_lo, s21
	;;#ASMSTART
	s_wakeup
	;;#ASMEND
.LBB4_1046:                             ;   in Loop: Header=BB4_987 Depth=1
	s_or_b32 exec_lo, exec_lo, s20
.LBB4_1047:                             ;   in Loop: Header=BB4_987 Depth=1
	s_and_not1_saveexec_b32 s19, s19
	s_cbranch_execz .LBB4_1049
; %bb.1048:                             ;   in Loop: Header=BB4_987 Depth=1
	global_wb scope:SCOPE_DEV
	s_wait_storecnt 0x0
	s_wait_loadcnt_dscnt 0x0
	global_inv scope:SCOPE_DEV
	s_barrier_signal -1
	s_barrier_wait -1
.LBB4_1049:                             ;   in Loop: Header=BB4_987 Depth=1
	s_or_b32 exec_lo, exec_lo, s19
.LBB4_1050:                             ;   in Loop: Header=BB4_987 Depth=1
	s_delay_alu instid0(SALU_CYCLE_1)
	s_or_b32 exec_lo, exec_lo, s10
	s_trap 2
	ds_load_b64 v[114:115], v0
	s_wait_dscnt 0x0
	v_cmp_eq_u64_e32 vcc_lo, 0, v[114:115]
	s_cbranch_vccnz .LBB4_1058
; %bb.1051:                             ;   in Loop: Header=BB4_987 Depth=1
	s_trap 2
	ds_load_b64 v[116:117], v0
	s_wait_dscnt 0x0
	v_cmp_eq_u64_e32 vcc_lo, 0, v[116:117]
	s_cbranch_vccnz .LBB4_1058
; %bb.1052:                             ;   in Loop: Header=BB4_987 Depth=1
	s_mov_b32 s10, -1
	s_and_saveexec_b32 s19, s5
	s_cbranch_execz .LBB4_1054
; %bb.1053:                             ;   in Loop: Header=BB4_987 Depth=1
	ds_load_b32 v11, v0 offset:720
	s_wait_dscnt 0x0
	v_and_b32_e32 v11, 15, v11
	s_delay_alu instid0(VALU_DEP_1)
	v_cmp_eq_u32_e32 vcc_lo, 0, v11
	s_or_not1_b32 s10, vcc_lo, exec_lo
.LBB4_1054:                             ;   in Loop: Header=BB4_987 Depth=1
	s_or_b32 exec_lo, exec_lo, s19
	s_and_saveexec_b32 s19, s6
	s_cbranch_execz .LBB4_1056
; %bb.1055:                             ;   in Loop: Header=BB4_987 Depth=1
	ds_load_b32 v11, v0 offset:784
	s_wait_dscnt 0x0
	v_and_b32_e32 v11, 15, v11
	s_delay_alu instid0(VALU_DEP_1) | instskip(SKIP_3) | instid1(SALU_CYCLE_1)
	v_cmp_eq_u32_e32 vcc_lo, 0, v11
	s_and_b32 s20, s10, vcc_lo
	s_and_not1_b32 s10, s10, exec_lo
	s_and_b32 s20, s20, exec_lo
	s_or_b32 s10, s10, s20
.LBB4_1056:                             ;   in Loop: Header=BB4_987 Depth=1
	s_or_b32 exec_lo, exec_lo, s19
	s_xor_b32 s10, s10, -1
	s_mov_b32 s20, -1
	v_cndmask_b32_e64 v11, 0, 1, s10
	v_cmp_eq_u32_e64 s10, 0, v10
	s_delay_alu instid0(VALU_DEP_2)
	v_cmp_ne_u32_e32 vcc_lo, 0, v11
	s_cbranch_vccz .LBB4_1059
; %bb.1057:                             ;   in Loop: Header=BB4_987 Depth=1
	s_mov_b32 s20, 0
	s_mov_b32 s19, -1
	s_branch .LBB4_1060
.LBB4_1058:                             ;   in Loop: Header=BB4_987 Depth=1
	s_mov_b32 s10, 0
	s_and_saveexec_b32 s19, s2
	s_cbranch_execnz .LBB4_1110
	s_branch .LBB4_1128
.LBB4_1059:                             ;   in Loop: Header=BB4_987 Depth=1
	s_mov_b32 s19, 0
.LBB4_1060:                             ;   in Loop: Header=BB4_987 Depth=1
	v_dual_cndmask_b32 v54, 0, v113, s10 :: v_dual_mov_b32 v16, 0
	s_and_not1_b32 vcc_lo, exec_lo, s20
	s_delay_alu instid0(VALU_DEP_1)
	v_lshlrev_b32_e32 v58, 1, v54
	s_cbranch_vccnz .LBB4_1068
; %bb.1061:                             ;   in Loop: Header=BB4_987 Depth=1
	v_lshrrev_b32_e32 v59, 9, v54
	v_add_nc_u64_e32 v[118:119], v[116:117], v[82:83]
	s_mov_b32 s20, 0
	s_mov_b32 s10, exec_lo
                                        ; implicit-def: $vgpr10_vgpr11
                                        ; implicit-def: $vgpr14_vgpr15
	s_delay_alu instid0(VALU_DEP_2) | instskip(NEXT) | instid1(VALU_DEP_1)
	v_sub_nc_u32_e32 v60, v59, v56
	v_cmpx_lt_i32_e32 0, v60
	s_cbranch_execz .LBB4_1070
; %bb.1062:                             ;   in Loop: Header=BB4_987 Depth=1
	v_add_nc_u64_e32 v[40:41], v[114:115], v[82:83]
	s_mov_b32 s22, 0
                                        ; implicit-def: $sgpr21
                                        ; implicit-def: $vgpr10_vgpr11
                                        ; implicit-def: $vgpr14_vgpr15
	s_branch .LBB4_1064
.LBB4_1063:                             ;   in Loop: Header=BB4_1064 Depth=2
	s_or_b32 exec_lo, exec_lo, s23
	s_delay_alu instid0(VALU_DEP_1) | instskip(NEXT) | instid1(VALU_DEP_3)
	v_sub_nc_u32_e32 v60, v60, v61
	v_add_nc_u64_e32 v[62:63], v[118:119], v[42:43]
	s_wait_loadcnt 0x1
	global_store_b128 v[118:119], v[18:21], off th:TH_STORE_NT
	s_wait_loadcnt 0x0
	global_store_b128 v[118:119], v[22:25], off offset:512 th:TH_STORE_NT
	v_add_nc_u64_e32 v[40:41], v[40:41], v[42:43]
	v_cmp_gt_i32_e32 vcc_lo, 1, v60
	s_wait_xcnt 0x0
	v_add_nc_u64_e32 v[118:119], 0x400, v[62:63]
	s_or_b32 s20, vcc_lo, s20
	s_and_not1_b32 s21, s21, exec_lo
	s_and_b32 s23, s22, exec_lo
	s_delay_alu instid0(SALU_CYCLE_1)
	s_or_b32 s21, s21, s23
	s_and_not1_b32 exec_lo, exec_lo, s20
	s_cbranch_execz .LBB4_1069
.LBB4_1064:                             ;   Parent Loop BB4_987 Depth=1
                                        ; =>  This Inner Loop Header: Depth=2
	s_clause 0x1
	global_load_b128 v[18:21], v[40:41], off th:TH_LOAD_NT
	global_load_b128 v[22:25], v[40:41], off offset:512 th:TH_LOAD_NT
	s_wait_xcnt 0x0
	s_and_saveexec_b32 s23, s22
	s_cbranch_execz .LBB4_1066
; %bb.1065:                             ;   in Loop: Header=BB4_1064 Depth=2
	v_add_nc_u64_e32 v[42:43], v[118:119], v[84:85]
	s_clause 0x1
	global_store_b128 v[118:119], v[10:13], off th:TH_STORE_NT
	global_store_b128 v[118:119], v[14:17], off offset:512 th:TH_STORE_NT
	s_wait_xcnt 0x0
	v_mov_b64_e32 v[118:119], v[42:43]
.LBB4_1066:                             ;   in Loop: Header=BB4_1064 Depth=2
	s_or_b32 exec_lo, exec_lo, s23
	v_dual_mov_b32 v61, 0 :: v_dual_sub_nc_u32 v60, v60, v64
	v_add_nc_u64_e32 v[40:41], v[40:41], v[84:85]
	v_mov_b64_e32 v[42:43], 0
	s_delay_alu instid0(VALU_DEP_3)
	v_cmp_lt_i32_e64 s22, 0, v60
	s_and_saveexec_b32 s23, s22
	s_cbranch_execz .LBB4_1063
; %bb.1067:                             ;   in Loop: Header=BB4_1064 Depth=2
	s_clause 0x1
	global_load_b128 v[10:13], v[40:41], off th:TH_LOAD_NT
	global_load_b128 v[14:17], v[40:41], off offset:512 th:TH_LOAD_NT
	s_wait_xcnt 0x0
	v_add_nc_u64_e32 v[40:41], 0x400, v[40:41]
	v_mov_b64_e32 v[42:43], v[66:67]
	v_mov_b32_e32 v61, v64
	s_branch .LBB4_1063
.LBB4_1068:                             ;   in Loop: Header=BB4_987 Depth=1
	v_dual_mov_b32 v10, v0 :: v_dual_mov_b32 v17, v45
	s_and_saveexec_b32 s10, s19
	s_cbranch_execnz .LBB4_1089
	s_branch .LBB4_1109
.LBB4_1069:                             ;   in Loop: Header=BB4_987 Depth=1
	s_or_b32 exec_lo, exec_lo, s20
	s_delay_alu instid0(SALU_CYCLE_1)
	s_and_b32 s20, s21, exec_lo
.LBB4_1070:                             ;   in Loop: Header=BB4_987 Depth=1
	s_or_b32 exec_lo, exec_lo, s10
	s_and_saveexec_b32 s10, s20
	s_cbranch_execz .LBB4_1072
; %bb.1071:                             ;   in Loop: Header=BB4_987 Depth=1
	s_clause 0x1
	global_store_b128 v[118:119], v[10:13], off th:TH_STORE_NT
	global_store_b128 v[118:119], v[14:17], off offset:512 th:TH_STORE_NT
.LBB4_1072:                             ;   in Loop: Header=BB4_987 Depth=1
	s_wait_xcnt 0x0
	s_or_b32 exec_lo, exec_lo, s10
	v_lshlrev_b32_e32 v22, 10, v59
	s_mov_b32 s20, exec_lo
                                        ; implicit-def: $vgpr16
                                        ; implicit-def: $vgpr10
                                        ; implicit-def: $vgpr17
	s_delay_alu instid0(VALU_DEP_1)
	v_cmpx_ne_u32_e64 v58, v22
	s_cbranch_execz .LBB4_1088
; %bb.1073:                             ;   in Loop: Header=BB4_987 Depth=1
	v_dual_lshlrev_b32 v10, 5, v60 :: v_dual_sub_nc_u32 v14, v58, v22
	s_mov_b32 s22, 0
	s_mov_b32 s21, exec_lo
	s_delay_alu instid0(VALU_DEP_1) | instskip(NEXT) | instid1(VALU_DEP_2)
	v_sub_nc_u32_e32 v10, v45, v10
	v_ashrrev_i32_e32 v13, 31, v14
	s_delay_alu instid0(VALU_DEP_2) | instskip(NEXT) | instid1(VALU_DEP_1)
	v_ashrrev_i32_e32 v11, 31, v10
	v_lshrrev_b32_e32 v11, 27, v11
	s_delay_alu instid0(VALU_DEP_1) | instskip(NEXT) | instid1(VALU_DEP_1)
	v_add_nc_u32_e32 v11, v10, v11
	v_and_b32_e32 v12, 0xffffffe0, v11
	s_delay_alu instid0(VALU_DEP_1) | instskip(NEXT) | instid1(VALU_DEP_1)
	v_dual_ashrrev_i32 v11, 5, v11 :: v_dual_sub_nc_u32 v23, v10, v12
	v_dual_lshrrev_b32 v10, 23, v13 :: v_dual_lshlrev_b32 v12, 4, v23
	s_delay_alu instid0(VALU_DEP_1) | instskip(NEXT) | instid1(VALU_DEP_2)
	v_add_nc_u32_e32 v10, v14, v10
	v_lshl_add_u32 v15, v11, 9, v12
	s_delay_alu instid0(VALU_DEP_2) | instskip(NEXT) | instid1(VALU_DEP_1)
	v_and_b32_e32 v24, 0xfffffe00, v10
	v_dual_add_nc_u32 v12, v15, v22 :: v_dual_sub_nc_u32 v25, v14, v24
	v_dual_ashrrev_i32 v10, 9, v10 :: v_dual_sub_nc_u32 v119, v14, v15
	s_delay_alu instid0(VALU_DEP_2) | instskip(NEXT) | instid1(VALU_DEP_3)
	v_ashrrev_i32_e32 v13, 31, v12
	v_cmp_lt_i32_e32 vcc_lo, 15, v25
	s_delay_alu instid0(VALU_DEP_2) | instskip(NEXT) | instid1(VALU_DEP_4)
	v_add_nc_u64_e32 v[18:19], v[12:13], v[116:117]
	v_add_co_ci_u32_e64 v10, null, 0, v10, vcc_lo
	s_delay_alu instid0(VALU_DEP_1)
	v_sub_nc_u32_e32 v118, v10, v11
                                        ; implicit-def: $vgpr10_vgpr11
	v_cmpx_lt_i32_e32 15, v119
	s_cbranch_execz .LBB4_1083
; %bb.1074:                             ;   in Loop: Header=BB4_987 Depth=1
	v_add_nc_u64_e32 v[20:21], v[12:13], v[114:115]
	s_mov_b32 s24, 0
                                        ; implicit-def: $sgpr23
                                        ; implicit-def: $vgpr10_vgpr11
	s_branch .LBB4_1076
.LBB4_1075:                             ;   in Loop: Header=BB4_1076 Depth=2
	s_or_b32 exec_lo, exec_lo, s10
	s_delay_alu instid0(VALU_DEP_1) | instskip(SKIP_3) | instid1(SALU_CYCLE_1)
	v_cmp_gt_i32_e64 s10, 16, v119
	s_or_b32 s22, s10, s22
	s_and_not1_b32 s10, s23, exec_lo
	s_and_b32 s23, s24, exec_lo
	s_or_b32 s23, s10, s23
	s_and_not1_b32 exec_lo, exec_lo, s22
	s_cbranch_execz .LBB4_1082
.LBB4_1076:                             ;   Parent Loop BB4_987 Depth=1
                                        ; =>  This Inner Loop Header: Depth=2
	global_load_b128 v[14:17], v[20:21], off th:TH_LOAD_NT
	s_wait_xcnt 0x0
	s_and_saveexec_b32 s10, s24
	s_cbranch_execz .LBB4_1078
; %bb.1077:                             ;   in Loop: Header=BB4_1076 Depth=2
	v_add_nc_u64_e32 v[40:41], v[18:19], v[86:87]
	global_store_b128 v[18:19], v[10:13], off th:TH_STORE_NT
	s_wait_xcnt 0x0
	v_mov_b64_e32 v[18:19], v[40:41]
.LBB4_1078:                             ;   in Loop: Header=BB4_1076 Depth=2
	s_or_b32 exec_lo, exec_lo, s10
	v_sub_nc_u32_e32 v119, v119, v46
	v_add_nc_u64_e32 v[20:21], v[20:21], v[86:87]
	s_delay_alu instid0(VALU_DEP_2)
	v_cmp_lt_i32_e64 s24, 15, v119
	s_and_saveexec_b32 s10, s24
	s_cbranch_execz .LBB4_1080
; %bb.1079:                             ;   in Loop: Header=BB4_1076 Depth=2
	global_load_b128 v[10:13], v[20:21], off th:TH_LOAD_NT
	s_wait_xcnt 0x0
	v_add_nc_u64_e32 v[20:21], 0x200, v[20:21]
.LBB4_1080:                             ;   in Loop: Header=BB4_1076 Depth=2
	s_or_b32 exec_lo, exec_lo, s10
	s_wait_loadcnt 0x0
	global_store_b128 v[18:19], v[14:17], off th:TH_STORE_NT
	s_wait_xcnt 0x0
	v_add_nc_u64_e32 v[18:19], 0x200, v[18:19]
	v_sub_nc_u32_e32 v118, v118, v64
	s_and_saveexec_b32 s10, s24
	s_cbranch_execz .LBB4_1075
; %bb.1081:                             ;   in Loop: Header=BB4_1076 Depth=2
	v_add_nc_u64_e32 v[20:21], v[20:21], v[68:69]
	s_delay_alu instid0(VALU_DEP_3)
	v_add_nc_u64_e32 v[18:19], v[18:19], v[68:69]
	v_dual_sub_nc_u32 v118, v118, v64 :: v_dual_sub_nc_u32 v119, v119, v46
	s_branch .LBB4_1075
.LBB4_1082:                             ;   in Loop: Header=BB4_987 Depth=1
	s_or_b32 exec_lo, exec_lo, s22
	s_delay_alu instid0(SALU_CYCLE_1)
	s_and_b32 s22, s23, exec_lo
.LBB4_1083:                             ;   in Loop: Header=BB4_987 Depth=1
	s_or_b32 exec_lo, exec_lo, s21
	s_and_saveexec_b32 s10, s22
	s_cbranch_execz .LBB4_1085
; %bb.1084:                             ;   in Loop: Header=BB4_987 Depth=1
	global_store_b128 v[18:19], v[10:13], off th:TH_STORE_NT
.LBB4_1085:                             ;   in Loop: Header=BB4_987 Depth=1
	s_wait_xcnt 0x0
	s_or_b32 exec_lo, exec_lo, s10
	v_and_b32_e32 v11, 14, v58
	s_mov_b32 s22, s19
	s_mov_b32 s21, exec_lo
                                        ; implicit-def: $vgpr16
                                        ; implicit-def: $vgpr10
                                        ; implicit-def: $vgpr17
	s_delay_alu instid0(VALU_DEP_1) | instskip(NEXT) | instid1(VALU_DEP_1)
	v_cndmask_b32_e32 v58, v25, v11, vcc_lo
	v_cmpx_ne_u32_e32 0, v58
	s_cbranch_execz .LBB4_1087
; %bb.1086:                             ;   in Loop: Header=BB4_987 Depth=1
	v_cmp_lt_i32_e64 s10, 0, v118
	s_or_b32 s22, s19, exec_lo
	v_dual_sub_nc_u32 v11, v25, v11 :: v_dual_cndmask_b32 v10, 0, v64, s10
	s_delay_alu instid0(VALU_DEP_1) | instskip(NEXT) | instid1(VALU_DEP_1)
	v_dual_cndmask_b32 v11, 0, v11 :: v_dual_sub_nc_u32 v10, v10, v118
	v_add3_u32 v16, v24, v22, v11
	s_delay_alu instid0(VALU_DEP_2) | instskip(NEXT) | instid1(VALU_DEP_1)
	v_lshl_add_u32 v10, v10, 5, v23
	v_ashrrev_i32_e32 v12, 31, v10
	s_delay_alu instid0(VALU_DEP_1) | instskip(NEXT) | instid1(VALU_DEP_1)
	v_lshrrev_b32_e32 v12, 27, v12
	v_add_nc_u32_e32 v12, v10, v12
	s_delay_alu instid0(VALU_DEP_1) | instskip(NEXT) | instid1(VALU_DEP_1)
	v_and_b32_e32 v12, 0xffffffe0, v12
	v_sub_nc_u32_e32 v17, v10, v12
.LBB4_1087:                             ;   in Loop: Header=BB4_987 Depth=1
	s_or_b32 exec_lo, exec_lo, s21
	s_delay_alu instid0(SALU_CYCLE_1) | instskip(SKIP_1) | instid1(SALU_CYCLE_1)
	s_and_not1_b32 s10, s19, exec_lo
	s_and_b32 s19, s22, exec_lo
	s_or_b32 s19, s10, s19
.LBB4_1088:                             ;   in Loop: Header=BB4_987 Depth=1
	s_or_b32 exec_lo, exec_lo, s20
	s_and_saveexec_b32 s10, s19
	s_cbranch_execz .LBB4_1109
.LBB4_1089:                             ;   in Loop: Header=BB4_987 Depth=1
	s_delay_alu instid0(VALU_DEP_1) | instskip(SKIP_2) | instid1(VALU_DEP_1)
	v_ashrrev_i32_e32 v11, 31, v10
	s_mov_b32 s20, 0
	s_mov_b32 s19, exec_lo
                                        ; implicit-def: $vgpr19
                                        ; implicit-def: $vgpr20
                                        ; implicit-def: $vgpr21
                                        ; implicit-def: $vgpr22
	v_dual_lshlrev_b32 v13, 1, v17 :: v_dual_lshrrev_b32 v11, 27, v11
	s_delay_alu instid0(VALU_DEP_1) | instskip(NEXT) | instid1(VALU_DEP_1)
	v_dual_add_nc_u32 v10, v10, v11 :: v_dual_ashrrev_i32 v11, 31, v58
	v_dual_ashrrev_i32 v10, 5, v10 :: v_dual_lshrrev_b32 v11, 24, v11
	s_delay_alu instid0(VALU_DEP_1) | instskip(NEXT) | instid1(VALU_DEP_1)
	v_lshlrev_b32_e32 v12, 8, v10
	v_add3_u32 v12, v16, v13, v12
	s_delay_alu instid0(VALU_DEP_1) | instskip(NEXT) | instid1(VALU_DEP_1)
	v_dual_add_nc_u32 v11, v58, v11 :: v_dual_ashrrev_i32 v13, 31, v12
	v_ashrrev_i32_e32 v18, 8, v11
	s_delay_alu instid0(VALU_DEP_1) | instskip(NEXT) | instid1(VALU_DEP_3)
	v_sub_nc_u32_e32 v23, v18, v10
	v_add_nc_u64_e32 v[10:11], v[116:117], v[12:13]
	s_delay_alu instid0(VALU_DEP_2)
	v_cmpx_lt_i32_e32 0, v23
	s_cbranch_execz .LBB4_1097
; %bb.1090:                             ;   in Loop: Header=BB4_987 Depth=1
	v_add_nc_u64_e32 v[12:13], v[12:13], v[114:115]
	s_mov_b32 s22, 0
                                        ; implicit-def: $sgpr21
                                        ; implicit-def: $vgpr19
                                        ; implicit-def: $vgpr20
                                        ; implicit-def: $vgpr21
                                        ; implicit-def: $vgpr22
	s_branch .LBB4_1092
.LBB4_1091:                             ;   in Loop: Header=BB4_1092 Depth=2
	s_or_b32 exec_lo, exec_lo, s23
	s_delay_alu instid0(VALU_DEP_1) | instskip(NEXT) | instid1(VALU_DEP_3)
	v_sub_nc_u32_e32 v23, v23, v40
	v_add_nc_u64_e32 v[40:41], v[10:11], v[14:15]
	s_wait_loadcnt_dscnt 0x303
	flat_store_b16 v[10:11], v24 th:TH_STORE_NT
	s_wait_loadcnt_dscnt 0x203
	flat_store_b16 v[10:11], v25 offset:64 th:TH_STORE_NT
	s_wait_loadcnt_dscnt 0x103
	flat_store_b16 v[10:11], v118 offset:128 th:TH_STORE_NT
	;; [unrolled: 2-line block ×3, first 2 shown]
	v_add_nc_u64_e32 v[12:13], v[12:13], v[14:15]
	v_cmp_gt_i32_e32 vcc_lo, 1, v23
	s_wait_xcnt 0x0
	v_add_nc_u64_e32 v[10:11], 0x100, v[40:41]
	s_or_b32 s20, vcc_lo, s20
	s_and_not1_b32 s21, s21, exec_lo
	s_and_b32 s23, s22, exec_lo
	s_delay_alu instid0(SALU_CYCLE_1)
	s_or_b32 s21, s21, s23
	s_and_not1_b32 exec_lo, exec_lo, s20
	s_cbranch_execz .LBB4_1096
.LBB4_1092:                             ;   Parent Loop BB4_987 Depth=1
                                        ; =>  This Inner Loop Header: Depth=2
	s_clause 0x3
	flat_load_u16 v24, v[12:13] th:TH_LOAD_NT
	flat_load_u16 v25, v[12:13] offset:64 th:TH_LOAD_NT
	flat_load_u16 v118, v[12:13] offset:128 th:TH_LOAD_NT
	;; [unrolled: 1-line block ×3, first 2 shown]
	s_wait_xcnt 0x0
	s_and_saveexec_b32 s23, s22
	s_cbranch_execz .LBB4_1094
; %bb.1093:                             ;   in Loop: Header=BB4_1092 Depth=2
	s_clause 0x3
	flat_store_b16 v[10:11], v19 th:TH_STORE_NT
	flat_store_b16 v[10:11], v20 offset:64 th:TH_STORE_NT
	flat_store_b16 v[10:11], v21 offset:128 th:TH_STORE_NT
	;; [unrolled: 1-line block ×3, first 2 shown]
	s_wait_xcnt 0x0
	v_add_nc_u64_e32 v[10:11], v[10:11], v[96:97]
.LBB4_1094:                             ;   in Loop: Header=BB4_1092 Depth=2
	s_or_b32 exec_lo, exec_lo, s23
	v_dual_mov_b32 v40, 0 :: v_dual_sub_nc_u32 v23, v23, v64
	v_add_nc_u64_e32 v[12:13], v[12:13], v[96:97]
	v_mov_b64_e32 v[14:15], 0
	s_delay_alu instid0(VALU_DEP_3)
	v_cmp_lt_i32_e64 s22, 0, v23
	s_and_saveexec_b32 s23, s22
	s_cbranch_execz .LBB4_1091
; %bb.1095:                             ;   in Loop: Header=BB4_1092 Depth=2
	s_clause 0x3
	flat_load_u16 v19, v[12:13] th:TH_LOAD_NT
	flat_load_u16 v20, v[12:13] offset:64 th:TH_LOAD_NT
	flat_load_u16 v21, v[12:13] offset:128 th:TH_LOAD_NT
	;; [unrolled: 1-line block ×3, first 2 shown]
	s_wait_xcnt 0x0
	v_add_nc_u64_e32 v[12:13], 0x100, v[12:13]
	v_mov_b64_e32 v[14:15], v[70:71]
	v_mov_b32_e32 v40, v64
	s_branch .LBB4_1091
.LBB4_1096:                             ;   in Loop: Header=BB4_987 Depth=1
	s_or_b32 exec_lo, exec_lo, s20
	s_delay_alu instid0(SALU_CYCLE_1)
	s_and_b32 s20, s21, exec_lo
.LBB4_1097:                             ;   in Loop: Header=BB4_987 Depth=1
	s_or_b32 exec_lo, exec_lo, s19
	s_and_saveexec_b32 s19, s20
	s_cbranch_execz .LBB4_1099
; %bb.1098:                             ;   in Loop: Header=BB4_987 Depth=1
	s_clause 0x3
	flat_store_b16 v[10:11], v19 th:TH_STORE_NT
	flat_store_b16 v[10:11], v20 offset:64 th:TH_STORE_NT
	flat_store_b16 v[10:11], v21 offset:128 th:TH_STORE_NT
	;; [unrolled: 1-line block ×3, first 2 shown]
.LBB4_1099:                             ;   in Loop: Header=BB4_987 Depth=1
	s_wait_xcnt 0x0
	s_or_b32 exec_lo, exec_lo, s19
	v_lshlrev_b32_e32 v10, 8, v18
	s_delay_alu instid0(VALU_DEP_1)
	v_cmp_ne_u32_e32 vcc_lo, v58, v10
	s_and_b32 exec_lo, exec_lo, vcc_lo
	s_cbranch_execz .LBB4_1109
; %bb.1100:                             ;   in Loop: Header=BB4_987 Depth=1
	v_lshlrev_b32_e32 v11, 5, v23
	s_delay_alu instid0(VALU_DEP_1) | instskip(NEXT) | instid1(VALU_DEP_1)
	v_sub_nc_u32_e32 v11, v17, v11
	v_ashrrev_i32_e32 v12, 31, v11
	s_delay_alu instid0(VALU_DEP_1) | instskip(NEXT) | instid1(VALU_DEP_1)
	v_lshrrev_b32_e32 v12, 27, v12
	v_add_nc_u32_e32 v12, v11, v12
	s_delay_alu instid0(VALU_DEP_1) | instskip(NEXT) | instid1(VALU_DEP_1)
	v_and_b32_e32 v13, 0x7fffffe0, v12
	v_dual_lshlrev_b32 v12, 1, v12 :: v_dual_sub_nc_u32 v11, v11, v13
	s_delay_alu instid0(VALU_DEP_1) | instskip(NEXT) | instid1(VALU_DEP_2)
	v_and_b32_e32 v12, 0xffffffc0, v12
	v_lshlrev_b32_e32 v11, 1, v11
	s_delay_alu instid0(VALU_DEP_1) | instskip(NEXT) | instid1(VALU_DEP_1)
	v_add3_u32 v10, v12, v11, v10
	v_sub_nc_u32_e32 v17, v58, v10
	s_delay_alu instid0(VALU_DEP_1)
	v_cmp_lt_i32_e32 vcc_lo, 1, v17
	s_and_b32 exec_lo, exec_lo, vcc_lo
	s_cbranch_execz .LBB4_1109
; %bb.1101:                             ;   in Loop: Header=BB4_987 Depth=1
	v_add_nc_u32_e32 v12, v10, v16
	s_mov_b32 s21, 0
	s_mov_b32 s19, 0
                                        ; implicit-def: $sgpr20
                                        ; implicit-def: $vgpr16
	s_delay_alu instid0(VALU_DEP_1) | instskip(NEXT) | instid1(VALU_DEP_1)
	v_ashrrev_i32_e32 v13, 31, v12
	v_add_nc_u64_e32 v[10:11], v[116:117], v[12:13]
	v_add_nc_u64_e32 v[12:13], v[12:13], v[114:115]
	s_branch .LBB4_1103
.LBB4_1102:                             ;   in Loop: Header=BB4_1103 Depth=2
	s_or_b32 exec_lo, exec_lo, s22
	s_delay_alu instid0(VALU_DEP_1) | instskip(NEXT) | instid1(VALU_DEP_3)
	v_sub_nc_u32_e32 v17, v17, v19
	v_add_nc_u64_e32 v[20:21], v[10:11], v[14:15]
	s_wait_loadcnt_dscnt 0x0
	flat_store_b16 v[10:11], v18 th:TH_STORE_NT
	v_add_nc_u64_e32 v[12:13], v[12:13], v[14:15]
	v_cmp_gt_i32_e32 vcc_lo, 2, v17
	s_wait_xcnt 0x0
	v_add_nc_u64_e32 v[10:11], 64, v[20:21]
	s_or_b32 s19, vcc_lo, s19
	s_and_not1_b32 s20, s20, exec_lo
	s_and_b32 s22, s21, exec_lo
	s_delay_alu instid0(SALU_CYCLE_1)
	s_or_b32 s20, s20, s22
	s_and_not1_b32 exec_lo, exec_lo, s19
	s_cbranch_execz .LBB4_1107
.LBB4_1103:                             ;   Parent Loop BB4_987 Depth=1
                                        ; =>  This Inner Loop Header: Depth=2
	flat_load_u16 v18, v[12:13] th:TH_LOAD_NT
	s_wait_xcnt 0x0
	s_and_saveexec_b32 s22, s21
	s_cbranch_execz .LBB4_1105
; %bb.1104:                             ;   in Loop: Header=BB4_1103 Depth=2
	v_add_nc_u64_e32 v[14:15], v[10:11], v[98:99]
	flat_store_b16 v[10:11], v16 th:TH_STORE_NT
	s_wait_xcnt 0x0
	v_mov_b64_e32 v[10:11], v[14:15]
.LBB4_1105:                             ;   in Loop: Header=BB4_1103 Depth=2
	s_or_b32 exec_lo, exec_lo, s22
	v_dual_sub_nc_u32 v17, v17, v47 :: v_dual_mov_b32 v19, 0
	v_add_nc_u64_e32 v[12:13], v[12:13], v[98:99]
	v_mov_b64_e32 v[14:15], 0
	s_delay_alu instid0(VALU_DEP_3)
	v_cmp_lt_i32_e64 s21, 1, v17
	s_and_saveexec_b32 s22, s21
	s_cbranch_execz .LBB4_1102
; %bb.1106:                             ;   in Loop: Header=BB4_1103 Depth=2
	flat_load_u16 v16, v[12:13] th:TH_LOAD_NT
	s_wait_xcnt 0x0
	v_add_nc_u64_e32 v[12:13], 64, v[12:13]
	v_mov_b64_e32 v[14:15], v[80:81]
	v_mov_b32_e32 v19, v47
	s_branch .LBB4_1102
.LBB4_1107:                             ;   in Loop: Header=BB4_987 Depth=1
	s_or_b32 exec_lo, exec_lo, s19
	s_delay_alu instid0(SALU_CYCLE_1)
	s_and_b32 exec_lo, exec_lo, s20
	s_cbranch_execz .LBB4_1109
; %bb.1108:                             ;   in Loop: Header=BB4_987 Depth=1
	flat_store_b16 v[10:11], v16 th:TH_STORE_NT
.LBB4_1109:                             ;   in Loop: Header=BB4_987 Depth=1
	s_wait_xcnt 0x0
	s_or_b32 exec_lo, exec_lo, s10
	v_cmp_ne_u32_e64 s10, 0, v54
	s_and_saveexec_b32 s19, s2
	s_cbranch_execz .LBB4_1128
.LBB4_1110:                             ;   in Loop: Header=BB4_987 Depth=1
	s_and_saveexec_b32 s20, s3
	s_delay_alu instid0(SALU_CYCLE_1)
	s_xor_b32 s20, exec_lo, s20
	s_cbranch_execz .LBB4_1125
; %bb.1111:                             ;   in Loop: Header=BB4_987 Depth=1
	s_and_saveexec_b32 s21, s4
	s_cbranch_execz .LBB4_1124
; %bb.1112:                             ;   in Loop: Header=BB4_987 Depth=1
	s_mov_b32 s23, exec_lo
	s_mov_b32 s22, exec_lo
	v_mbcnt_lo_u32_b32 v10, s23, 0
	global_wb scope:SCOPE_DEV
	s_wait_storecnt 0x0
	s_wait_loadcnt_dscnt 0x0
	global_inv scope:SCOPE_DEV
	v_cmpx_eq_u32_e32 0, v10
	s_cbranch_execz .LBB4_1114
; %bb.1113:                             ;   in Loop: Header=BB4_987 Depth=1
	s_bcnt1_i32_b32 s23, s23
	s_delay_alu instid0(SALU_CYCLE_1)
	v_mov_b32_e32 v54, s23
	s_wait_loadcnt 0x0
	ds_add_u64 v0, v[54:55]
	s_trap 2
.LBB4_1114:                             ;   in Loop: Header=BB4_987 Depth=1
	s_or_b32 exec_lo, exec_lo, s22
	s_trap 2
	ds_load_b64 v[10:11], v0
	s_wait_dscnt 0x0
	v_add_nc_u64_e32 v[48:49], v[48:49], v[64:65]
	s_mov_b32 s22, exec_lo
	s_delay_alu instid0(VALU_DEP_1)
	v_cmpx_lt_u64_e64 v[10:11], v[48:49]
	s_cbranch_execz .LBB4_1123
; %bb.1115:                             ;   in Loop: Header=BB4_987 Depth=1
	s_mov_b32 s23, 0
	s_mov_b32 s26, 0
                                        ; implicit-def: $sgpr24
                                        ; implicit-def: $sgpr25
	s_branch .LBB4_1117
.LBB4_1116:                             ;   in Loop: Header=BB4_1117 Depth=2
	s_or_b32 exec_lo, exec_lo, s28
	s_delay_alu instid0(SALU_CYCLE_1) | instskip(NEXT) | instid1(SALU_CYCLE_1)
	s_and_b32 s27, exec_lo, s29
	s_or_b32 s23, s27, s23
	s_and_not1_b32 s24, s24, exec_lo
	s_and_b32 s27, s25, exec_lo
	s_delay_alu instid0(SALU_CYCLE_1)
	s_or_b32 s24, s24, s27
	s_and_not1_b32 exec_lo, exec_lo, s23
	s_cbranch_execz .LBB4_1121
.LBB4_1117:                             ;   Parent Loop BB4_987 Depth=1
                                        ; =>  This Inner Loop Header: Depth=2
	s_add_co_i32 s26, s26, 1
	s_delay_alu instid0(SALU_CYCLE_1) | instskip(SKIP_1) | instid1(SALU_CYCLE_1)
	s_cmp_lg_u32 s26, 0x2710
	s_cselect_b32 s27, -1, 0
	s_and_b32 vcc_lo, exec_lo, s27
	s_cbranch_vccz .LBB4_1119
; %bb.1118:                             ;   in Loop: Header=BB4_1117 Depth=2
	s_mov_b32 s29, -1
	s_or_b32 s25, s25, exec_lo
	s_and_saveexec_b32 s28, s27
	s_cbranch_execz .LBB4_1116
	s_branch .LBB4_1120
.LBB4_1119:                             ;   in Loop: Header=BB4_1117 Depth=2
	s_trap 2
	ds_load_b64 v[10:11], v0
	s_and_not1_b32 s27, s27, exec_lo
	s_mov_b32 s26, 0
	s_wait_loadcnt_dscnt 0x0
	flat_load_b32 v10, v[10:11] scope:SCOPE_SYS
	s_wait_loadcnt_dscnt 0x0
	global_inv scope:SCOPE_SYS
	v_cmp_eq_u32_e32 vcc_lo, 0, v10
	s_and_b32 s28, vcc_lo, exec_lo
	s_delay_alu instid0(SALU_CYCLE_1)
	s_or_b32 s27, s27, s28
	s_mov_b32 s29, -1
	s_or_b32 s25, s25, exec_lo
	s_and_saveexec_b32 s28, s27
	s_cbranch_execz .LBB4_1116
.LBB4_1120:                             ;   in Loop: Header=BB4_1117 Depth=2
	s_sleep 1
	s_trap 2
	ds_load_b64 v[10:11], v0
	s_wait_dscnt 0x0
	s_and_not1_b32 s25, s25, exec_lo
	v_cmp_ge_u64_e32 vcc_lo, v[10:11], v[48:49]
	s_or_not1_b32 s29, vcc_lo, exec_lo
	s_branch .LBB4_1116
.LBB4_1121:                             ;   in Loop: Header=BB4_987 Depth=1
	s_or_b32 exec_lo, exec_lo, s23
	s_and_saveexec_b32 s23, s24
	s_delay_alu instid0(SALU_CYCLE_1)
	s_xor_b32 s23, exec_lo, s23
	s_cbranch_execz .LBB4_1123
; %bb.1122:                             ;   in Loop: Header=BB4_987 Depth=1
	ds_store_b32 v0, v57
	s_trap 2
.LBB4_1123:                             ;   in Loop: Header=BB4_987 Depth=1
	s_or_b32 exec_lo, exec_lo, s22
	;;#ASMSTART
	s_wakeup
	;;#ASMEND
.LBB4_1124:                             ;   in Loop: Header=BB4_987 Depth=1
	s_or_b32 exec_lo, exec_lo, s21
.LBB4_1125:                             ;   in Loop: Header=BB4_987 Depth=1
	s_and_not1_saveexec_b32 s20, s20
	s_cbranch_execz .LBB4_1127
; %bb.1126:                             ;   in Loop: Header=BB4_987 Depth=1
	global_wb scope:SCOPE_DEV
	s_wait_storecnt 0x0
	s_wait_loadcnt_dscnt 0x0
	global_inv scope:SCOPE_DEV
	s_barrier_signal -1
	s_barrier_wait -1
.LBB4_1127:                             ;   in Loop: Header=BB4_987 Depth=1
	s_or_b32 exec_lo, exec_lo, s20
.LBB4_1128:                             ;   in Loop: Header=BB4_987 Depth=1
	s_delay_alu instid0(SALU_CYCLE_1) | instskip(SKIP_1) | instid1(VALU_DEP_1)
	s_or_b32 exec_lo, exec_lo, s19
	v_and_b32_e32 v10, 16, v30
	v_cmp_ne_u32_e32 vcc_lo, 0, v10
	s_and_b32 s19, vcc_lo, s10
	s_delay_alu instid0(SALU_CYCLE_1)
	s_and_saveexec_b32 s10, s19
	s_cbranch_execz .LBB4_1130
; %bb.1129:                             ;   in Loop: Header=BB4_987 Depth=1
	global_wb scope:SCOPE_SYS
	s_wait_storecnt 0x0
	s_wait_loadcnt_dscnt 0x0
	global_inv scope:SCOPE_SYS
.LBB4_1130:                             ;   in Loop: Header=BB4_987 Depth=1
	s_or_b32 exec_lo, exec_lo, s10
	s_delay_alu instid0(SALU_CYCLE_1)
	s_mov_b32 s10, exec_lo
	v_cmpx_ne_u32_e32 0, v10
	s_cbranch_execz .LBB4_1134
; %bb.1131:                             ;   in Loop: Header=BB4_987 Depth=1
	s_and_saveexec_b32 s19, s7
	s_cbranch_execz .LBB4_1133
; %bb.1132:                             ;   in Loop: Header=BB4_987 Depth=1
	global_wb scope:SCOPE_SYS
	s_wait_storecnt 0x0
	s_wait_loadcnt_dscnt 0x0
	flat_store_b32 v[52:53], v57 scope:SCOPE_SYS
.LBB4_1133:                             ;   in Loop: Header=BB4_987 Depth=1
	s_wait_xcnt 0x0
	s_or_b32 exec_lo, exec_lo, s19
	v_add_nc_u64_e32 v[8:9], 1, v[8:9]
	global_wb scope:SCOPE_SYS
	s_wait_storecnt 0x0
	s_wait_loadcnt_dscnt 0x0
	flat_store_b64 v[32:33], v[8:9] scope:SCOPE_SYS
.LBB4_1134:                             ;   in Loop: Header=BB4_987 Depth=1
	s_wait_xcnt 0x0
	s_or_b32 exec_lo, exec_lo, s10
	v_mov_b32_e32 v10, v113
.LBB4_1135:                             ;   in Loop: Header=BB4_987 Depth=1
	s_or_b32 exec_lo, exec_lo, s18
	s_and_saveexec_b32 s18, s17
	s_cbranch_execz .LBB4_986
; %bb.1136:                             ;   in Loop: Header=BB4_987 Depth=1
	s_delay_alu instid0(VALU_DEP_1) | instskip(SKIP_2) | instid1(VALU_DEP_2)
	v_sub_nc_u32_e32 v10, v112, v10
	v_and_b32_e32 v11, 8, v30
	s_mov_b32 s17, exec_lo
	v_min_i32_e32 v10, v113, v10
	s_delay_alu instid0(VALU_DEP_2)
	v_cmpx_ne_u32_e32 0, v11
	s_cbranch_execz .LBB4_1158
; %bb.1137:                             ;   in Loop: Header=BB4_987 Depth=1
	s_wait_loadcnt 0x0
	v_add_nc_u64_e32 v[14:15], 8, v[38:39]
	v_add_nc_u64_e32 v[12:13], 1, v[8:9]
	s_mov_b32 s19, exec_lo
	s_delay_alu instid0(VALU_DEP_1)
	v_cmpx_lt_u64_e64 v[14:15], v[12:13]
	s_cbranch_execz .LBB4_1149
; %bb.1138:                             ;   in Loop: Header=BB4_987 Depth=1
	v_and_b32_e32 v9, 64, v30
	s_mov_b32 s20, 0
	s_mov_b32 s24, 0
                                        ; implicit-def: $sgpr21
                                        ; implicit-def: $sgpr22
                                        ; implicit-def: $sgpr23
	s_delay_alu instid0(VALU_DEP_1)
	v_cmp_eq_u32_e32 vcc_lo, 0, v9
	s_branch .LBB4_1142
.LBB4_1139:                             ;   in Loop: Header=BB4_1142 Depth=2
	s_wait_loadcnt_dscnt 0x0
	v_add_nc_u64_e32 v[14:15], 8, v[38:39]
	s_or_b32 s27, s27, exec_lo
	s_delay_alu instid0(VALU_DEP_1)
	v_cmp_ge_u64_e64 s10, v[14:15], v[12:13]
	s_or_not1_b32 s26, s10, exec_lo
.LBB4_1140:                             ;   in Loop: Header=BB4_1142 Depth=2
	s_or_b32 exec_lo, exec_lo, s29
	s_delay_alu instid0(SALU_CYCLE_1)
	s_and_not1_b32 s10, s23, exec_lo
	s_and_b32 s23, s27, exec_lo
	s_and_not1_b32 s22, s22, exec_lo
	s_and_b32 s26, s26, exec_lo
	s_or_b32 s23, s10, s23
	s_or_b32 s22, s22, s26
.LBB4_1141:                             ;   in Loop: Header=BB4_1142 Depth=2
	s_or_b32 exec_lo, exec_lo, s25
	s_delay_alu instid0(SALU_CYCLE_1) | instskip(NEXT) | instid1(SALU_CYCLE_1)
	s_and_b32 s10, exec_lo, s22
	s_or_b32 s20, s10, s20
	s_and_not1_b32 s10, s21, exec_lo
	s_and_b32 s21, s23, exec_lo
	s_delay_alu instid0(SALU_CYCLE_1)
	s_or_b32 s21, s10, s21
	s_and_not1_b32 exec_lo, exec_lo, s20
	s_cbranch_execz .LBB4_1146
.LBB4_1142:                             ;   Parent Loop BB4_987 Depth=1
                                        ; =>  This Inner Loop Header: Depth=2
	s_sleep 1
	s_wait_loadcnt_dscnt 0x0
	flat_load_b64 v[38:39], v[32:33] scope:SCOPE_SYS
	s_or_b32 s23, s23, exec_lo
	s_or_b32 s22, s22, exec_lo
                                        ; implicit-def: $vgpr9
	s_wait_xcnt 0x0
	s_and_saveexec_b32 s25, vcc_lo
	s_cbranch_execz .LBB4_1141
; %bb.1143:                             ;   in Loop: Header=BB4_1142 Depth=2
	s_cmp_lt_i32 s24, 0x270f
	s_mov_b32 s26, -1
	s_cselect_b32 s28, -1, 0
	s_cmp_gt_i32 s24, 0x270e
	s_cbranch_scc0 .LBB4_1145
; %bb.1144:                             ;   in Loop: Header=BB4_1142 Depth=2
	s_trap 2
	ds_load_b64 v[14:15], v0
	s_and_not1_b32 s24, s28, exec_lo
	s_mov_b32 s27, 0
	s_wait_storecnt 0x0
	s_wait_loadcnt_dscnt 0x0
	flat_load_b32 v9, v[14:15] scope:SCOPE_SYS
	s_wait_loadcnt_dscnt 0x0
	global_inv scope:SCOPE_SYS
	v_cmp_eq_u32_e64 s10, 0, v9
	s_and_b32 s10, s10, exec_lo
	s_delay_alu instid0(SALU_CYCLE_1)
	s_or_b32 s28, s24, s10
	s_mov_b32 s24, 0
	s_and_saveexec_b32 s29, s28
	s_cbranch_execz .LBB4_1140
	s_branch .LBB4_1139
.LBB4_1145:                             ;   in Loop: Header=BB4_1142 Depth=2
	s_add_co_i32 s24, s24, 1
	s_mov_b32 s27, -1
                                        ; implicit-def: $vgpr9
	s_and_saveexec_b32 s29, s28
	s_cbranch_execz .LBB4_1140
	s_branch .LBB4_1139
.LBB4_1146:                             ;   in Loop: Header=BB4_987 Depth=1
	s_or_b32 exec_lo, exec_lo, s20
	s_xor_b32 s10, s21, -1
	s_delay_alu instid0(SALU_CYCLE_1) | instskip(NEXT) | instid1(SALU_CYCLE_1)
	s_and_saveexec_b32 s20, s10
	s_xor_b32 s10, exec_lo, s20
	s_cbranch_execz .LBB4_1148
; %bb.1147:                             ;   in Loop: Header=BB4_987 Depth=1
	v_or_b32_e32 v30, 64, v30
	s_wait_storecnt 0x0
	s_wait_loadcnt_dscnt 0x0
	ds_store_b32 v0, v9
	s_trap 2
.LBB4_1148:                             ;   in Loop: Header=BB4_987 Depth=1
	s_or_b32 exec_lo, exec_lo, s10
.LBB4_1149:                             ;   in Loop: Header=BB4_987 Depth=1
	s_delay_alu instid0(SALU_CYCLE_1) | instskip(SKIP_4) | instid1(VALU_DEP_1)
	s_or_b32 exec_lo, exec_lo, s19
	v_and_b32_e32 v9, 0x100, v30
	s_mov_b32 s19, 0
	s_mov_b32 s10, exec_lo
	;;#ASMSTART
	s_wakeup
	;;#ASMEND
                                        ; implicit-def: $vgpr14_vgpr15
	v_cmpx_ne_u32_e32 0, v9
	s_xor_b32 s10, exec_lo, s10
	s_cbranch_execz .LBB4_1170
; %bb.1150:                             ;   in Loop: Header=BB4_987 Depth=1
	v_dual_ashrrev_i32 v11, 31, v10 :: v_dual_bitop2_b32 v54, 7, v8 bitop3:0x40
	s_mov_b32 s19, -1
	s_mov_b32 s20, exec_lo
	s_delay_alu instid0(VALU_DEP_1) | instskip(NEXT) | instid1(VALU_DEP_2)
	v_mad_nc_u64_u32 v[16:17], v54, 24, v[6:7]
	v_lshlrev_b64_e32 v[14:15], 1, v[10:11]
	s_clause 0x1
	flat_load_b32 v9, v[16:17]
	flat_store_b64 v[16:17], v[14:15] offset:8
                                        ; implicit-def: $vgpr14_vgpr15
	s_wait_loadcnt_dscnt 0x1
	v_cmpx_eq_u32_e32 1, v9
	s_cbranch_execz .LBB4_1152
; %bb.1151:                             ;   in Loop: Header=BB4_987 Depth=1
	flat_load_b32 v14, v[16:17] offset:4 scope:SCOPE_SYS
	s_xor_b32 s19, exec_lo, -1
	s_wait_loadcnt_dscnt 0x0
	v_ashrrev_i32_e32 v15, 31, v14
	s_delay_alu instid0(VALU_DEP_1)
	v_lshrrev_b64 v[14:15], 1, v[14:15]
.LBB4_1152:                             ;   in Loop: Header=BB4_987 Depth=1
	s_wait_xcnt 0x0
	s_or_b32 exec_lo, exec_lo, s20
	s_delay_alu instid0(SALU_CYCLE_1)
	s_and_b32 s19, s19, exec_lo
	s_and_not1_saveexec_b32 s10, s10
	s_cbranch_execnz .LBB4_1171
.LBB4_1153:                             ;   in Loop: Header=BB4_987 Depth=1
	s_or_b32 exec_lo, exec_lo, s10
	s_and_saveexec_b32 s10, s19
.LBB4_1154:                             ;   in Loop: Header=BB4_987 Depth=1
	v_mul_u64_e32 v[14:15], v[54:55], v[34:35]
.LBB4_1155:                             ;   in Loop: Header=BB4_987 Depth=1
	s_or_b32 exec_lo, exec_lo, s10
	v_and_b32_e32 v11, 0x2000, v30
	s_delay_alu instid0(VALU_DEP_2)
	v_lshl_add_u64 v[8:9], v[14:15], 1, v[36:37]
	s_mov_b32 s10, exec_lo
	ds_store_b64 v0, v[8:9] offset:784
	v_cmpx_ne_u32_e32 0, v11
	s_cbranch_execz .LBB4_1157
; %bb.1156:                             ;   in Loop: Header=BB4_987 Depth=1
	ds_load_b64 v[8:9], v0 offset:872
	s_wait_dscnt 0x0
	v_add_nc_u64_e32 v[8:9], 1, v[8:9]
	ds_store_b64 v0, v[8:9] offset:872
.LBB4_1157:                             ;   in Loop: Header=BB4_987 Depth=1
	s_or_b32 exec_lo, exec_lo, s10
	v_mov_b64_e32 v[8:9], v[12:13]
.LBB4_1158:                             ;   in Loop: Header=BB4_987 Depth=1
	s_or_b32 exec_lo, exec_lo, s17
	s_and_saveexec_b32 s10, s2
	s_cbranch_execz .LBB4_1179
; %bb.1159:                             ;   in Loop: Header=BB4_987 Depth=1
	s_and_saveexec_b32 s17, s3
	s_delay_alu instid0(SALU_CYCLE_1)
	s_xor_b32 s17, exec_lo, s17
	s_cbranch_execz .LBB4_1176
; %bb.1160:                             ;   in Loop: Header=BB4_987 Depth=1
	s_and_saveexec_b32 s19, s4
	s_cbranch_execz .LBB4_1175
; %bb.1161:                             ;   in Loop: Header=BB4_987 Depth=1
	s_mov_b32 s21, exec_lo
	s_mov_b32 s20, exec_lo
	v_mbcnt_lo_u32_b32 v11, s21, 0
	global_wb scope:SCOPE_DEV
	s_wait_storecnt 0x0
	s_wait_loadcnt_dscnt 0x0
	global_inv scope:SCOPE_DEV
	v_cmpx_eq_u32_e32 0, v11
	s_cbranch_execz .LBB4_1163
; %bb.1162:                             ;   in Loop: Header=BB4_987 Depth=1
	s_bcnt1_i32_b32 s21, s21
	s_delay_alu instid0(SALU_CYCLE_1)
	v_mov_b32_e32 v54, s21
	s_wait_loadcnt 0x0
	ds_add_u64 v0, v[54:55]
	s_trap 2
.LBB4_1163:                             ;   in Loop: Header=BB4_987 Depth=1
	s_or_b32 exec_lo, exec_lo, s20
	s_trap 2
	ds_load_b64 v[12:13], v0
	s_wait_dscnt 0x0
	v_add_nc_u64_e32 v[48:49], v[48:49], v[64:65]
	s_mov_b32 s20, exec_lo
	s_delay_alu instid0(VALU_DEP_1)
	v_cmpx_lt_u64_e64 v[12:13], v[48:49]
	s_cbranch_execz .LBB4_1174
; %bb.1164:                             ;   in Loop: Header=BB4_987 Depth=1
	s_mov_b32 s21, 0
	s_mov_b32 s24, 0
                                        ; implicit-def: $sgpr22
                                        ; implicit-def: $sgpr23
	s_branch .LBB4_1166
.LBB4_1165:                             ;   in Loop: Header=BB4_1166 Depth=2
	s_or_b32 exec_lo, exec_lo, s26
	s_delay_alu instid0(SALU_CYCLE_1) | instskip(NEXT) | instid1(SALU_CYCLE_1)
	s_and_b32 s25, exec_lo, s27
	s_or_b32 s21, s25, s21
	s_and_not1_b32 s22, s22, exec_lo
	s_and_b32 s25, s23, exec_lo
	s_delay_alu instid0(SALU_CYCLE_1)
	s_or_b32 s22, s22, s25
	s_and_not1_b32 exec_lo, exec_lo, s21
	s_cbranch_execz .LBB4_1172
.LBB4_1166:                             ;   Parent Loop BB4_987 Depth=1
                                        ; =>  This Inner Loop Header: Depth=2
	s_add_co_i32 s24, s24, 1
	s_delay_alu instid0(SALU_CYCLE_1) | instskip(SKIP_1) | instid1(SALU_CYCLE_1)
	s_cmp_lg_u32 s24, 0x2710
	s_cselect_b32 s25, -1, 0
	s_and_b32 vcc_lo, exec_lo, s25
	s_cbranch_vccz .LBB4_1168
; %bb.1167:                             ;   in Loop: Header=BB4_1166 Depth=2
	s_mov_b32 s27, -1
	s_or_b32 s23, s23, exec_lo
	s_and_saveexec_b32 s26, s25
	s_cbranch_execz .LBB4_1165
	s_branch .LBB4_1169
.LBB4_1168:                             ;   in Loop: Header=BB4_1166 Depth=2
	s_trap 2
	ds_load_b64 v[12:13], v0
	s_and_not1_b32 s25, s25, exec_lo
	s_mov_b32 s24, 0
	s_wait_loadcnt_dscnt 0x0
	flat_load_b32 v11, v[12:13] scope:SCOPE_SYS
	s_wait_loadcnt_dscnt 0x0
	global_inv scope:SCOPE_SYS
	v_cmp_eq_u32_e32 vcc_lo, 0, v11
	s_and_b32 s26, vcc_lo, exec_lo
	s_delay_alu instid0(SALU_CYCLE_1)
	s_or_b32 s25, s25, s26
	s_mov_b32 s27, -1
	s_or_b32 s23, s23, exec_lo
	s_and_saveexec_b32 s26, s25
	s_cbranch_execz .LBB4_1165
.LBB4_1169:                             ;   in Loop: Header=BB4_1166 Depth=2
	s_sleep 1
	s_trap 2
	ds_load_b64 v[12:13], v0
	s_wait_dscnt 0x0
	s_and_not1_b32 s23, s23, exec_lo
	v_cmp_ge_u64_e32 vcc_lo, v[12:13], v[48:49]
	s_or_not1_b32 s27, vcc_lo, exec_lo
	s_branch .LBB4_1165
.LBB4_1170:                             ;   in Loop: Header=BB4_987 Depth=1
	s_and_not1_saveexec_b32 s10, s10
	s_cbranch_execz .LBB4_1153
.LBB4_1171:                             ;   in Loop: Header=BB4_987 Depth=1
	v_and_b32_e32 v54, 7, v8
	s_or_b32 s19, s19, exec_lo
	s_or_b32 exec_lo, exec_lo, s10
	s_and_saveexec_b32 s10, s19
	s_cbranch_execnz .LBB4_1154
	s_branch .LBB4_1155
.LBB4_1172:                             ;   in Loop: Header=BB4_987 Depth=1
	s_or_b32 exec_lo, exec_lo, s21
	s_and_saveexec_b32 s21, s22
	s_delay_alu instid0(SALU_CYCLE_1)
	s_xor_b32 s21, exec_lo, s21
	s_cbranch_execz .LBB4_1174
; %bb.1173:                             ;   in Loop: Header=BB4_987 Depth=1
	ds_store_b32 v0, v57
	s_trap 2
.LBB4_1174:                             ;   in Loop: Header=BB4_987 Depth=1
	s_or_b32 exec_lo, exec_lo, s20
	;;#ASMSTART
	s_wakeup
	;;#ASMEND
.LBB4_1175:                             ;   in Loop: Header=BB4_987 Depth=1
	s_or_b32 exec_lo, exec_lo, s19
.LBB4_1176:                             ;   in Loop: Header=BB4_987 Depth=1
	s_and_not1_saveexec_b32 s17, s17
	s_cbranch_execz .LBB4_1178
; %bb.1177:                             ;   in Loop: Header=BB4_987 Depth=1
	global_wb scope:SCOPE_DEV
	s_wait_storecnt 0x0
	s_wait_loadcnt_dscnt 0x0
	global_inv scope:SCOPE_DEV
	s_barrier_signal -1
	s_barrier_wait -1
.LBB4_1178:                             ;   in Loop: Header=BB4_987 Depth=1
	s_or_b32 exec_lo, exec_lo, s17
.LBB4_1179:                             ;   in Loop: Header=BB4_987 Depth=1
	s_delay_alu instid0(SALU_CYCLE_1)
	s_or_b32 exec_lo, exec_lo, s10
	s_trap 2
	ds_load_b32 v11, v0
	v_cmp_lt_i32_e32 vcc_lo, 0, v10
	s_wait_dscnt 0x0
	v_readfirstlane_b32 s10, v11
	v_and_b32_e32 v11, 16, v30
	s_cmp_eq_u32 s10, 0
	s_delay_alu instid0(VALU_DEP_1) | instskip(SKIP_1) | instid1(SALU_CYCLE_1)
	v_cmp_ne_u32_e64 s10, 0, v11
	s_cselect_b32 s17, -1, 0
	s_and_b32 s17, vcc_lo, s17
	s_delay_alu instid0(SALU_CYCLE_1) | instskip(NEXT) | instid1(SALU_CYCLE_1)
	s_and_b32 s17, s10, s17
	s_and_saveexec_b32 s10, s17
	s_cbranch_execz .LBB4_1181
; %bb.1180:                             ;   in Loop: Header=BB4_987 Depth=1
	global_wb scope:SCOPE_SYS
	s_wait_loadcnt 0x0
	s_wait_storecnt 0x0
	global_inv scope:SCOPE_SYS
.LBB4_1181:                             ;   in Loop: Header=BB4_987 Depth=1
	s_or_b32 exec_lo, exec_lo, s10
	s_delay_alu instid0(SALU_CYCLE_1)
	s_mov_b32 s10, exec_lo
	v_cmpx_ne_u32_e32 0, v11
	s_cbranch_execz .LBB4_985
; %bb.1182:                             ;   in Loop: Header=BB4_987 Depth=1
	s_and_saveexec_b32 s17, s7
	s_cbranch_execz .LBB4_984
; %bb.1183:                             ;   in Loop: Header=BB4_987 Depth=1
	global_wb scope:SCOPE_SYS
	s_wait_loadcnt 0x0
	s_wait_storecnt 0x0
	flat_store_b32 v[52:53], v57 scope:SCOPE_SYS
	s_branch .LBB4_984
.LBB4_1184:
	s_or_b32 exec_lo, exec_lo, s13
.LBB4_1185:
	s_delay_alu instid0(SALU_CYCLE_1)
	s_or_b32 exec_lo, exec_lo, s12
.LBB4_1186:
	s_delay_alu instid0(SALU_CYCLE_1) | instskip(SKIP_2) | instid1(VALU_DEP_1)
	s_or_b32 exec_lo, exec_lo, s11
	v_and_b32_e32 v0, 0x800, v30
	s_mov_b32 s1, exec_lo
	v_cmpx_eq_u32_e32 0, v0
	s_cbranch_execz .LBB4_1219
; %bb.1187:
	v_and_b32_e32 v0, 48, v30
	s_mov_b32 s0, exec_lo
	s_delay_alu instid0(VALU_DEP_1)
	v_cmpx_ne_u32_e32 0, v0
	s_cbranch_execz .LBB4_1189
; %bb.1188:
	s_wait_dscnt 0x0
	flat_store_b64 v[28:29], v[8:9] offset:104
.LBB4_1189:
	s_wait_xcnt 0x0
	s_or_b32 exec_lo, exec_lo, s0
	v_and_b32_e32 v0, 0x88, v30
	s_mov_b32 s2, exec_lo
	s_delay_alu instid0(VALU_DEP_1)
	v_cmpx_eq_u32_e32 0x88, v0
	s_cbranch_execz .LBB4_1199
; %bb.1190:
	s_wait_dscnt 0x0
	v_add_nc_u32_e32 v0, -1, v8
	s_mov_b32 s3, 0
	s_delay_alu instid0(VALU_DEP_1) | instskip(NEXT) | instid1(VALU_DEP_1)
	v_and_b32_e32 v0, 7, v0
	v_mad_nc_u64_u32 v[4:5], v0, 24, v[6:7]
	v_and_b32_e32 v0, 64, v30
	s_delay_alu instid0(VALU_DEP_1)
	v_cmp_eq_u32_e64 s0, 0, v0
	flat_load_b64 v[6:7], v[4:5] offset:8 scope:SCOPE_SYS
	s_wait_loadcnt_dscnt 0x0
	v_cmp_ne_u64_e32 vcc_lo, -1, v[6:7]
	s_and_b32 s0, vcc_lo, s0
	s_wait_xcnt 0x0
	s_and_b32 exec_lo, exec_lo, s0
	s_cbranch_execz .LBB4_1199
; %bb.1191:
	s_mov_b32 s5, 0
                                        ; implicit-def: $sgpr0
                                        ; implicit-def: $sgpr4
	s_branch .LBB4_1194
.LBB4_1192:                             ;   in Loop: Header=BB4_1194 Depth=1
	flat_load_b64 v[6:7], v[4:5] offset:8 scope:SCOPE_SYS
	s_wait_loadcnt 0x0
	s_and_not1_b32 s4, s4, exec_lo
	s_wait_dscnt 0x0
	v_cmp_eq_u64_e32 vcc_lo, -1, v[6:7]
	s_or_not1_b32 s7, vcc_lo, exec_lo
.LBB4_1193:                             ;   in Loop: Header=BB4_1194 Depth=1
	s_wait_xcnt 0x0
	s_or_b32 exec_lo, exec_lo, s10
	s_delay_alu instid0(SALU_CYCLE_1) | instskip(NEXT) | instid1(SALU_CYCLE_1)
	s_and_b32 s6, exec_lo, s7
	s_or_b32 s3, s6, s3
	s_and_not1_b32 s0, s0, exec_lo
	s_and_b32 s6, s4, exec_lo
	s_delay_alu instid0(SALU_CYCLE_1)
	s_or_b32 s0, s0, s6
	s_and_not1_b32 exec_lo, exec_lo, s3
	s_cbranch_execz .LBB4_1197
.LBB4_1194:                             ; =>This Inner Loop Header: Depth=1
	s_cmp_lt_i32 s5, 0x270f
	s_cselect_b32 s6, -1, 0
	s_delay_alu instid0(SALU_CYCLE_1)
	s_and_b32 vcc_lo, exec_lo, s6
	s_cbranch_vccnz .LBB4_1196
; %bb.1195:                             ;   in Loop: Header=BB4_1194 Depth=1
	s_trap 2
	ds_load_b64 v[6:7], v0
	s_and_not1_b32 s6, s6, exec_lo
	s_mov_b32 s5, 0
	s_wait_storecnt_dscnt 0x0
	flat_load_b32 v0, v[6:7] scope:SCOPE_SYS
	s_wait_loadcnt_dscnt 0x0
	global_inv scope:SCOPE_SYS
	v_cmp_eq_u32_e32 vcc_lo, 0, v0
	s_and_b32 s7, vcc_lo, exec_lo
	s_delay_alu instid0(SALU_CYCLE_1)
	s_or_b32 s6, s6, s7
	s_mov_b32 s7, -1
	s_or_b32 s4, s4, exec_lo
	s_wait_xcnt 0x0
	s_and_saveexec_b32 s10, s6
	s_cbranch_execz .LBB4_1193
	s_branch .LBB4_1192
.LBB4_1196:                             ;   in Loop: Header=BB4_1194 Depth=1
	s_add_co_i32 s5, s5, 1
                                        ; implicit-def: $vgpr0
	s_mov_b32 s7, -1
	s_or_b32 s4, s4, exec_lo
	s_and_saveexec_b32 s10, s6
	s_cbranch_execz .LBB4_1193
	s_branch .LBB4_1192
.LBB4_1197:
	s_or_b32 exec_lo, exec_lo, s3
	s_and_saveexec_b32 s3, s0
	s_delay_alu instid0(SALU_CYCLE_1)
	s_xor_b32 s3, exec_lo, s3
	s_cbranch_execz .LBB4_1199
; %bb.1198:
	s_wait_loadcnt 0x0
	s_wait_storecnt 0x0
	ds_store_b32 v0, v0
	s_trap 2
.LBB4_1199:
	s_or_b32 exec_lo, exec_lo, s2
	v_and_b32_e32 v0, 0x2000, v30
	s_mov_b32 s0, exec_lo
	s_delay_alu instid0(VALU_DEP_1)
	v_cmpx_ne_u32_e32 0, v0
	s_cbranch_execz .LBB4_1201
; %bb.1200:
	s_trap 2
	ds_load_b64 v[4:5], v0
	s_wait_dscnt 0x0
	flat_store_b64 v[2:3], v[4:5] offset:16
.LBB4_1201:
	s_wait_xcnt 0x0
	s_or_b32 exec_lo, exec_lo, s0
	v_cmp_ne_u32_e32 vcc_lo, 32, v1
	s_and_b32 exec_lo, exec_lo, vcc_lo
	s_cbranch_execz .LBB4_1219
; %bb.1202:
	s_mov_b32 s0, exec_lo
	v_cmpx_ne_u32_e64 v1, v44
	s_xor_b32 s0, exec_lo, s0
	s_cbranch_execz .LBB4_1217
; %bb.1203:
	v_and_b32_e32 v0, 31, v31
	s_mov_b32 s2, exec_lo
	s_delay_alu instid0(VALU_DEP_1)
	v_cmpx_eq_u32_e32 0, v0
	s_cbranch_execz .LBB4_1216
; %bb.1204:
	s_mov_b32 s4, exec_lo
	s_mov_b32 s3, exec_lo
	v_mbcnt_lo_u32_b32 v0, s4, 0
	global_wb scope:SCOPE_DEV
	s_wait_storecnt 0x0
	s_wait_loadcnt_dscnt 0x0
	global_inv scope:SCOPE_DEV
	v_cmpx_eq_u32_e32 0, v0
	s_cbranch_execz .LBB4_1206
; %bb.1205:
	s_bcnt1_i32_b32 s4, s4
	s_delay_alu instid0(SALU_CYCLE_1)
	v_dual_mov_b32 v3, 0 :: v_dual_mov_b32 v2, s4
	s_wait_loadcnt 0x0
	ds_add_u64 v0, v[2:3]
	s_trap 2
.LBB4_1206:
	s_or_b32 exec_lo, exec_lo, s3
	s_trap 2
	ds_load_b64 v[2:3], v0
	s_wait_dscnt 0x0
	v_dual_mov_b32 v1, 0 :: v_dual_lshrrev_b32 v0, 5, v1
	s_mov_b32 s3, exec_lo
	s_delay_alu instid0(VALU_DEP_1) | instskip(NEXT) | instid1(VALU_DEP_1)
	v_add_nc_u64_e32 v[0:1], v[48:49], v[0:1]
	v_cmpx_lt_u64_e64 v[2:3], v[0:1]
	s_cbranch_execz .LBB4_1215
; %bb.1207:
	s_mov_b32 s4, 0
	s_mov_b32 s7, 0
                                        ; implicit-def: $sgpr5
                                        ; implicit-def: $sgpr6
	s_branch .LBB4_1209
.LBB4_1208:                             ;   in Loop: Header=BB4_1209 Depth=1
	s_or_b32 exec_lo, exec_lo, s11
	s_delay_alu instid0(SALU_CYCLE_1) | instskip(NEXT) | instid1(SALU_CYCLE_1)
	s_and_b32 s10, exec_lo, s12
	s_or_b32 s4, s10, s4
	s_and_not1_b32 s5, s5, exec_lo
	s_and_b32 s10, s6, exec_lo
	s_delay_alu instid0(SALU_CYCLE_1)
	s_or_b32 s5, s5, s10
	s_and_not1_b32 exec_lo, exec_lo, s4
	s_cbranch_execz .LBB4_1213
.LBB4_1209:                             ; =>This Inner Loop Header: Depth=1
	s_add_co_i32 s7, s7, 1
	s_delay_alu instid0(SALU_CYCLE_1) | instskip(SKIP_1) | instid1(SALU_CYCLE_1)
	s_cmp_lg_u32 s7, 0x2710
	s_cselect_b32 s10, -1, 0
	s_and_b32 vcc_lo, exec_lo, s10
	s_cbranch_vccz .LBB4_1211
; %bb.1210:                             ;   in Loop: Header=BB4_1209 Depth=1
	s_mov_b32 s12, -1
	s_or_b32 s6, s6, exec_lo
	s_and_saveexec_b32 s11, s10
	s_cbranch_execz .LBB4_1208
	s_branch .LBB4_1212
.LBB4_1211:                             ;   in Loop: Header=BB4_1209 Depth=1
	s_trap 2
	ds_load_b64 v[2:3], v0
	s_and_not1_b32 s10, s10, exec_lo
	s_mov_b32 s7, 0
	s_wait_loadcnt_dscnt 0x0
	flat_load_b32 v2, v[2:3] scope:SCOPE_SYS
	s_wait_loadcnt_dscnt 0x0
	global_inv scope:SCOPE_SYS
	v_cmp_eq_u32_e32 vcc_lo, 0, v2
	s_and_b32 s11, vcc_lo, exec_lo
	s_delay_alu instid0(SALU_CYCLE_1)
	s_or_b32 s10, s10, s11
	s_mov_b32 s12, -1
	s_or_b32 s6, s6, exec_lo
	s_and_saveexec_b32 s11, s10
	s_cbranch_execz .LBB4_1208
.LBB4_1212:                             ;   in Loop: Header=BB4_1209 Depth=1
	s_sleep 1
	s_trap 2
	ds_load_b64 v[2:3], v0
	s_wait_dscnt 0x0
	s_and_not1_b32 s6, s6, exec_lo
	v_cmp_ge_u64_e32 vcc_lo, v[2:3], v[0:1]
	s_or_not1_b32 s12, vcc_lo, exec_lo
	s_branch .LBB4_1208
.LBB4_1213:
	s_or_b32 exec_lo, exec_lo, s4
	s_and_saveexec_b32 s4, s5
	s_delay_alu instid0(SALU_CYCLE_1)
	s_xor_b32 s4, exec_lo, s4
	s_cbranch_execz .LBB4_1215
; %bb.1214:
	v_mov_b32_e32 v0, 1
	ds_store_b32 v0, v0
	s_trap 2
.LBB4_1215:
	s_or_b32 exec_lo, exec_lo, s3
	;;#ASMSTART
	s_wakeup
	;;#ASMEND
.LBB4_1216:
	s_or_b32 exec_lo, exec_lo, s2
.LBB4_1217:
	s_and_not1_saveexec_b32 s0, s0
	s_cbranch_execz .LBB4_1219
; %bb.1218:
	global_wb scope:SCOPE_DEV
	s_wait_storecnt 0x0
	s_wait_loadcnt_dscnt 0x0
	global_inv scope:SCOPE_DEV
	s_barrier_signal -1
	s_barrier_wait -1
.LBB4_1219:
	s_or_b32 exec_lo, exec_lo, s1
.LBB4_1220:
	s_and_not1_saveexec_b32 s21, s16
	s_cbranch_execz .LBB4_1222
; %bb.1221:
	s_get_pc_i64 s[0:1]
	s_add_nc_u64 s[0:1], s[0:1], __PRETTY_FUNCTION__._ZN10PrimitivesI12hip_bfloat1610FuncMinMaxIS0_E12FanSymmetricILi1EELi0E11ProtoSimpleILi1ELi1ELi0ELi1ELi0ELi0EELi0ELb0ELi0ELi1ELi0EEC2EiiPKiS9_PKvPvmhhhP15ncclDevWorkCollP14ncclDevWorkP2pii@rel64+4
	s_get_pc_i64 s[2:3]
	s_add_nc_u64 s[2:3], s[2:3], __assert_fail@rel64+4
	v_dual_mov_b32 v0, s0 :: v_dual_mov_b32 v1, s1
	s_swap_pc_i64 s[30:31], s[2:3]
	; divergent unreachable
.LBB4_1222:
	s_or_b32 exec_lo, exec_lo, s21
	s_clause 0x11
	scratch_load_b32 v73, off, s33
	scratch_load_b32 v72, off, s33 offset:4
	scratch_load_b32 v63, off, s33 offset:8
	scratch_load_b32 v62, off, s33 offset:12
	scratch_load_b32 v61, off, s33 offset:16
	scratch_load_b32 v60, off, s33 offset:20
	scratch_load_b32 v59, off, s33 offset:24
	scratch_load_b32 v58, off, s33 offset:28
	scratch_load_b32 v57, off, s33 offset:32
	scratch_load_b32 v56, off, s33 offset:36
	scratch_load_b32 v47, off, s33 offset:40
	scratch_load_b32 v46, off, s33 offset:44
	scratch_load_b32 v45, off, s33 offset:48
	scratch_load_b32 v44, off, s33 offset:52
	scratch_load_b32 v43, off, s33 offset:56
	scratch_load_b32 v42, off, s33 offset:60
	scratch_load_b32 v41, off, s33 offset:64
	scratch_load_b32 v40, off, s33 offset:68
	v_readlane_b32 s30, v74, 0
	v_readlane_b32 s31, v74, 1
	s_mov_b32 s32, s33
	s_wait_xcnt 0x0
	s_or_saveexec_b32 s0, -1
	scratch_load_b32 v74, off, s33 offset:144 ; 4-byte Folded Reload
	s_wait_xcnt 0x0
	s_mov_b32 exec_lo, s0
	s_mov_b32 s33, s58
	s_wait_loadcnt_dscnt 0x0
	s_set_pc_i64 s[30:31]
.Lfunc_end4:
	.size	_ZN12_GLOBAL__N_17runRingI12hip_bfloat1610FuncMinMaxIS1_E11ProtoSimpleILi1ELi1ELi0ELi1ELi0ELi0EELi0ELi1ELi1EEEviiP15ncclDevWorkColl, .Lfunc_end4-_ZN12_GLOBAL__N_17runRingI12hip_bfloat1610FuncMinMaxIS1_E11ProtoSimpleILi1ELi1ELi0ELi1ELi0ELi0EELi0ELi1ELi1EEEviiP15ncclDevWorkColl
                                        ; -- End function
	.set .L_ZN12_GLOBAL__N_17runRingI12hip_bfloat1610FuncMinMaxIS1_E11ProtoSimpleILi1ELi1ELi0ELi1ELi0ELi0EELi0ELi1ELi1EEEviiP15ncclDevWorkColl.num_vgpr, max(120, .L__assert_fail.num_vgpr)
	.set .L_ZN12_GLOBAL__N_17runRingI12hip_bfloat1610FuncMinMaxIS1_E11ProtoSimpleILi1ELi1ELi0ELi1ELi0ELi0EELi0ELi1ELi1EEEviiP15ncclDevWorkColl.num_agpr, max(0, .L__assert_fail.num_agpr)
	.set .L_ZN12_GLOBAL__N_17runRingI12hip_bfloat1610FuncMinMaxIS1_E11ProtoSimpleILi1ELi1ELi0ELi1ELi0ELi0EELi0ELi1ELi1EEEviiP15ncclDevWorkColl.numbered_sgpr, max(59, .L__assert_fail.numbered_sgpr)
	.set .L_ZN12_GLOBAL__N_17runRingI12hip_bfloat1610FuncMinMaxIS1_E11ProtoSimpleILi1ELi1ELi0ELi1ELi0ELi0EELi0ELi1ELi1EEEviiP15ncclDevWorkColl.num_named_barrier, max(0, .L__assert_fail.num_named_barrier)
	.set .L_ZN12_GLOBAL__N_17runRingI12hip_bfloat1610FuncMinMaxIS1_E11ProtoSimpleILi1ELi1ELi0ELi1ELi0ELi0EELi0ELi1ELi1EEEviiP15ncclDevWorkColl.private_seg_size, 160+max(.L__assert_fail.private_seg_size)
	.set .L_ZN12_GLOBAL__N_17runRingI12hip_bfloat1610FuncMinMaxIS1_E11ProtoSimpleILi1ELi1ELi0ELi1ELi0ELi0EELi0ELi1ELi1EEEviiP15ncclDevWorkColl.uses_vcc, or(1, .L__assert_fail.uses_vcc)
	.set .L_ZN12_GLOBAL__N_17runRingI12hip_bfloat1610FuncMinMaxIS1_E11ProtoSimpleILi1ELi1ELi0ELi1ELi0ELi0EELi0ELi1ELi1EEEviiP15ncclDevWorkColl.uses_flat_scratch, or(1, .L__assert_fail.uses_flat_scratch)
	.set .L_ZN12_GLOBAL__N_17runRingI12hip_bfloat1610FuncMinMaxIS1_E11ProtoSimpleILi1ELi1ELi0ELi1ELi0ELi0EELi0ELi1ELi1EEEviiP15ncclDevWorkColl.has_dyn_sized_stack, or(0, .L__assert_fail.has_dyn_sized_stack)
	.set .L_ZN12_GLOBAL__N_17runRingI12hip_bfloat1610FuncMinMaxIS1_E11ProtoSimpleILi1ELi1ELi0ELi1ELi0ELi0EELi0ELi1ELi1EEEviiP15ncclDevWorkColl.has_recursion, or(1, .L__assert_fail.has_recursion)
	.set .L_ZN12_GLOBAL__N_17runRingI12hip_bfloat1610FuncMinMaxIS1_E11ProtoSimpleILi1ELi1ELi0ELi1ELi0ELi0EELi0ELi1ELi1EEEviiP15ncclDevWorkColl.has_indirect_call, or(0, .L__assert_fail.has_indirect_call)
	.section	.AMDGPU.csdata,"",@progbits
; Function info:
; codeLenInByte = 45112
; TotalNumSgprs: 61
; NumVgprs: 120
; ScratchSize: 224
; MemoryBound: 1
	.text
	.p2align	2                               ; -- Begin function _Z48ncclDevFunc_Reduce_RING_SIMPLE_MinMax_bf16_0_1_1v
	.type	_Z48ncclDevFunc_Reduce_RING_SIMPLE_MinMax_bf16_0_1_1v,@function
_Z48ncclDevFunc_Reduce_RING_SIMPLE_MinMax_bf16_0_1_1v: ; @_Z48ncclDevFunc_Reduce_RING_SIMPLE_MinMax_bf16_0_1_1v
; %bb.0:
	s_wait_loadcnt_dscnt 0x0
	s_wait_kmcnt 0x0
	s_mov_b32 s74, s33
	s_mov_b32 s33, s32
	s_or_saveexec_b32 s0, -1
	scratch_store_b32 off, v42, s33 offset:12 ; 4-byte Folded Spill
	s_wait_xcnt 0x0
	s_mov_b32 exec_lo, s0
	s_add_co_i32 s32, s32, 32
	s_clause 0x2
	scratch_store_b32 off, v40, s33 offset:8
	; meta instruction
	scratch_store_b32 off, v41, s33 offset:4
	; meta instruction
	scratch_store_b32 off, v74, s33
	v_writelane_b32 v42, s30, 0
	v_writelane_b32 v42, s31, 1
	s_trap 2
	ds_load_b32 v0, v0
	s_wait_xcnt 0x2
	v_mov_b32_e32 v40, v31
	s_mov_b32 s59, s12
	s_mov_b64 s[60:61], s[8:9]
	s_mov_b32 s2, exec_lo
	s_wait_xcnt 0x1
	v_and_b32_e32 v41, 0x3ff, v40
	s_wait_dscnt 0x0
	s_wait_xcnt 0x0
	s_delay_alu instid0(VALU_DEP_1)
	v_cmpx_lt_i32_e64 v41, v0
	s_cbranch_execz .LBB5_5
; %bb.1:
	s_load_b32 s0, s[60:61], 0x0
	s_bfe_u32 s1, ttmp6, 0x4000c
	s_and_b32 s3, ttmp6, 15
	s_add_co_i32 s1, s1, 1
	s_getreg_b32 s4, hwreg(HW_REG_IB_STS2, 6, 4)
	s_mul_i32 s1, ttmp9, s1
	v_mov_b32_e32 v2, v41
	s_add_co_i32 s3, s3, s1
	s_cmp_eq_u32 s4, 0
                                        ; implicit-def: $vgpr3
	s_cselect_b32 s1, ttmp9, s3
	s_mov_b32 s3, 0
	s_wait_kmcnt 0x0
	s_cmp_lt_u32 s1, s0
	s_mov_b32 s1, 0
	s_cselect_b32 s0, 12, 18
	s_delay_alu instid0(SALU_CYCLE_1)
	s_add_nc_u64 s[4:5], s[60:61], s[0:1]
	s_load_u16 s0, s[4:5], 0x0
	s_trap 2
	ds_load_b32 v1, v0
	s_wait_dscnt 0x0
	s_wait_kmcnt 0x0
	v_mul_lo_u32 v1, v1, s0
	s_branch .LBB5_3
.LBB5_2:                                ;   in Loop: Header=BB5_3 Depth=1
	s_or_b32 exec_lo, exec_lo, s4
	v_dual_add_nc_u32 v2, s0, v2 :: v_dual_add_nc_u32 v3, v3, v1
	s_delay_alu instid0(VALU_DEP_1) | instskip(SKIP_1) | instid1(SALU_CYCLE_1)
	v_cmp_ge_i32_e32 vcc_lo, v2, v0
	s_or_b32 s3, vcc_lo, s3
	s_and_not1_b32 exec_lo, exec_lo, s3
	s_cbranch_execz .LBB5_5
.LBB5_3:                                ; =>This Inner Loop Header: Depth=1
	ds_load_b32 v4, v3
	s_mov_b32 s4, exec_lo
	s_wait_dscnt 0x0
	v_and_b32_e32 v4, 0x1000000, v4
	s_delay_alu instid0(VALU_DEP_1)
	v_cmpx_ne_u32_e32 0, v4
	s_cbranch_execz .LBB5_2
; %bb.4:                                ;   in Loop: Header=BB5_3 Depth=1
	ds_load_b64 v[4:5], v3 offset:104
	s_wait_dscnt 0x0
	flat_load_u16 v4, v[4:5]
	s_wait_xcnt 0x0
	v_mov_b32_e32 v5, s1
	s_wait_loadcnt_dscnt 0x0
	v_and_b32_e32 v4, 0xffff, v4
	ds_store_b64 v3, v[4:5] offset:104
	s_branch .LBB5_2
.LBB5_5:
	s_or_b32 exec_lo, exec_lo, s2
	s_wait_storecnt_dscnt 0x0
	s_barrier_signal -1
	s_barrier_wait -1
	s_trap 2
	ds_load_b32 v0, v0
	s_wait_dscnt 0x0
	v_cmp_gt_i32_e32 vcc_lo, 1, v0
	s_cbranch_vccnz .LBB5_13
; %bb.6:
	s_mov_b32 s72, 0
	s_get_pc_i64 s[62:63]
	s_add_nc_u64 s[62:63], s[62:63], _ZN12_GLOBAL__N_17runRingI12hip_bfloat1610FuncMinMaxIS1_E11ProtoSimpleILi1ELi1ELi0ELi1ELi0ELi0EELi0ELi1ELi1EEEviiP15ncclDevWorkColl@rel64+4
	s_branch .LBB5_8
.LBB5_7:                                ;   in Loop: Header=BB5_8 Depth=1
	s_or_b32 exec_lo, exec_lo, s73
	s_trap 2
	ds_load_b32 v0, v0
	s_add_co_i32 s72, s72, 1
	s_wait_dscnt 0x0
	v_cmp_lt_i32_e32 vcc_lo, s72, v0
	s_cbranch_vccz .LBB5_13
.LBB5_8:                                ; =>This Inner Loop Header: Depth=1
	s_trap 2
	ds_load_b32 v0, v0
	s_cmp_eq_u32 s72, 0
	s_cbranch_scc1 .LBB5_11
; %bb.9:                                ;   in Loop: Header=BB5_8 Depth=1
	s_trap 2
	s_wait_dscnt 0x0
	ds_load_b32 v1, v0
	s_wait_dscnt 0x0
	v_xor_b32_e32 v1, v1, v0
	s_delay_alu instid0(VALU_DEP_1) | instskip(NEXT) | instid1(VALU_DEP_1)
	v_and_b32_e32 v1, 0xff0000, v1
	v_cmp_eq_u32_e32 vcc_lo, 0, v1
	s_cbranch_vccnz .LBB5_11
; %bb.10:                               ;   in Loop: Header=BB5_8 Depth=1
	s_barrier_signal -1
	s_barrier_wait -1
	ds_load_b32 v0, v0
.LBB5_11:                               ;   in Loop: Header=BB5_8 Depth=1
	s_wait_dscnt 0x0
	v_lshrrev_b32_e32 v0, 11, v0
	s_mov_b32 s73, exec_lo
	s_delay_alu instid0(VALU_DEP_1) | instskip(NEXT) | instid1(VALU_DEP_1)
	v_and_b32_e32 v1, 0x1fe0, v0
	v_cmpx_lt_u32_e64 v41, v1
	s_cbranch_execz .LBB5_7
; %bb.12:                               ;   in Loop: Header=BB5_8 Depth=1
	s_mov_b64 s[0:1], src_shared_base
	v_dual_mov_b32 v31, v40 :: v_dual_mov_b32 v0, v41
	v_mov_b32_e32 v3, s1
	s_mov_b64 s[8:9], s[60:61]
	s_mov_b32 s12, s59
	s_swap_pc_i64 s[30:31], s[62:63]
	s_branch .LBB5_7
.LBB5_13:
	s_clause 0x2
	scratch_load_b32 v74, off, s33
	scratch_load_b32 v41, off, s33 offset:4
	scratch_load_b32 v40, off, s33 offset:8
	v_readlane_b32 s30, v42, 0
	v_readlane_b32 s31, v42, 1
	s_mov_b32 s32, s33
	s_wait_xcnt 0x0
	s_or_saveexec_b32 s0, -1
	scratch_load_b32 v42, off, s33 offset:12 ; 4-byte Folded Reload
	s_wait_xcnt 0x0
	s_mov_b32 exec_lo, s0
	s_mov_b32 s33, s74
	s_wait_loadcnt 0x0
	s_set_pc_i64 s[30:31]
.Lfunc_end5:
	.size	_Z48ncclDevFunc_Reduce_RING_SIMPLE_MinMax_bf16_0_1_1v, .Lfunc_end5-_Z48ncclDevFunc_Reduce_RING_SIMPLE_MinMax_bf16_0_1_1v
                                        ; -- End function
	.set .L_Z48ncclDevFunc_Reduce_RING_SIMPLE_MinMax_bf16_0_1_1v.num_vgpr, max(75, .L_ZN12_GLOBAL__N_17runRingI12hip_bfloat1610FuncMinMaxIS1_E11ProtoSimpleILi1ELi1ELi0ELi1ELi0ELi0EELi0ELi1ELi1EEEviiP15ncclDevWorkColl.num_vgpr)
	.set .L_Z48ncclDevFunc_Reduce_RING_SIMPLE_MinMax_bf16_0_1_1v.num_agpr, max(0, .L_ZN12_GLOBAL__N_17runRingI12hip_bfloat1610FuncMinMaxIS1_E11ProtoSimpleILi1ELi1ELi0ELi1ELi0ELi0EELi0ELi1ELi1EEEviiP15ncclDevWorkColl.num_agpr)
	.set .L_Z48ncclDevFunc_Reduce_RING_SIMPLE_MinMax_bf16_0_1_1v.numbered_sgpr, max(75, .L_ZN12_GLOBAL__N_17runRingI12hip_bfloat1610FuncMinMaxIS1_E11ProtoSimpleILi1ELi1ELi0ELi1ELi0ELi0EELi0ELi1ELi1EEEviiP15ncclDevWorkColl.numbered_sgpr)
	.set .L_Z48ncclDevFunc_Reduce_RING_SIMPLE_MinMax_bf16_0_1_1v.num_named_barrier, max(0, .L_ZN12_GLOBAL__N_17runRingI12hip_bfloat1610FuncMinMaxIS1_E11ProtoSimpleILi1ELi1ELi0ELi1ELi0ELi0EELi0ELi1ELi1EEEviiP15ncclDevWorkColl.num_named_barrier)
	.set .L_Z48ncclDevFunc_Reduce_RING_SIMPLE_MinMax_bf16_0_1_1v.private_seg_size, 32+max(.L_ZN12_GLOBAL__N_17runRingI12hip_bfloat1610FuncMinMaxIS1_E11ProtoSimpleILi1ELi1ELi0ELi1ELi0ELi0EELi0ELi1ELi1EEEviiP15ncclDevWorkColl.private_seg_size)
	.set .L_Z48ncclDevFunc_Reduce_RING_SIMPLE_MinMax_bf16_0_1_1v.uses_vcc, or(1, .L_ZN12_GLOBAL__N_17runRingI12hip_bfloat1610FuncMinMaxIS1_E11ProtoSimpleILi1ELi1ELi0ELi1ELi0ELi0EELi0ELi1ELi1EEEviiP15ncclDevWorkColl.uses_vcc)
	.set .L_Z48ncclDevFunc_Reduce_RING_SIMPLE_MinMax_bf16_0_1_1v.uses_flat_scratch, or(1, .L_ZN12_GLOBAL__N_17runRingI12hip_bfloat1610FuncMinMaxIS1_E11ProtoSimpleILi1ELi1ELi0ELi1ELi0ELi0EELi0ELi1ELi1EEEviiP15ncclDevWorkColl.uses_flat_scratch)
	.set .L_Z48ncclDevFunc_Reduce_RING_SIMPLE_MinMax_bf16_0_1_1v.has_dyn_sized_stack, or(0, .L_ZN12_GLOBAL__N_17runRingI12hip_bfloat1610FuncMinMaxIS1_E11ProtoSimpleILi1ELi1ELi0ELi1ELi0ELi0EELi0ELi1ELi1EEEviiP15ncclDevWorkColl.has_dyn_sized_stack)
	.set .L_Z48ncclDevFunc_Reduce_RING_SIMPLE_MinMax_bf16_0_1_1v.has_recursion, or(1, .L_ZN12_GLOBAL__N_17runRingI12hip_bfloat1610FuncMinMaxIS1_E11ProtoSimpleILi1ELi1ELi0ELi1ELi0ELi0EELi0ELi1ELi1EEEviiP15ncclDevWorkColl.has_recursion)
	.set .L_Z48ncclDevFunc_Reduce_RING_SIMPLE_MinMax_bf16_0_1_1v.has_indirect_call, or(0, .L_ZN12_GLOBAL__N_17runRingI12hip_bfloat1610FuncMinMaxIS1_E11ProtoSimpleILi1ELi1ELi0ELi1ELi0ELi0EELi0ELi1ELi1EEEviiP15ncclDevWorkColl.has_indirect_call)
	.section	.AMDGPU.csdata,"",@progbits
; Function info:
; codeLenInByte = 756
; TotalNumSgprs: 77
; NumVgprs: 120
; ScratchSize: 256
; MemoryBound: 0
	.text
	.p2align	2                               ; -- Begin function _ZN12_GLOBAL__N_17runRingI12hip_bfloat1610FuncMinMaxIS1_E11ProtoSimpleILi1ELi1ELi0ELi2ELi0ELi0EELi0ELi2ELi0EEEviiP15ncclDevWorkColl
	.type	_ZN12_GLOBAL__N_17runRingI12hip_bfloat1610FuncMinMaxIS1_E11ProtoSimpleILi1ELi1ELi0ELi2ELi0ELi0EELi0ELi2ELi0EEEviiP15ncclDevWorkColl,@function
_ZN12_GLOBAL__N_17runRingI12hip_bfloat1610FuncMinMaxIS1_E11ProtoSimpleILi1ELi1ELi0ELi2ELi0ELi0EELi0ELi2ELi0EEEviiP15ncclDevWorkColl: ; @_ZN12_GLOBAL__N_17runRingI12hip_bfloat1610FuncMinMaxIS1_E11ProtoSimpleILi1ELi1ELi0ELi2ELi0ELi0EELi0ELi2ELi0EEEviiP15ncclDevWorkColl
; %bb.0:
	s_wait_loadcnt_dscnt 0x0
	s_wait_kmcnt 0x0
	s_mov_b32 s43, s33
	s_mov_b32 s33, s32
	s_or_saveexec_b32 s0, -1
	scratch_store_b32 off, v46, s33 offset:24 ; 4-byte Folded Spill
	s_wait_xcnt 0x0
	s_mov_b32 exec_lo, s0
	s_add_co_i32 s32, s32, 32
	s_clause 0x5
	scratch_store_b32 off, v40, s33 offset:20
	; meta instruction
	scratch_store_b32 off, v41, s33 offset:16
	; meta instruction
	;; [unrolled: 2-line block ×5, first 2 shown]
	scratch_store_b32 off, v45, s33
	v_writelane_b32 v46, s30, 0
	v_writelane_b32 v46, s31, 1
	s_trap 2
	ds_load_b64 v[14:15], v0
	ds_load_b32 v9, v0
	flat_load_b64 v[6:7], v[2:3]
                                        ; implicit-def: $vgpr18_vgpr19
                                        ; implicit-def: $vgpr4_vgpr5
                                        ; implicit-def: $vgpr26_vgpr27
	s_wait_dscnt 0x2
	v_readfirstlane_b32 s0, v14
	v_readfirstlane_b32 s1, v15
	flat_load_u16 v17, v[2:3] offset:8
	flat_load_b32 v24, v15, s[0:1] offset:-4 scale_offset
	s_wait_xcnt 0x0
	s_mov_b32 s0, exec_lo
	s_wait_loadcnt_dscnt 0x202
	v_and_b32_e32 v8, 0xff, v6
	v_mov_b32_e32 v16, v7
	s_delay_alu instid0(VALU_DEP_2)
	v_cmpx_ne_u32_e64 v9, v8
	s_xor_b32 s0, exec_lo, s0
	s_cbranch_execz .LBB6_6
; %bb.1:
	v_bfe_u32 v10, v6, 8, 8
	v_not_b32_e32 v8, v8
	s_mov_b32 s1, exec_lo
                                        ; implicit-def: $vgpr18_vgpr19
                                        ; implicit-def: $vgpr4_vgpr5
                                        ; implicit-def: $vgpr26_vgpr27
	s_delay_alu instid0(VALU_DEP_2)
	v_cmpx_ne_u32_e64 v9, v10
	s_xor_b32 s1, exec_lo, s1
	s_cbranch_execz .LBB6_3
; %bb.2:
	s_clause 0x1
	flat_load_b128 v[4:7], v[2:3] offset:72
	flat_load_b64 v[10:11], v[2:3] offset:96
	v_add_nc_u32_e32 v8, v9, v8
	s_wait_loadcnt_dscnt 0x101
	s_delay_alu instid0(VALU_DEP_1) | instskip(SKIP_3) | instid1(VALU_DEP_3)
	v_mad_nc_u64_u32 v[26:27], v6, v8, v[4:5]
	v_ashrrev_i32_e32 v5, 31, v8
	s_wait_loadcnt_dscnt 0x0
	v_lshrrev_b64 v[18:19], 13, v[10:11]
                                        ; implicit-def: $vgpr10
	v_mad_u32 v4, v7, v8, v27
                                        ; implicit-def: $vgpr8
	s_delay_alu instid0(VALU_DEP_1)
	v_mad_u32 v27, v6, v5, v4
	v_mov_b64_e32 v[4:5], v[6:7]
.LBB6_3:
	s_wait_xcnt 0x0
	s_and_not1_saveexec_b32 s1, s1
	s_cbranch_execz .LBB6_5
; %bb.4:
	s_clause 0x1
	flat_load_b128 v[18:21], v[2:3] offset:72
	flat_load_b128 v[4:7], v[2:3] offset:88
	s_wait_loadcnt_dscnt 0x0
	v_add_nc_u32_e32 v6, v10, v8
	s_delay_alu instid0(VALU_DEP_1) | instskip(SKIP_1) | instid1(VALU_DEP_2)
	v_mad_nc_u64_u32 v[26:27], v20, v6, v[18:19]
	v_lshrrev_b32_e32 v18, 2, v7
	v_mad_u32 v8, v21, v6, v27
	v_ashrrev_i32_e32 v6, 31, v6
	s_delay_alu instid0(VALU_DEP_1)
	v_mad_u32 v27, v20, v6, v8
.LBB6_5:
	s_wait_xcnt 0x0
	s_or_b32 exec_lo, exec_lo, s1
.LBB6_6:
	s_and_not1_saveexec_b32 s0, s0
	s_cbranch_execz .LBB6_8
; %bb.7:
	s_clause 0x1
	flat_load_b64 v[6:7], v[2:3] offset:96
	flat_load_b64 v[4:5], v[2:3] offset:72
	v_mov_b64_e32 v[26:27], 0
	s_wait_loadcnt_dscnt 0x101
	v_lshlrev_b64_e32 v[18:19], 8, v[6:7]
.LBB6_8:
	s_wait_xcnt 0x0
	s_or_b32 exec_lo, exec_lo, s0
	s_trap 2
	ds_load_b64 v[6:7], v0
	s_mov_b32 s1, 0
	s_mov_b32 s2, exec_lo
	s_wait_dscnt 0x0
	v_cmp_ne_u32_e32 vcc_lo, -1, v6
	v_cndmask_b32_e64 v15, 0, 1, vcc_lo
	v_cmp_ne_u32_e32 vcc_lo, -1, v7
	s_delay_alu instid0(VALU_DEP_2) | instskip(NEXT) | instid1(VALU_DEP_1)
	v_add_co_ci_u32_e64 v6, null, 0, v15, vcc_lo
	v_lshlrev_b32_e32 v7, 1, v6
	s_delay_alu instid0(VALU_DEP_1)
	v_cmpx_le_u32_e64 v7, v1
	s_xor_b32 s14, exec_lo, s2
	s_cbranch_execz .LBB6_865
; %bb.9:
	s_clause 0x1
	flat_load_b128 v[10:13], v[2:3] offset:16
	flat_load_b64 v[20:21], v[2:3] offset:104
	s_trap 2
	s_load_b32 s0, s[8:9], 0x0
	s_bfe_u32 s2, ttmp6, 0x4000c
	s_and_b32 s3, ttmp6, 15
	s_add_co_i32 s2, s2, 1
	s_getreg_b32 s4, hwreg(HW_REG_IB_STS2, 6, 4)
	s_mul_i32 s2, ttmp9, s2
	v_dual_mov_b32 v2, 0 :: v_dual_mov_b32 v30, 4
	s_add_co_i32 s3, s3, s2
	s_cmp_eq_u32 s4, 0
	s_cselect_b32 s2, ttmp9, s3
	s_wait_kmcnt 0x0
	s_cmp_lt_u32 s2, s0
	s_mov_b32 s2, exec_lo
	s_cselect_b32 s0, 12, 18
	s_delay_alu instid0(SALU_CYCLE_1)
	s_add_nc_u64 s[0:1], s[8:9], s[0:1]
	global_load_u16 v19, v2, s[0:1]
	s_wait_xcnt 0x0
	ds_load_b32 v2, v0
	s_wait_dscnt 0x0
	v_readfirstlane_b32 s1, v2
	v_cmpx_ge_u32_e64 v0, v15
	s_cbranch_execz .LBB6_19
; %bb.10:
	v_cmp_ge_u32_e64 s0, v0, v6
                                        ; implicit-def: $vgpr30
	s_and_saveexec_b32 s3, s0
	s_delay_alu instid0(SALU_CYCLE_1)
	s_xor_b32 s0, exec_lo, s3
	s_cbranch_execz .LBB6_16
; %bb.11:
	v_cndmask_b32_e64 v2, 0, 1, vcc_lo
	s_mov_b32 s3, exec_lo
	s_delay_alu instid0(VALU_DEP_1) | instskip(NEXT) | instid1(VALU_DEP_1)
	v_sub_nc_u32_e32 v2, v1, v2
	v_cmpx_ge_u32_e64 v0, v2
	s_xor_b32 s3, exec_lo, s3
; %bb.12:
                                        ; implicit-def: $vgpr6
; %bb.13:
	s_delay_alu instid0(SALU_CYCLE_1)
	s_or_saveexec_b32 s3, s3
	v_mov_b32_e32 v30, 16
	s_xor_b32 exec_lo, exec_lo, s3
; %bb.14:
	v_sub_nc_u32_e32 v2, v1, v6
	s_delay_alu instid0(VALU_DEP_1)
	v_cmp_lt_i32_e32 vcc_lo, v0, v2
	v_cndmask_b32_e64 v30, 32, 0, vcc_lo
; %bb.15:
	s_or_b32 exec_lo, exec_lo, s3
.LBB6_16:
	s_and_not1_saveexec_b32 s0, s0
; %bb.17:
	v_mov_b32_e32 v30, 8
; %bb.18:
	s_or_b32 exec_lo, exec_lo, s0
.LBB6_19:
	s_delay_alu instid0(SALU_CYCLE_1) | instskip(NEXT) | instid1(VALU_DEP_1)
	s_or_b32 exec_lo, exec_lo, s2
	v_dual_mov_b32 v25, -1 :: v_dual_bitop2_b32 v2, 36, v30 bitop3:0x40
	s_delay_alu instid0(VALU_DEP_1)
	v_cmp_ne_u32_e32 vcc_lo, 0, v2
	s_and_saveexec_b32 s0, vcc_lo
	s_cbranch_execz .LBB6_21
; %bb.20:
	s_trap 2
	ds_load_b32 v25, v0
.LBB6_21:
	s_or_b32 exec_lo, exec_lo, s0
	v_and_b32_e32 v2, 24, v30
	s_mov_b32 s2, exec_lo
	s_delay_alu instid0(VALU_DEP_1)
	v_cmpx_ne_u32_e32 0, v2
	s_cbranch_execz .LBB6_23
; %bb.22:
	s_trap 2
	s_wait_dscnt 0x0
	ds_load_b32 v25, v0
.LBB6_23:
	s_or_b32 exec_lo, exec_lo, s2
	s_wait_loadcnt 0x4
	v_lshrrev_b64 v[2:3], 31, v[16:17]
	v_mov_b64_e32 v[28:29], 0
	v_mov_b64_e32 v[6:7], 0
                                        ; implicit-def: $vgpr34
                                        ; implicit-def: $vgpr48_vgpr49
                                        ; implicit-def: $vgpr36_vgpr37
                                        ; implicit-def: $vgpr32_vgpr33
	s_delay_alu instid0(VALU_DEP_3) | instskip(NEXT) | instid1(VALU_DEP_1)
	v_and_b32_e32 v2, 3, v2
	v_and_b32_e32 v17, 0xffff, v2
                                        ; implicit-def: $vgpr2_vgpr3
	s_and_saveexec_b32 s0, vcc_lo
	s_cbranch_execz .LBB6_33
; %bb.24:
	s_trap 2
	ds_load_b64 v[2:3], v0
	s_wait_dscnt 0x0
	v_readfirstlane_b32 s2, v2
	v_readfirstlane_b32 s3, v3
	flat_load_b64 v[2:3], v25, s[2:3] scale_offset
	s_wait_loadcnt_dscnt 0x0
	v_mad_nc_u64_u32 v[22:23], 0xa8, v17, v[2:3]
	flat_load_b32 v2, v[22:23] offset:640
	s_wait_loadcnt_dscnt 0x0
	v_cmp_eq_u32_e32 vcc_lo, 1, v2
                                        ; implicit-def: $vgpr2_vgpr3
	s_wait_xcnt 0x0
	s_and_saveexec_b32 s2, vcc_lo
	s_cbranch_execz .LBB6_26
; %bb.25:
	flat_load_b64 v[2:3], v[22:23] offset:648
	v_or_b32_e32 v30, 0x2000, v30
	s_wait_loadcnt_dscnt 0x0
	flat_load_b64 v[6:7], v[2:3]
	s_trap 2
	s_wait_loadcnt_dscnt 0x0
	ds_store_b64 v0, v[6:7]
	flat_load_b64 v[6:7], v[2:3] offset:8
	s_wait_loadcnt_dscnt 0x0
	ds_store_b64 v0, v[6:7]
	flat_load_b64 v[6:7], v[2:3] offset:16
	s_wait_loadcnt_dscnt 0x0
	ds_store_b64 v0, v[6:7]
.LBB6_26:
	s_wait_xcnt 0x0
	s_or_b32 exec_lo, exec_lo, s2
	flat_load_b64 v[8:9], v[22:23] offset:608
	v_and_b32_e32 v6, 32, v30
	s_mov_b32 s2, exec_lo
                                        ; implicit-def: $vgpr32_vgpr33
	s_wait_xcnt 0x0
	s_delay_alu instid0(VALU_DEP_1)
	v_cmpx_ne_u32_e32 0, v6
	s_cbranch_execz .LBB6_28
; %bb.27:
	flat_load_b64 v[32:33], v[22:23] offset:560
	global_wb scope:SCOPE_SYS
	s_wait_storecnt 0x0
	s_wait_xcnt 0x0
	s_wait_loadcnt_dscnt 0x0
	flat_store_b64 v[32:33], v[8:9] scope:SCOPE_SYS
.LBB6_28:
	s_wait_xcnt 0x0
	s_or_b32 exec_lo, exec_lo, s2
	v_and_b32_e32 v34, 4, v30
	v_add_nc_u64_e32 v[28:29], 0x1f8, v[22:23]
	v_mov_b64_e32 v[6:7], 0
                                        ; implicit-def: $vgpr48_vgpr49
                                        ; implicit-def: $vgpr36_vgpr37
	s_delay_alu instid0(VALU_DEP_3)
	v_cmp_ne_u32_e32 vcc_lo, 0, v34
                                        ; implicit-def: $vgpr34
	s_and_saveexec_b32 s2, vcc_lo
	s_cbranch_execz .LBB6_32
; %bb.29:
	v_and_b32_e32 v6, 0x800, v30
	s_mov_b32 s3, exec_lo
	s_delay_alu instid0(VALU_DEP_1)
	v_cmpx_eq_u32_e32 0, v6
	s_cbranch_execz .LBB6_31
; %bb.30:
	s_trap 2
	ds_store_b64 v0, v[28:29]
.LBB6_31:
	s_or_b32 exec_lo, exec_lo, s3
	flat_load_b64 v[32:33], v[22:23] offset:552
	s_wait_loadcnt_dscnt 0x0
	flat_load_b64 v[48:49], v[32:33] scope:SCOPE_SYS
	s_clause 0x2
	flat_load_b32 v34, v[22:23] offset:576
	flat_load_b64 v[6:7], v[22:23] offset:600
	flat_load_b64 v[36:37], v[22:23] offset:520
	s_wait_xcnt 0x0
	v_or_b32_e32 v22, 0x100, v30
	s_wait_loadcnt_dscnt 0x202
	v_ashrrev_i32_e32 v34, 1, v34
	s_wait_loadcnt_dscnt 0x101
	v_cmp_eq_u64_e32 vcc_lo, 0, v[6:7]
	v_cndmask_b32_e32 v30, v22, v30, vcc_lo
.LBB6_32:
	s_or_b32 exec_lo, exec_lo, s2
.LBB6_33:
	s_delay_alu instid0(SALU_CYCLE_1) | instskip(NEXT) | instid1(VALU_DEP_1)
	s_or_b32 exec_lo, exec_lo, s0
	v_and_b32_e32 v22, 24, v30
	s_mov_b32 s0, exec_lo
                                        ; implicit-def: $vgpr52_vgpr53
	s_delay_alu instid0(VALU_DEP_1)
	v_cmpx_ne_u32_e32 0, v22
	s_cbranch_execz .LBB6_41
; %bb.34:
	s_trap 2
	ds_load_b64 v[6:7], v0
                                        ; implicit-def: $vgpr52_vgpr53
	s_wait_dscnt 0x0
	v_readfirstlane_b32 s2, v6
	v_readfirstlane_b32 s3, v7
	flat_load_b64 v[6:7], v25, s[2:3] scale_offset
	s_wait_xcnt 0x0
	s_mov_b32 s2, exec_lo
	s_wait_loadcnt_dscnt 0x0
	v_mad_nc_u64_u32 v[28:29], 0xa8, v17, v[6:7]
	v_or_b32_e32 v17, 0x100, v30
	flat_load_b128 v[6:9], v[28:29] offset:96
	s_wait_loadcnt_dscnt 0x0
	v_cmp_eq_u64_e32 vcc_lo, 0, v[6:7]
	v_cndmask_b32_e32 v30, v17, v30, vcc_lo
	s_delay_alu instid0(VALU_DEP_1) | instskip(SKIP_1) | instid1(VALU_DEP_1)
	v_and_b32_e32 v17, 16, v30
	s_wait_xcnt 0x0
	v_cmpx_ne_u32_e32 0, v17
	s_cbranch_execz .LBB6_36
; %bb.35:
	s_clause 0x2
	flat_load_b64 v[32:33], v[28:29] offset:48
	flat_load_b64 v[52:53], v[28:29] offset:120
	;; [unrolled: 1-line block ×3, first 2 shown]
.LBB6_36:
	s_wait_xcnt 0x0
	s_or_b32 exec_lo, exec_lo, s2
	v_and_b32_e32 v17, 8, v30
	s_mov_b32 s2, exec_lo
	s_delay_alu instid0(VALU_DEP_1)
	v_cmpx_ne_u32_e32 0, v17
	s_cbranch_execz .LBB6_40
; %bb.37:
	v_and_b32_e32 v17, 0x800, v30
	s_mov_b32 s3, exec_lo
	s_delay_alu instid0(VALU_DEP_1)
	v_cmpx_eq_u32_e32 0, v17
	s_cbranch_execz .LBB6_39
; %bb.38:
	s_trap 2
	ds_store_b64 v0, v[28:29]
.LBB6_39:
	s_or_b32 exec_lo, exec_lo, s3
	s_wait_loadcnt_dscnt 0x202
	flat_load_b64 v[32:33], v[28:29] offset:56
	s_wait_loadcnt_dscnt 0x0
	flat_load_b64 v[48:49], v[32:33] scope:SCOPE_SYS
	s_clause 0x1
	flat_load_b32 v17, v[28:29] offset:72
	flat_load_b64 v[36:37], v[28:29] offset:16
	s_wait_loadcnt_dscnt 0x101
	v_ashrrev_i32_e32 v34, 1, v17
.LBB6_40:
	s_wait_xcnt 0x0
	s_or_b32 exec_lo, exec_lo, s2
.LBB6_41:
	s_delay_alu instid0(SALU_CYCLE_1)
	s_or_b32 exec_lo, exec_lo, s0
	v_cmp_eq_u32_e64 s0, 0, v0
	s_and_saveexec_b32 s2, s0
	s_cbranch_execz .LBB6_43
; %bb.42:
	v_mov_b64_e32 v[22:23], 0
	s_wait_loadcnt 0x2
	ds_store_2addr_b64 v0, v[12:13], v[10:11] offset1:1
	s_trap 2
	ds_store_b64 v0, v[22:23]
	s_wait_loadcnt 0x1
	ds_store_b64 v0, v[20:21]
.LBB6_43:
	s_or_b32 exec_lo, exec_lo, s2
	s_ashr_i32 s2, s1, 31
	v_and_b32_e32 v50, 0x1fffff00, v18
	s_lshr_b32 s2, s2, 29
	s_wait_loadcnt 0x2
	v_bfe_u32 v10, v16, 1, 30
	v_mov_b32_e32 v51, 0
	s_wait_loadcnt 0x0
	v_and_b32_e32 v114, 0xffff, v19
	s_add_co_i32 s1, s1, s2
                                        ; implicit-def: $vgpr38_vgpr39
	s_delay_alu instid0(SALU_CYCLE_1)
	s_ashr_i32 s15, s1, 4
	s_mov_b32 s1, exec_lo
	v_cmpx_ne_u32_e64 v24, v10
	s_xor_b32 s16, exec_lo, s1
	s_cbranch_execz .LBB6_657
; %bb.44:
                                        ; implicit-def: $vgpr38_vgpr39
	s_mov_b32 s1, exec_lo
	v_cmpx_ne_u32_e64 v14, v10
	s_xor_b32 s17, exec_lo, s1
	s_cbranch_execz .LBB6_356
; %bb.45:
	v_mov_b64_e32 v[38:39], 0
	s_mov_b32 s18, exec_lo
	v_cmpx_ne_u64_e32 0, v[4:5]
	s_cbranch_execz .LBB6_355
; %bb.46:
	v_dual_ashrrev_i32 v35, 31, v34 :: v_dual_bitop2_b32 v10, 31, v31 bitop3:0x40
	v_dual_lshrrev_b32 v115, 5, v0 :: v_dual_mov_b32 v55, 0
	v_dual_lshrrev_b32 v64, 5, v1 :: v_dual_bitop2_b32 v116, 31, v0 bitop3:0x40
	s_delay_alu instid0(VALU_DEP_3) | instskip(NEXT) | instid1(VALU_DEP_3)
	v_cmp_eq_u32_e64 s4, 0, v10
	v_dual_mov_b32 v67, v55 :: v_dual_lshlrev_b32 v10, 10, v115
	s_lshr_b32 s2, s15, 27
	v_cmp_eq_u32_e32 vcc_lo, 32, v1
	v_mov_b64_e32 v[82:83], 0
	s_delay_alu instid0(VALU_DEP_3)
	v_lshl_or_b32 v66, v116, 4, v10
	v_lshlrev_b32_e32 v10, 1, v1
	s_wait_dscnt 0x1
	v_cmp_eq_u64_e64 s7, 0, v[52:53]
	v_mov_b64_e32 v[84:85], 0
	v_mov_b64_e32 v[38:39], 0
	v_cmp_ge_u32_e64 s1, v0, v1
	s_add_co_i32 s10, s15, s2
	v_cmp_ne_u32_e64 s2, 32, v1
	v_cmp_ne_u32_e64 s3, v1, v114
	v_mov_b32_e32 v65, v55
	v_cmp_le_u32_e64 s5, v116, v15
	v_cmp_lt_u32_e64 s6, v116, v15
	v_dual_mov_b32 v69, v55 :: v_dual_lshlrev_b32 v68, 10, v64
	v_dual_mov_b32 v71, v55 :: v_dual_lshlrev_b32 v70, 9, v64
	v_and_b32_e32 v80, 0x3fc0, v10
	v_dual_mov_b32 v81, v55 :: v_dual_mov_b32 v117, 1
	v_mov_b32_e32 v118, 0x90
	s_ashr_i32 s20, s10, 5
	s_mov_b32 s19, 0
	s_xor_b32 s21, vcc_lo, -1
	s_trap 2
	s_branch .LBB6_49
.LBB6_47:                               ;   in Loop: Header=BB6_49 Depth=1
	s_wait_xcnt 0x0
	s_or_b32 exec_lo, exec_lo, s10
.LBB6_48:                               ;   in Loop: Header=BB6_49 Depth=1
	s_delay_alu instid0(SALU_CYCLE_1) | instskip(SKIP_1) | instid1(VALU_DEP_1)
	s_or_b32 exec_lo, exec_lo, s11
	v_add_nc_u64_e32 v[84:85], v[84:85], v[50:51]
	v_cmp_ge_u64_e32 vcc_lo, v[84:85], v[4:5]
	s_or_b32 s19, vcc_lo, s19
	s_delay_alu instid0(SALU_CYCLE_1)
	s_and_not1_b32 exec_lo, exec_lo, s19
	s_cbranch_execz .LBB6_354
.LBB6_49:                               ; =>This Loop Header: Depth=1
                                        ;     Child Loop BB6_58 Depth 2
                                        ;     Child Loop BB6_86 Depth 2
	;; [unrolled: 1-line block ×10, first 2 shown]
	v_sub_nc_u64_e32 v[10:11], v[4:5], v[84:85]
	s_delay_alu instid0(VALU_DEP_1) | instskip(NEXT) | instid1(VALU_DEP_1)
	v_min_u64 v[86:87], v[50:51], v[10:11]
	v_add_nc_u32_e32 v10, 15, v86
	s_delay_alu instid0(VALU_DEP_2) | instskip(NEXT) | instid1(VALU_DEP_2)
	v_cmp_eq_u64_e32 vcc_lo, 0, v[86:87]
	v_and_b32_e32 v10, 0x3ffffff0, v10
	s_or_b32 s22, s1, vcc_lo
	s_delay_alu instid0(SALU_CYCLE_1) | instskip(NEXT) | instid1(VALU_DEP_1)
	s_xor_b32 s10, s22, -1
	v_dual_mov_b32 v10, 0 :: v_dual_max_i32 v87, s20, v10
	s_and_saveexec_b32 s23, s10
	s_cbranch_execz .LBB6_302
; %bb.50:                               ;   in Loop: Header=BB6_49 Depth=1
	s_and_saveexec_b32 s10, s0
	s_cbranch_execz .LBB6_52
; %bb.51:                               ;   in Loop: Header=BB6_49 Depth=1
	s_trap 2
	ds_load_b64 v[10:11], v0
	s_wait_dscnt 0x0
	v_lshl_add_u64 v[10:11], v[26:27], 1, v[10:11]
	s_delay_alu instid0(VALU_DEP_1)
	v_lshl_add_u64 v[10:11], v[84:85], 1, v[10:11]
	ds_store_b64 v0, v[10:11]
	ds_store_b64 v0, v[82:83]
.LBB6_52:                               ;   in Loop: Header=BB6_49 Depth=1
	s_or_b32 exec_lo, exec_lo, s10
	v_and_b32_e32 v10, 12, v30
	v_min_u32_e32 v87, v87, v86
	s_mov_b32 s11, exec_lo
	s_delay_alu instid0(VALU_DEP_2)
	v_cmpx_ne_u32_e32 0, v10
	s_cbranch_execz .LBB6_78
; %bb.53:                               ;   in Loop: Header=BB6_49 Depth=1
	v_and_b32_e32 v54, 8, v30
	s_wait_dscnt 0x0
	v_add_nc_u64_e32 v[10:11], 1, v[8:9]
	s_mov_b32 s12, exec_lo
	s_wait_loadcnt 0x0
	v_add_nc_u64_e32 v[12:13], v[48:49], v[54:55]
	s_delay_alu instid0(VALU_DEP_1)
	v_cmpx_lt_u64_e64 v[12:13], v[10:11]
	s_cbranch_execz .LBB6_65
; %bb.54:                               ;   in Loop: Header=BB6_49 Depth=1
	v_and_b32_e32 v9, 64, v30
	s_mov_b32 s13, 0
	s_mov_b32 s27, 0
                                        ; implicit-def: $sgpr24
                                        ; implicit-def: $sgpr25
                                        ; implicit-def: $sgpr26
	s_delay_alu instid0(VALU_DEP_1)
	v_cmp_eq_u32_e32 vcc_lo, 0, v9
	s_branch .LBB6_58
.LBB6_55:                               ;   in Loop: Header=BB6_58 Depth=2
	s_wait_loadcnt_dscnt 0x0
	v_add_nc_u64_e32 v[12:13], v[48:49], v[54:55]
	s_or_b32 s40, s40, exec_lo
	s_delay_alu instid0(VALU_DEP_1)
	v_cmp_ge_u64_e64 s10, v[12:13], v[10:11]
	s_or_not1_b32 s29, s10, exec_lo
.LBB6_56:                               ;   in Loop: Header=BB6_58 Depth=2
	s_or_b32 exec_lo, exec_lo, s42
	s_delay_alu instid0(SALU_CYCLE_1)
	s_and_not1_b32 s10, s26, exec_lo
	s_and_b32 s26, s40, exec_lo
	s_and_not1_b32 s25, s25, exec_lo
	s_and_b32 s29, s29, exec_lo
	s_or_b32 s26, s10, s26
	s_or_b32 s25, s25, s29
.LBB6_57:                               ;   in Loop: Header=BB6_58 Depth=2
	s_or_b32 exec_lo, exec_lo, s28
	s_delay_alu instid0(SALU_CYCLE_1) | instskip(NEXT) | instid1(SALU_CYCLE_1)
	s_and_b32 s10, exec_lo, s25
	s_or_b32 s13, s10, s13
	s_and_not1_b32 s10, s24, exec_lo
	s_and_b32 s24, s26, exec_lo
	s_delay_alu instid0(SALU_CYCLE_1)
	s_or_b32 s24, s10, s24
	s_and_not1_b32 exec_lo, exec_lo, s13
	s_cbranch_execz .LBB6_62
.LBB6_58:                               ;   Parent Loop BB6_49 Depth=1
                                        ; =>  This Inner Loop Header: Depth=2
	s_sleep 1
	s_wait_loadcnt_dscnt 0x0
	flat_load_b64 v[48:49], v[32:33] scope:SCOPE_SYS
	s_or_b32 s26, s26, exec_lo
	s_or_b32 s25, s25, exec_lo
                                        ; implicit-def: $vgpr9
	s_wait_xcnt 0x0
	s_and_saveexec_b32 s28, vcc_lo
	s_cbranch_execz .LBB6_57
; %bb.59:                               ;   in Loop: Header=BB6_58 Depth=2
	s_cmp_lt_i32 s27, 0x270f
	s_mov_b32 s29, -1
	s_cselect_b32 s41, -1, 0
	s_cmp_gt_i32 s27, 0x270e
	s_cbranch_scc0 .LBB6_61
; %bb.60:                               ;   in Loop: Header=BB6_58 Depth=2
	s_trap 2
	ds_load_b64 v[12:13], v0
	s_and_not1_b32 s27, s41, exec_lo
	s_mov_b32 s40, 0
	s_wait_storecnt 0x0
	s_wait_loadcnt_dscnt 0x0
	flat_load_b32 v9, v[12:13] scope:SCOPE_SYS
	s_wait_loadcnt_dscnt 0x0
	global_inv scope:SCOPE_SYS
	v_cmp_eq_u32_e64 s10, 0, v9
	s_and_b32 s10, s10, exec_lo
	s_delay_alu instid0(SALU_CYCLE_1)
	s_or_b32 s41, s27, s10
	s_mov_b32 s27, 0
	s_and_saveexec_b32 s42, s41
	s_cbranch_execz .LBB6_56
	s_branch .LBB6_55
.LBB6_61:                               ;   in Loop: Header=BB6_58 Depth=2
	s_add_co_i32 s27, s27, 1
	s_mov_b32 s40, -1
                                        ; implicit-def: $vgpr9
	s_and_saveexec_b32 s42, s41
	s_cbranch_execz .LBB6_56
	s_branch .LBB6_55
.LBB6_62:                               ;   in Loop: Header=BB6_49 Depth=1
	s_or_b32 exec_lo, exec_lo, s13
	s_xor_b32 s10, s24, -1
	s_delay_alu instid0(SALU_CYCLE_1) | instskip(NEXT) | instid1(SALU_CYCLE_1)
	s_and_saveexec_b32 s13, s10
	s_xor_b32 s10, exec_lo, s13
	s_cbranch_execz .LBB6_64
; %bb.63:                               ;   in Loop: Header=BB6_49 Depth=1
	v_or_b32_e32 v30, 64, v30
	s_wait_storecnt 0x0
	s_wait_loadcnt_dscnt 0x0
	ds_store_b32 v0, v9
	s_trap 2
.LBB6_64:                               ;   in Loop: Header=BB6_49 Depth=1
	s_or_b32 exec_lo, exec_lo, s10
.LBB6_65:                               ;   in Loop: Header=BB6_49 Depth=1
	s_delay_alu instid0(SALU_CYCLE_1) | instskip(SKIP_2) | instid1(VALU_DEP_1)
	s_or_b32 exec_lo, exec_lo, s12
	v_and_b32_e32 v9, 0x108, v30
	;;#ASMSTART
	s_wakeup
	;;#ASMEND
	v_cmp_ne_u32_e32 vcc_lo, 0x108, v9
	v_and_b32_e32 v8, 7, v8
	s_and_saveexec_b32 s10, vcc_lo
	s_delay_alu instid0(SALU_CYCLE_1)
	s_xor_b32 s10, exec_lo, s10
; %bb.66:                               ;   in Loop: Header=BB6_49 Depth=1
	v_mov_b32_e32 v9, v55
; %bb.67:                               ;   in Loop: Header=BB6_49 Depth=1
	s_and_not1_saveexec_b32 s10, s10
	s_cbranch_execz .LBB6_69
; %bb.68:                               ;   in Loop: Header=BB6_49 Depth=1
	v_mad_nc_u64_u32 v[12:13], v8, 24, v[6:7]
	v_dual_mov_b32 v15, v55 :: v_dual_lshlrev_b32 v14, 1, v87
	v_mov_b32_e32 v9, v55
	flat_store_b64 v[12:13], v[14:15] offset:8
.LBB6_69:                               ;   in Loop: Header=BB6_49 Depth=1
	s_wait_xcnt 0x0
	s_or_b32 exec_lo, exec_lo, s10
	v_and_b32_e32 v12, 0x100, v30
	s_mov_b32 s10, -1
	s_delay_alu instid0(VALU_DEP_1)
	v_cmp_ne_u32_e32 vcc_lo, 0, v12
                                        ; implicit-def: $vgpr12_vgpr13
	s_and_saveexec_b32 s12, vcc_lo
	s_cbranch_execz .LBB6_73
; %bb.70:                               ;   in Loop: Header=BB6_49 Depth=1
	v_mad_nc_u64_u32 v[14:15], v8, 24, v[6:7]
	s_delay_alu instid0(VALU_DEP_1)
	v_mad_u32 v15, v9, 24, v15
	flat_load_b32 v12, v[14:15]
	s_wait_loadcnt_dscnt 0x0
	v_cmp_eq_u32_e64 s10, 1, v12
	v_cmp_ne_u32_e32 vcc_lo, 1, v12
                                        ; implicit-def: $vgpr12_vgpr13
	s_wait_xcnt 0x0
	s_and_saveexec_b32 s13, s10
	s_cbranch_execz .LBB6_72
; %bb.71:                               ;   in Loop: Header=BB6_49 Depth=1
	flat_load_b32 v12, v[14:15] offset:4 scope:SCOPE_SYS
	s_wait_loadcnt_dscnt 0x0
	v_ashrrev_i32_e32 v13, 31, v12
	s_delay_alu instid0(VALU_DEP_1)
	v_lshrrev_b64 v[12:13], 1, v[12:13]
.LBB6_72:                               ;   in Loop: Header=BB6_49 Depth=1
	s_wait_xcnt 0x0
	s_or_b32 exec_lo, exec_lo, s13
	s_delay_alu instid0(SALU_CYCLE_1)
	s_or_not1_b32 s10, vcc_lo, exec_lo
.LBB6_73:                               ;   in Loop: Header=BB6_49 Depth=1
	s_or_b32 exec_lo, exec_lo, s12
	s_and_saveexec_b32 s12, s10
; %bb.74:                               ;   in Loop: Header=BB6_49 Depth=1
	v_mul_u64_e32 v[12:13], v[8:9], v[34:35]
; %bb.75:                               ;   in Loop: Header=BB6_49 Depth=1
	s_or_b32 exec_lo, exec_lo, s12
	v_cmp_eq_u32_e32 vcc_lo, 0, v54
	v_and_b32_e32 v15, 0x2000, v30
	s_delay_alu instid0(VALU_DEP_3) | instskip(SKIP_2) | instid1(VALU_DEP_1)
	v_lshl_add_u64 v[8:9], v[12:13], 1, v[36:37]
	s_mov_b32 s10, exec_lo
	v_cndmask_b32_e32 v14, 0xc8, v118, vcc_lo
	v_add_nc_u32_e32 v12, v0, v14
	ds_store_b64 v12, v[8:9] offset:584
	v_cmpx_ne_u32_e32 0, v15
	s_cbranch_execz .LBB6_77
; %bb.76:                               ;   in Loop: Header=BB6_49 Depth=1
	ds_load_b64 v[8:9], v0 offset:872
	s_wait_dscnt 0x0
	v_add_nc_u64_e32 v[8:9], 1, v[8:9]
	ds_store_b64 v0, v[8:9] offset:872
.LBB6_77:                               ;   in Loop: Header=BB6_49 Depth=1
	s_or_b32 exec_lo, exec_lo, s10
	v_mov_b64_e32 v[8:9], v[10:11]
.LBB6_78:                               ;   in Loop: Header=BB6_49 Depth=1
	s_or_b32 exec_lo, exec_lo, s11
	s_and_saveexec_b32 s10, s2
	s_cbranch_execz .LBB6_97
; %bb.79:                               ;   in Loop: Header=BB6_49 Depth=1
	s_and_saveexec_b32 s11, s3
	s_delay_alu instid0(SALU_CYCLE_1)
	s_xor_b32 s11, exec_lo, s11
	s_cbranch_execz .LBB6_94
; %bb.80:                               ;   in Loop: Header=BB6_49 Depth=1
	s_and_saveexec_b32 s12, s4
	s_cbranch_execz .LBB6_93
; %bb.81:                               ;   in Loop: Header=BB6_49 Depth=1
	s_mov_b32 s24, exec_lo
	s_mov_b32 s13, exec_lo
	v_mbcnt_lo_u32_b32 v10, s24, 0
	global_wb scope:SCOPE_DEV
	s_wait_storecnt 0x0
	s_wait_loadcnt_dscnt 0x0
	global_inv scope:SCOPE_DEV
	v_cmpx_eq_u32_e32 0, v10
	s_cbranch_execz .LBB6_83
; %bb.82:                               ;   in Loop: Header=BB6_49 Depth=1
	s_bcnt1_i32_b32 s24, s24
	s_delay_alu instid0(SALU_CYCLE_1)
	v_mov_b32_e32 v54, s24
	s_wait_loadcnt 0x0
	ds_add_u64 v0, v[54:55]
	s_trap 2
.LBB6_83:                               ;   in Loop: Header=BB6_49 Depth=1
	s_or_b32 exec_lo, exec_lo, s13
	s_trap 2
	ds_load_b64 v[10:11], v0
	s_wait_dscnt 0x0
	v_add_nc_u64_e32 v[38:39], v[38:39], v[64:65]
	s_mov_b32 s13, exec_lo
	s_delay_alu instid0(VALU_DEP_1)
	v_cmpx_lt_u64_e64 v[10:11], v[38:39]
	s_cbranch_execz .LBB6_92
; %bb.84:                               ;   in Loop: Header=BB6_49 Depth=1
	s_mov_b32 s24, 0
	s_mov_b32 s27, 0
                                        ; implicit-def: $sgpr25
                                        ; implicit-def: $sgpr26
	s_branch .LBB6_86
.LBB6_85:                               ;   in Loop: Header=BB6_86 Depth=2
	s_or_b32 exec_lo, exec_lo, s29
	s_delay_alu instid0(SALU_CYCLE_1) | instskip(NEXT) | instid1(SALU_CYCLE_1)
	s_and_b32 s28, exec_lo, s40
	s_or_b32 s24, s28, s24
	s_and_not1_b32 s25, s25, exec_lo
	s_and_b32 s28, s26, exec_lo
	s_delay_alu instid0(SALU_CYCLE_1)
	s_or_b32 s25, s25, s28
	s_and_not1_b32 exec_lo, exec_lo, s24
	s_cbranch_execz .LBB6_90
.LBB6_86:                               ;   Parent Loop BB6_49 Depth=1
                                        ; =>  This Inner Loop Header: Depth=2
	s_add_co_i32 s27, s27, 1
	s_delay_alu instid0(SALU_CYCLE_1) | instskip(SKIP_1) | instid1(SALU_CYCLE_1)
	s_cmp_lg_u32 s27, 0x2710
	s_cselect_b32 s28, -1, 0
	s_and_b32 vcc_lo, exec_lo, s28
	s_cbranch_vccz .LBB6_88
; %bb.87:                               ;   in Loop: Header=BB6_86 Depth=2
	s_mov_b32 s40, -1
	s_or_b32 s26, s26, exec_lo
	s_and_saveexec_b32 s29, s28
	s_cbranch_execz .LBB6_85
	s_branch .LBB6_89
.LBB6_88:                               ;   in Loop: Header=BB6_86 Depth=2
	s_trap 2
	ds_load_b64 v[10:11], v0
	s_and_not1_b32 s28, s28, exec_lo
	s_mov_b32 s27, 0
	s_wait_loadcnt_dscnt 0x0
	flat_load_b32 v10, v[10:11] scope:SCOPE_SYS
	s_wait_loadcnt_dscnt 0x0
	global_inv scope:SCOPE_SYS
	v_cmp_eq_u32_e32 vcc_lo, 0, v10
	s_and_b32 s29, vcc_lo, exec_lo
	s_delay_alu instid0(SALU_CYCLE_1)
	s_or_b32 s28, s28, s29
	s_mov_b32 s40, -1
	s_or_b32 s26, s26, exec_lo
	s_and_saveexec_b32 s29, s28
	s_cbranch_execz .LBB6_85
.LBB6_89:                               ;   in Loop: Header=BB6_86 Depth=2
	s_sleep 1
	s_trap 2
	ds_load_b64 v[10:11], v0
	s_wait_dscnt 0x0
	s_and_not1_b32 s26, s26, exec_lo
	v_cmp_ge_u64_e32 vcc_lo, v[10:11], v[38:39]
	s_or_not1_b32 s40, vcc_lo, exec_lo
	s_branch .LBB6_85
.LBB6_90:                               ;   in Loop: Header=BB6_49 Depth=1
	s_or_b32 exec_lo, exec_lo, s24
	s_and_saveexec_b32 s24, s25
	s_delay_alu instid0(SALU_CYCLE_1)
	s_xor_b32 s24, exec_lo, s24
	s_cbranch_execz .LBB6_92
; %bb.91:                               ;   in Loop: Header=BB6_49 Depth=1
	ds_store_b32 v0, v117
	s_trap 2
.LBB6_92:                               ;   in Loop: Header=BB6_49 Depth=1
	s_or_b32 exec_lo, exec_lo, s13
	;;#ASMSTART
	s_wakeup
	;;#ASMEND
.LBB6_93:                               ;   in Loop: Header=BB6_49 Depth=1
	s_or_b32 exec_lo, exec_lo, s12
.LBB6_94:                               ;   in Loop: Header=BB6_49 Depth=1
	s_and_not1_saveexec_b32 s11, s11
	s_cbranch_execz .LBB6_96
; %bb.95:                               ;   in Loop: Header=BB6_49 Depth=1
	global_wb scope:SCOPE_DEV
	s_wait_storecnt 0x0
	s_wait_loadcnt_dscnt 0x0
	global_inv scope:SCOPE_DEV
	s_barrier_signal -1
	s_barrier_wait -1
.LBB6_96:                               ;   in Loop: Header=BB6_49 Depth=1
	s_or_b32 exec_lo, exec_lo, s11
.LBB6_97:                               ;   in Loop: Header=BB6_49 Depth=1
	s_delay_alu instid0(SALU_CYCLE_1) | instskip(SKIP_3) | instid1(VALU_DEP_1)
	s_or_b32 exec_lo, exec_lo, s10
	s_trap 2
	ds_load_b32 v10, v0
	v_and_b32_e32 v11, 0x4000, v30
	v_cmp_ne_u32_e32 vcc_lo, 0, v11
	s_and_b32 s11, s21, vcc_lo
	s_delay_alu instid0(SALU_CYCLE_1)
	s_and_saveexec_b32 s10, s11
	s_cbranch_execz .LBB6_116
; %bb.98:                               ;   in Loop: Header=BB6_49 Depth=1
	s_and_saveexec_b32 s11, s3
	s_delay_alu instid0(SALU_CYCLE_1)
	s_xor_b32 s11, exec_lo, s11
	s_cbranch_execz .LBB6_113
; %bb.99:                               ;   in Loop: Header=BB6_49 Depth=1
	s_and_saveexec_b32 s12, s4
	s_cbranch_execz .LBB6_112
; %bb.100:                              ;   in Loop: Header=BB6_49 Depth=1
	s_mov_b32 s24, exec_lo
	s_mov_b32 s13, exec_lo
	v_mbcnt_lo_u32_b32 v11, s24, 0
	global_wb scope:SCOPE_DEV
	s_wait_storecnt 0x0
	s_wait_loadcnt_dscnt 0x0
	global_inv scope:SCOPE_DEV
	v_cmpx_eq_u32_e32 0, v11
	s_cbranch_execz .LBB6_102
; %bb.101:                              ;   in Loop: Header=BB6_49 Depth=1
	s_bcnt1_i32_b32 s24, s24
	s_delay_alu instid0(SALU_CYCLE_1)
	v_mov_b32_e32 v54, s24
	s_wait_loadcnt 0x0
	ds_add_u64 v0, v[54:55]
	s_trap 2
.LBB6_102:                              ;   in Loop: Header=BB6_49 Depth=1
	s_or_b32 exec_lo, exec_lo, s13
	s_trap 2
	ds_load_b64 v[12:13], v0
	s_wait_dscnt 0x0
	v_add_nc_u64_e32 v[38:39], v[38:39], v[64:65]
	s_mov_b32 s13, exec_lo
	s_delay_alu instid0(VALU_DEP_1)
	v_cmpx_lt_u64_e64 v[12:13], v[38:39]
	s_cbranch_execz .LBB6_111
; %bb.103:                              ;   in Loop: Header=BB6_49 Depth=1
	s_mov_b32 s24, 0
	s_mov_b32 s27, 0
                                        ; implicit-def: $sgpr25
                                        ; implicit-def: $sgpr26
	s_branch .LBB6_105
.LBB6_104:                              ;   in Loop: Header=BB6_105 Depth=2
	s_or_b32 exec_lo, exec_lo, s29
	s_delay_alu instid0(SALU_CYCLE_1) | instskip(NEXT) | instid1(SALU_CYCLE_1)
	s_and_b32 s28, exec_lo, s40
	s_or_b32 s24, s28, s24
	s_and_not1_b32 s25, s25, exec_lo
	s_and_b32 s28, s26, exec_lo
	s_delay_alu instid0(SALU_CYCLE_1)
	s_or_b32 s25, s25, s28
	s_and_not1_b32 exec_lo, exec_lo, s24
	s_cbranch_execz .LBB6_109
.LBB6_105:                              ;   Parent Loop BB6_49 Depth=1
                                        ; =>  This Inner Loop Header: Depth=2
	s_add_co_i32 s27, s27, 1
	s_delay_alu instid0(SALU_CYCLE_1) | instskip(SKIP_1) | instid1(SALU_CYCLE_1)
	s_cmp_lg_u32 s27, 0x2710
	s_cselect_b32 s28, -1, 0
	s_and_b32 vcc_lo, exec_lo, s28
	s_cbranch_vccz .LBB6_107
; %bb.106:                              ;   in Loop: Header=BB6_105 Depth=2
	s_mov_b32 s40, -1
	s_or_b32 s26, s26, exec_lo
	s_and_saveexec_b32 s29, s28
	s_cbranch_execz .LBB6_104
	s_branch .LBB6_108
.LBB6_107:                              ;   in Loop: Header=BB6_105 Depth=2
	s_trap 2
	ds_load_b64 v[12:13], v0
	s_and_not1_b32 s28, s28, exec_lo
	s_mov_b32 s27, 0
	s_wait_loadcnt_dscnt 0x0
	flat_load_b32 v11, v[12:13] scope:SCOPE_SYS
	s_wait_loadcnt_dscnt 0x0
	global_inv scope:SCOPE_SYS
	v_cmp_eq_u32_e32 vcc_lo, 0, v11
	s_and_b32 s29, vcc_lo, exec_lo
	s_delay_alu instid0(SALU_CYCLE_1)
	s_or_b32 s28, s28, s29
	s_mov_b32 s40, -1
	s_or_b32 s26, s26, exec_lo
	s_and_saveexec_b32 s29, s28
	s_cbranch_execz .LBB6_104
.LBB6_108:                              ;   in Loop: Header=BB6_105 Depth=2
	s_sleep 1
	s_trap 2
	ds_load_b64 v[12:13], v0
	s_wait_dscnt 0x0
	s_and_not1_b32 s26, s26, exec_lo
	v_cmp_ge_u64_e32 vcc_lo, v[12:13], v[38:39]
	s_or_not1_b32 s40, vcc_lo, exec_lo
	s_branch .LBB6_104
.LBB6_109:                              ;   in Loop: Header=BB6_49 Depth=1
	s_or_b32 exec_lo, exec_lo, s24
	s_and_saveexec_b32 s24, s25
	s_delay_alu instid0(SALU_CYCLE_1)
	s_xor_b32 s24, exec_lo, s24
	s_cbranch_execz .LBB6_111
; %bb.110:                              ;   in Loop: Header=BB6_49 Depth=1
	ds_store_b32 v0, v117
	s_trap 2
.LBB6_111:                              ;   in Loop: Header=BB6_49 Depth=1
	s_or_b32 exec_lo, exec_lo, s13
	;;#ASMSTART
	s_wakeup
	;;#ASMEND
.LBB6_112:                              ;   in Loop: Header=BB6_49 Depth=1
	s_or_b32 exec_lo, exec_lo, s12
.LBB6_113:                              ;   in Loop: Header=BB6_49 Depth=1
	s_and_not1_saveexec_b32 s11, s11
	s_cbranch_execz .LBB6_115
; %bb.114:                              ;   in Loop: Header=BB6_49 Depth=1
	global_wb scope:SCOPE_DEV
	s_wait_storecnt 0x0
	s_wait_loadcnt_dscnt 0x0
	global_inv scope:SCOPE_DEV
	s_barrier_signal -1
	s_barrier_wait -1
.LBB6_115:                              ;   in Loop: Header=BB6_49 Depth=1
	s_or_b32 exec_lo, exec_lo, s11
.LBB6_116:                              ;   in Loop: Header=BB6_49 Depth=1
	s_delay_alu instid0(SALU_CYCLE_1)
	s_or_b32 exec_lo, exec_lo, s10
	s_trap 2
	ds_load_b64 v[96:97], v0
	s_wait_dscnt 0x0
	v_cmp_eq_u64_e32 vcc_lo, 0, v[96:97]
	s_cbranch_vccnz .LBB6_124
; %bb.117:                              ;   in Loop: Header=BB6_49 Depth=1
	s_trap 2
	ds_load_b64 v[98:99], v0
	s_wait_dscnt 0x0
	v_cmp_eq_u64_e32 vcc_lo, 0, v[98:99]
	s_cbranch_vccnz .LBB6_124
; %bb.118:                              ;   in Loop: Header=BB6_49 Depth=1
	s_trap 2
	ds_load_b64 v[12:13], v0
	s_mov_b32 s10, -1
	s_wait_dscnt 0x0
	v_readfirstlane_b32 s12, v12
	v_readfirstlane_b32 s13, v13
	s_and_saveexec_b32 s11, s5
	s_cbranch_execz .LBB6_120
; %bb.119:                              ;   in Loop: Header=BB6_49 Depth=1
	ds_load_b32 v11, v0 offset:720
	s_wait_dscnt 0x0
	v_and_b32_e32 v11, 15, v11
	s_delay_alu instid0(VALU_DEP_1)
	v_cmp_eq_u32_e32 vcc_lo, 0, v11
	s_or_not1_b32 s10, vcc_lo, exec_lo
.LBB6_120:                              ;   in Loop: Header=BB6_49 Depth=1
	s_or_b32 exec_lo, exec_lo, s11
	s_and_saveexec_b32 s11, s6
	s_cbranch_execz .LBB6_122
; %bb.121:                              ;   in Loop: Header=BB6_49 Depth=1
	ds_load_b32 v11, v0 offset:784
	s_wait_dscnt 0x0
	v_and_b32_e32 v11, 15, v11
	s_delay_alu instid0(VALU_DEP_1) | instskip(SKIP_3) | instid1(SALU_CYCLE_1)
	v_cmp_eq_u32_e32 vcc_lo, 0, v11
	s_and_b32 s24, s10, vcc_lo
	s_and_not1_b32 s10, s10, exec_lo
	s_and_b32 s24, s24, exec_lo
	s_or_b32 s10, s10, s24
.LBB6_122:                              ;   in Loop: Header=BB6_49 Depth=1
	s_or_b32 exec_lo, exec_lo, s11
	v_cmp_eq_u32_e32 vcc_lo, 0, v10
	s_xor_b32 s10, s10, -1
	v_mov_b32_e32 v16, 0
	v_cndmask_b32_e64 v11, 0, 1, s10
	s_mov_b32 s10, -1
	v_cndmask_b32_e32 v54, 0, v87, vcc_lo
	s_delay_alu instid0(VALU_DEP_2) | instskip(NEXT) | instid1(VALU_DEP_2)
	v_cmp_ne_u32_e32 vcc_lo, 0, v11
	v_lshlrev_b32_e32 v119, 1, v54
	s_cbranch_vccz .LBB6_125
; %bb.123:                              ;   in Loop: Header=BB6_49 Depth=1
	v_mov_b32_e32 v17, v0
	s_and_saveexec_b32 s11, s10
	s_cbranch_execnz .LBB6_232
	s_branch .LBB6_276
.LBB6_124:                              ;   in Loop: Header=BB6_49 Depth=1
	s_mov_b32 s10, 0
	s_and_saveexec_b32 s11, s2
	s_cbranch_execnz .LBB6_277
	s_branch .LBB6_295
.LBB6_125:                              ;   in Loop: Header=BB6_49 Depth=1
	v_lshrrev_b32_e32 v41, 9, v54
	s_mov_b32 s11, exec_lo
	s_delay_alu instid0(VALU_DEP_1) | instskip(NEXT) | instid1(VALU_DEP_1)
	v_sub_nc_u32_e32 v40, v41, v115
	v_cmpx_lt_i32_e32 0, v40
	s_cbranch_execz .LBB6_193
; %bb.126:                              ;   in Loop: Header=BB6_49 Depth=1
	s_trap 2
	ds_load_b64 v[10:11], v0
	v_add_nc_u64_e32 v[100:101], v[96:97], v[66:67]
	v_add_nc_u64_e32 v[112:113], v[98:99], v[66:67]
	s_bitcmp0_b64 s[12:13], 0
	s_mov_b32 s24, 0
	s_cselect_b32 vcc_lo, -1, 0
	s_wait_dscnt 0x0
	v_add_nc_u64_e32 v[102:103], v[10:11], v[66:67]
	s_branch .LBB6_128
.LBB6_127:                              ;   in Loop: Header=BB6_128 Depth=2
	s_or_b32 exec_lo, exec_lo, s25
	v_dual_lshrrev_b32 v17, 16, v22 :: v_dual_lshrrev_b32 v23, 16, v23
	v_lshrrev_b32_e32 v22, 16, v42
	v_dual_lshrrev_b32 v14, 16, v14 :: v_dual_lshrrev_b32 v15, 16, v15
	v_lshrrev_b32_e32 v16, 16, v16
	s_delay_alu instid0(VALU_DEP_4)
	v_and_or_b32 v19, 0xffff0000, v19, v17
	v_lshrrev_b32_e32 v17, 16, v24
	v_and_or_b32 v18, 0xffff0000, v18, v22
	v_lshrrev_b32_e32 v22, 16, v25
	v_and_or_b32 v20, 0xffff0000, v20, v23
	v_sub_nc_u32_e32 v40, v40, v64
	v_and_or_b32 v21, 0xffff0000, v21, v17
	v_and_or_b32 v11, 0xffff0000, v11, v14
	;; [unrolled: 1-line block ×5, first 2 shown]
	s_clause 0x1
	global_store_b128 v[112:113], v[18:21], off th:TH_STORE_NT
	global_store_b128 v[112:113], v[10:13], off offset:512 th:TH_STORE_NT
	v_add_nc_u64_e32 v[100:101], v[100:101], v[68:69]
	v_add_nc_u64_e32 v[102:103], v[102:103], v[68:69]
	v_cmp_gt_i32_e64 s10, 1, v40
	s_wait_xcnt 0x0
	v_add_nc_u64_e32 v[112:113], v[112:113], v[68:69]
	s_or_b32 s24, s10, s24
	s_delay_alu instid0(SALU_CYCLE_1)
	s_and_not1_b32 exec_lo, exec_lo, s24
	s_cbranch_execz .LBB6_192
.LBB6_128:                              ;   Parent Loop BB6_49 Depth=1
                                        ; =>  This Inner Loop Header: Depth=2
	global_load_b128 v[22:25], v[102:103], off th:TH_LOAD_NT
	s_clause 0x1
	global_load_b128 v[18:21], v[100:101], off th:TH_LOAD_NT
	global_load_b128 v[10:13], v[100:101], off offset:512 th:TH_LOAD_NT
	global_load_b128 v[14:17], v[102:103], off offset:512 th:TH_LOAD_NT
	s_wait_loadcnt 0x2
	v_lshlrev_b32_e32 v43, 16, v18
	s_delay_alu instid0(VALU_DEP_1) | instskip(NEXT) | instid1(VALU_DEP_1)
	v_dual_max_num_f32 v43, v43, v43 :: v_dual_lshlrev_b32 v42, 16, v22
	v_max_num_f32_e32 v42, v42, v42
	s_delay_alu instid0(VALU_DEP_1) | instskip(NEXT) | instid1(VALU_DEP_1)
	v_dual_min_num_f32 v44, v43, v42 :: v_dual_max_num_f32 v42, v43, v42
	v_cndmask_b32_e32 v43, v42, v44, vcc_lo
	s_delay_alu instid0(VALU_DEP_1) | instskip(NEXT) | instid1(VALU_DEP_1)
	v_and_b32_e32 v42, 0x7f800000, v43
	v_cmp_ne_u32_e64 s10, 0x7f800000, v42
                                        ; implicit-def: $vgpr42
	s_wait_xcnt 0x0
	s_and_saveexec_b32 s25, s10
	s_delay_alu instid0(SALU_CYCLE_1)
	s_xor_b32 s10, exec_lo, s25
; %bb.129:                              ;   in Loop: Header=BB6_128 Depth=2
	v_bfe_u32 v42, v43, 16, 1
	s_delay_alu instid0(VALU_DEP_1)
	v_add3_u32 v42, v43, v42, 0x7fff
                                        ; implicit-def: $vgpr43
; %bb.130:                              ;   in Loop: Header=BB6_128 Depth=2
	s_and_not1_saveexec_b32 s25, s10
; %bb.131:                              ;   in Loop: Header=BB6_128 Depth=2
	v_and_b32_e32 v42, 0xffff, v43
	v_or_b32_e32 v44, 0x10000, v43
	s_delay_alu instid0(VALU_DEP_2) | instskip(NEXT) | instid1(VALU_DEP_1)
	v_cmp_eq_u32_e64 s10, 0, v42
	v_cndmask_b32_e64 v42, v44, v43, s10
; %bb.132:                              ;   in Loop: Header=BB6_128 Depth=2
	s_or_b32 exec_lo, exec_lo, s25
	v_and_b32_e32 v22, 0xffff0000, v22
	v_and_b32_e32 v18, 0xffff0000, v18
	s_delay_alu instid0(VALU_DEP_2) | instskip(NEXT) | instid1(VALU_DEP_2)
	v_max_num_f32_e32 v22, v22, v22
	v_max_num_f32_e32 v18, v18, v18
	s_delay_alu instid0(VALU_DEP_1) | instskip(NEXT) | instid1(VALU_DEP_1)
	v_dual_min_num_f32 v43, v18, v22 :: v_dual_max_num_f32 v18, v18, v22
	v_cndmask_b32_e32 v22, v18, v43, vcc_lo
	s_delay_alu instid0(VALU_DEP_1) | instskip(NEXT) | instid1(VALU_DEP_1)
	v_and_b32_e32 v18, 0x7f800000, v22
	v_cmp_ne_u32_e64 s10, 0x7f800000, v18
                                        ; implicit-def: $vgpr18
	s_and_saveexec_b32 s25, s10
	s_delay_alu instid0(SALU_CYCLE_1)
	s_xor_b32 s10, exec_lo, s25
; %bb.133:                              ;   in Loop: Header=BB6_128 Depth=2
	v_bfe_u32 v18, v22, 16, 1
	s_delay_alu instid0(VALU_DEP_1)
	v_add3_u32 v18, v22, v18, 0x7fff
                                        ; implicit-def: $vgpr22
; %bb.134:                              ;   in Loop: Header=BB6_128 Depth=2
	s_and_not1_saveexec_b32 s25, s10
; %bb.135:                              ;   in Loop: Header=BB6_128 Depth=2
	v_and_b32_e32 v18, 0xffff, v22
	v_or_b32_e32 v43, 0x10000, v22
	s_delay_alu instid0(VALU_DEP_2) | instskip(NEXT) | instid1(VALU_DEP_1)
	v_cmp_eq_u32_e64 s10, 0, v18
	v_cndmask_b32_e64 v18, v43, v22, s10
; %bb.136:                              ;   in Loop: Header=BB6_128 Depth=2
	s_or_b32 exec_lo, exec_lo, s25
	v_lshlrev_b32_e32 v22, 16, v23
	s_delay_alu instid0(VALU_DEP_1) | instskip(NEXT) | instid1(VALU_DEP_1)
	v_dual_max_num_f32 v22, v22, v22 :: v_dual_lshlrev_b32 v43, 16, v19
	v_max_num_f32_e32 v43, v43, v43
	s_delay_alu instid0(VALU_DEP_1) | instskip(NEXT) | instid1(VALU_DEP_1)
	v_dual_min_num_f32 v44, v43, v22 :: v_dual_max_num_f32 v22, v43, v22
	v_cndmask_b32_e32 v43, v22, v44, vcc_lo
	s_delay_alu instid0(VALU_DEP_1) | instskip(NEXT) | instid1(VALU_DEP_1)
	v_and_b32_e32 v22, 0x7f800000, v43
	v_cmp_ne_u32_e64 s10, 0x7f800000, v22
                                        ; implicit-def: $vgpr22
	s_and_saveexec_b32 s25, s10
	s_delay_alu instid0(SALU_CYCLE_1)
	s_xor_b32 s10, exec_lo, s25
; %bb.137:                              ;   in Loop: Header=BB6_128 Depth=2
	v_bfe_u32 v22, v43, 16, 1
	s_delay_alu instid0(VALU_DEP_1)
	v_add3_u32 v22, v43, v22, 0x7fff
                                        ; implicit-def: $vgpr43
; %bb.138:                              ;   in Loop: Header=BB6_128 Depth=2
	s_and_not1_saveexec_b32 s25, s10
; %bb.139:                              ;   in Loop: Header=BB6_128 Depth=2
	v_and_b32_e32 v22, 0xffff, v43
	v_or_b32_e32 v44, 0x10000, v43
	s_delay_alu instid0(VALU_DEP_2) | instskip(NEXT) | instid1(VALU_DEP_1)
	v_cmp_eq_u32_e64 s10, 0, v22
	v_cndmask_b32_e64 v22, v44, v43, s10
; %bb.140:                              ;   in Loop: Header=BB6_128 Depth=2
	s_or_b32 exec_lo, exec_lo, s25
	v_and_b32_e32 v23, 0xffff0000, v23
	v_and_b32_e32 v19, 0xffff0000, v19
	s_delay_alu instid0(VALU_DEP_2) | instskip(NEXT) | instid1(VALU_DEP_2)
	v_max_num_f32_e32 v23, v23, v23
	v_max_num_f32_e32 v19, v19, v19
	s_delay_alu instid0(VALU_DEP_1) | instskip(NEXT) | instid1(VALU_DEP_1)
	v_dual_min_num_f32 v43, v19, v23 :: v_dual_max_num_f32 v19, v19, v23
	v_cndmask_b32_e32 v23, v19, v43, vcc_lo
	s_delay_alu instid0(VALU_DEP_1) | instskip(NEXT) | instid1(VALU_DEP_1)
	v_and_b32_e32 v19, 0x7f800000, v23
	v_cmp_ne_u32_e64 s10, 0x7f800000, v19
                                        ; implicit-def: $vgpr19
	s_and_saveexec_b32 s25, s10
	s_delay_alu instid0(SALU_CYCLE_1)
	s_xor_b32 s10, exec_lo, s25
; %bb.141:                              ;   in Loop: Header=BB6_128 Depth=2
	v_bfe_u32 v19, v23, 16, 1
	s_delay_alu instid0(VALU_DEP_1)
	v_add3_u32 v19, v23, v19, 0x7fff
                                        ; implicit-def: $vgpr23
; %bb.142:                              ;   in Loop: Header=BB6_128 Depth=2
	s_and_not1_saveexec_b32 s25, s10
; %bb.143:                              ;   in Loop: Header=BB6_128 Depth=2
	v_and_b32_e32 v19, 0xffff, v23
	v_or_b32_e32 v43, 0x10000, v23
	s_delay_alu instid0(VALU_DEP_2) | instskip(NEXT) | instid1(VALU_DEP_1)
	v_cmp_eq_u32_e64 s10, 0, v19
	v_cndmask_b32_e64 v19, v43, v23, s10
; %bb.144:                              ;   in Loop: Header=BB6_128 Depth=2
	s_or_b32 exec_lo, exec_lo, s25
	v_lshlrev_b32_e32 v43, 16, v20
	s_delay_alu instid0(VALU_DEP_1) | instskip(NEXT) | instid1(VALU_DEP_1)
	v_dual_lshlrev_b32 v23, 16, v24 :: v_dual_max_num_f32 v43, v43, v43
	v_max_num_f32_e32 v23, v23, v23
	s_delay_alu instid0(VALU_DEP_1) | instskip(NEXT) | instid1(VALU_DEP_1)
	v_dual_min_num_f32 v44, v43, v23 :: v_dual_max_num_f32 v23, v43, v23
	v_cndmask_b32_e32 v43, v23, v44, vcc_lo
	s_delay_alu instid0(VALU_DEP_1) | instskip(NEXT) | instid1(VALU_DEP_1)
	v_and_b32_e32 v23, 0x7f800000, v43
	v_cmp_ne_u32_e64 s10, 0x7f800000, v23
                                        ; implicit-def: $vgpr23
	s_and_saveexec_b32 s25, s10
	s_delay_alu instid0(SALU_CYCLE_1)
	s_xor_b32 s10, exec_lo, s25
; %bb.145:                              ;   in Loop: Header=BB6_128 Depth=2
	v_bfe_u32 v23, v43, 16, 1
	s_delay_alu instid0(VALU_DEP_1)
	v_add3_u32 v23, v43, v23, 0x7fff
                                        ; implicit-def: $vgpr43
; %bb.146:                              ;   in Loop: Header=BB6_128 Depth=2
	s_and_not1_saveexec_b32 s25, s10
; %bb.147:                              ;   in Loop: Header=BB6_128 Depth=2
	v_and_b32_e32 v23, 0xffff, v43
	v_or_b32_e32 v44, 0x10000, v43
	s_delay_alu instid0(VALU_DEP_2) | instskip(NEXT) | instid1(VALU_DEP_1)
	v_cmp_eq_u32_e64 s10, 0, v23
	v_cndmask_b32_e64 v23, v44, v43, s10
; %bb.148:                              ;   in Loop: Header=BB6_128 Depth=2
	s_or_b32 exec_lo, exec_lo, s25
	v_and_b32_e32 v24, 0xffff0000, v24
	v_and_b32_e32 v20, 0xffff0000, v20
	s_delay_alu instid0(VALU_DEP_2) | instskip(NEXT) | instid1(VALU_DEP_2)
	v_max_num_f32_e32 v24, v24, v24
	v_max_num_f32_e32 v20, v20, v20
	s_delay_alu instid0(VALU_DEP_1) | instskip(NEXT) | instid1(VALU_DEP_1)
	v_dual_min_num_f32 v43, v20, v24 :: v_dual_max_num_f32 v20, v20, v24
	v_cndmask_b32_e32 v24, v20, v43, vcc_lo
	s_delay_alu instid0(VALU_DEP_1) | instskip(NEXT) | instid1(VALU_DEP_1)
	v_and_b32_e32 v20, 0x7f800000, v24
	v_cmp_ne_u32_e64 s10, 0x7f800000, v20
                                        ; implicit-def: $vgpr20
	s_and_saveexec_b32 s25, s10
	s_delay_alu instid0(SALU_CYCLE_1)
	s_xor_b32 s10, exec_lo, s25
; %bb.149:                              ;   in Loop: Header=BB6_128 Depth=2
	v_bfe_u32 v20, v24, 16, 1
	s_delay_alu instid0(VALU_DEP_1)
	v_add3_u32 v20, v24, v20, 0x7fff
                                        ; implicit-def: $vgpr24
; %bb.150:                              ;   in Loop: Header=BB6_128 Depth=2
	s_and_not1_saveexec_b32 s25, s10
; %bb.151:                              ;   in Loop: Header=BB6_128 Depth=2
	v_and_b32_e32 v20, 0xffff, v24
	v_or_b32_e32 v43, 0x10000, v24
	s_delay_alu instid0(VALU_DEP_2) | instskip(NEXT) | instid1(VALU_DEP_1)
	v_cmp_eq_u32_e64 s10, 0, v20
	v_cndmask_b32_e64 v20, v43, v24, s10
; %bb.152:                              ;   in Loop: Header=BB6_128 Depth=2
	s_or_b32 exec_lo, exec_lo, s25
	v_lshlrev_b32_e32 v43, 16, v21
	s_delay_alu instid0(VALU_DEP_1) | instskip(NEXT) | instid1(VALU_DEP_1)
	v_dual_max_num_f32 v43, v43, v43 :: v_dual_lshlrev_b32 v24, 16, v25
	v_max_num_f32_e32 v24, v24, v24
	s_delay_alu instid0(VALU_DEP_1) | instskip(NEXT) | instid1(VALU_DEP_1)
	v_dual_min_num_f32 v44, v43, v24 :: v_dual_max_num_f32 v24, v43, v24
	v_cndmask_b32_e32 v43, v24, v44, vcc_lo
	s_delay_alu instid0(VALU_DEP_1) | instskip(NEXT) | instid1(VALU_DEP_1)
	v_and_b32_e32 v24, 0x7f800000, v43
	v_cmp_ne_u32_e64 s10, 0x7f800000, v24
                                        ; implicit-def: $vgpr24
	s_and_saveexec_b32 s25, s10
	s_delay_alu instid0(SALU_CYCLE_1)
	s_xor_b32 s10, exec_lo, s25
; %bb.153:                              ;   in Loop: Header=BB6_128 Depth=2
	v_bfe_u32 v24, v43, 16, 1
	s_delay_alu instid0(VALU_DEP_1)
	v_add3_u32 v24, v43, v24, 0x7fff
                                        ; implicit-def: $vgpr43
; %bb.154:                              ;   in Loop: Header=BB6_128 Depth=2
	s_and_not1_saveexec_b32 s25, s10
; %bb.155:                              ;   in Loop: Header=BB6_128 Depth=2
	v_and_b32_e32 v24, 0xffff, v43
	v_or_b32_e32 v44, 0x10000, v43
	s_delay_alu instid0(VALU_DEP_2) | instskip(NEXT) | instid1(VALU_DEP_1)
	v_cmp_eq_u32_e64 s10, 0, v24
	v_cndmask_b32_e64 v24, v44, v43, s10
; %bb.156:                              ;   in Loop: Header=BB6_128 Depth=2
	s_or_b32 exec_lo, exec_lo, s25
	v_and_b32_e32 v25, 0xffff0000, v25
	v_and_b32_e32 v21, 0xffff0000, v21
	s_delay_alu instid0(VALU_DEP_2) | instskip(NEXT) | instid1(VALU_DEP_2)
	v_max_num_f32_e32 v25, v25, v25
	v_max_num_f32_e32 v21, v21, v21
	s_delay_alu instid0(VALU_DEP_1) | instskip(NEXT) | instid1(VALU_DEP_1)
	v_dual_min_num_f32 v43, v21, v25 :: v_dual_max_num_f32 v21, v21, v25
	v_cndmask_b32_e32 v25, v21, v43, vcc_lo
	s_delay_alu instid0(VALU_DEP_1) | instskip(NEXT) | instid1(VALU_DEP_1)
	v_and_b32_e32 v21, 0x7f800000, v25
	v_cmp_ne_u32_e64 s10, 0x7f800000, v21
                                        ; implicit-def: $vgpr21
	s_and_saveexec_b32 s25, s10
	s_delay_alu instid0(SALU_CYCLE_1)
	s_xor_b32 s10, exec_lo, s25
; %bb.157:                              ;   in Loop: Header=BB6_128 Depth=2
	v_bfe_u32 v21, v25, 16, 1
	s_delay_alu instid0(VALU_DEP_1)
	v_add3_u32 v21, v25, v21, 0x7fff
                                        ; implicit-def: $vgpr25
; %bb.158:                              ;   in Loop: Header=BB6_128 Depth=2
	s_and_not1_saveexec_b32 s25, s10
; %bb.159:                              ;   in Loop: Header=BB6_128 Depth=2
	v_and_b32_e32 v21, 0xffff, v25
	v_or_b32_e32 v43, 0x10000, v25
	s_delay_alu instid0(VALU_DEP_2) | instskip(NEXT) | instid1(VALU_DEP_1)
	v_cmp_eq_u32_e64 s10, 0, v21
	v_cndmask_b32_e64 v21, v43, v25, s10
; %bb.160:                              ;   in Loop: Header=BB6_128 Depth=2
	s_or_b32 exec_lo, exec_lo, s25
	s_wait_loadcnt 0x1
	v_lshlrev_b32_e32 v43, 16, v10
	s_wait_loadcnt 0x0
	s_delay_alu instid0(VALU_DEP_1) | instskip(NEXT) | instid1(VALU_DEP_1)
	v_dual_lshlrev_b32 v25, 16, v14 :: v_dual_max_num_f32 v43, v43, v43
	v_max_num_f32_e32 v25, v25, v25
	s_delay_alu instid0(VALU_DEP_1) | instskip(NEXT) | instid1(VALU_DEP_1)
	v_dual_min_num_f32 v44, v43, v25 :: v_dual_max_num_f32 v25, v43, v25
	v_cndmask_b32_e32 v43, v25, v44, vcc_lo
	s_delay_alu instid0(VALU_DEP_1) | instskip(NEXT) | instid1(VALU_DEP_1)
	v_and_b32_e32 v25, 0x7f800000, v43
	v_cmp_ne_u32_e64 s10, 0x7f800000, v25
                                        ; implicit-def: $vgpr25
	s_and_saveexec_b32 s25, s10
	s_delay_alu instid0(SALU_CYCLE_1)
	s_xor_b32 s10, exec_lo, s25
; %bb.161:                              ;   in Loop: Header=BB6_128 Depth=2
	v_bfe_u32 v25, v43, 16, 1
	s_delay_alu instid0(VALU_DEP_1)
	v_add3_u32 v25, v43, v25, 0x7fff
                                        ; implicit-def: $vgpr43
; %bb.162:                              ;   in Loop: Header=BB6_128 Depth=2
	s_and_not1_saveexec_b32 s25, s10
; %bb.163:                              ;   in Loop: Header=BB6_128 Depth=2
	v_and_b32_e32 v25, 0xffff, v43
	v_or_b32_e32 v44, 0x10000, v43
	s_delay_alu instid0(VALU_DEP_2) | instskip(NEXT) | instid1(VALU_DEP_1)
	v_cmp_eq_u32_e64 s10, 0, v25
	v_cndmask_b32_e64 v25, v44, v43, s10
; %bb.164:                              ;   in Loop: Header=BB6_128 Depth=2
	s_or_b32 exec_lo, exec_lo, s25
	v_and_b32_e32 v14, 0xffff0000, v14
	v_and_b32_e32 v10, 0xffff0000, v10
	s_delay_alu instid0(VALU_DEP_2) | instskip(NEXT) | instid1(VALU_DEP_2)
	v_max_num_f32_e32 v14, v14, v14
	v_max_num_f32_e32 v10, v10, v10
	s_delay_alu instid0(VALU_DEP_1) | instskip(NEXT) | instid1(VALU_DEP_1)
	v_dual_min_num_f32 v43, v10, v14 :: v_dual_max_num_f32 v10, v10, v14
	v_cndmask_b32_e32 v14, v10, v43, vcc_lo
	s_delay_alu instid0(VALU_DEP_1) | instskip(NEXT) | instid1(VALU_DEP_1)
	v_and_b32_e32 v10, 0x7f800000, v14
	v_cmp_ne_u32_e64 s10, 0x7f800000, v10
                                        ; implicit-def: $vgpr10
	s_and_saveexec_b32 s25, s10
	s_delay_alu instid0(SALU_CYCLE_1)
	s_xor_b32 s10, exec_lo, s25
; %bb.165:                              ;   in Loop: Header=BB6_128 Depth=2
	v_bfe_u32 v10, v14, 16, 1
	s_delay_alu instid0(VALU_DEP_1)
	v_add3_u32 v10, v14, v10, 0x7fff
                                        ; implicit-def: $vgpr14
; %bb.166:                              ;   in Loop: Header=BB6_128 Depth=2
	s_and_not1_saveexec_b32 s25, s10
; %bb.167:                              ;   in Loop: Header=BB6_128 Depth=2
	v_and_b32_e32 v10, 0xffff, v14
	v_or_b32_e32 v43, 0x10000, v14
	s_delay_alu instid0(VALU_DEP_2) | instskip(NEXT) | instid1(VALU_DEP_1)
	v_cmp_eq_u32_e64 s10, 0, v10
	v_cndmask_b32_e64 v10, v43, v14, s10
; %bb.168:                              ;   in Loop: Header=BB6_128 Depth=2
	s_or_b32 exec_lo, exec_lo, s25
	v_lshlrev_b32_e32 v14, 16, v15
	s_delay_alu instid0(VALU_DEP_1) | instskip(NEXT) | instid1(VALU_DEP_1)
	v_dual_max_num_f32 v14, v14, v14 :: v_dual_lshlrev_b32 v43, 16, v11
	v_max_num_f32_e32 v43, v43, v43
	s_delay_alu instid0(VALU_DEP_1) | instskip(NEXT) | instid1(VALU_DEP_1)
	v_dual_min_num_f32 v44, v43, v14 :: v_dual_max_num_f32 v14, v43, v14
	v_cndmask_b32_e32 v43, v14, v44, vcc_lo
	s_delay_alu instid0(VALU_DEP_1) | instskip(NEXT) | instid1(VALU_DEP_1)
	v_and_b32_e32 v14, 0x7f800000, v43
	v_cmp_ne_u32_e64 s10, 0x7f800000, v14
                                        ; implicit-def: $vgpr14
	s_and_saveexec_b32 s25, s10
	s_delay_alu instid0(SALU_CYCLE_1)
	s_xor_b32 s10, exec_lo, s25
; %bb.169:                              ;   in Loop: Header=BB6_128 Depth=2
	v_bfe_u32 v14, v43, 16, 1
	s_delay_alu instid0(VALU_DEP_1)
	v_add3_u32 v14, v43, v14, 0x7fff
                                        ; implicit-def: $vgpr43
; %bb.170:                              ;   in Loop: Header=BB6_128 Depth=2
	s_and_not1_saveexec_b32 s25, s10
; %bb.171:                              ;   in Loop: Header=BB6_128 Depth=2
	v_and_b32_e32 v14, 0xffff, v43
	v_or_b32_e32 v44, 0x10000, v43
	s_delay_alu instid0(VALU_DEP_2) | instskip(NEXT) | instid1(VALU_DEP_1)
	v_cmp_eq_u32_e64 s10, 0, v14
	v_cndmask_b32_e64 v14, v44, v43, s10
; %bb.172:                              ;   in Loop: Header=BB6_128 Depth=2
	s_or_b32 exec_lo, exec_lo, s25
	v_and_b32_e32 v15, 0xffff0000, v15
	v_and_b32_e32 v11, 0xffff0000, v11
	s_delay_alu instid0(VALU_DEP_2) | instskip(NEXT) | instid1(VALU_DEP_2)
	v_max_num_f32_e32 v15, v15, v15
	v_max_num_f32_e32 v11, v11, v11
	s_delay_alu instid0(VALU_DEP_1) | instskip(NEXT) | instid1(VALU_DEP_1)
	v_dual_min_num_f32 v43, v11, v15 :: v_dual_max_num_f32 v11, v11, v15
	v_cndmask_b32_e32 v15, v11, v43, vcc_lo
	s_delay_alu instid0(VALU_DEP_1) | instskip(NEXT) | instid1(VALU_DEP_1)
	v_and_b32_e32 v11, 0x7f800000, v15
	v_cmp_ne_u32_e64 s10, 0x7f800000, v11
                                        ; implicit-def: $vgpr11
	s_and_saveexec_b32 s25, s10
	s_delay_alu instid0(SALU_CYCLE_1)
	s_xor_b32 s10, exec_lo, s25
; %bb.173:                              ;   in Loop: Header=BB6_128 Depth=2
	v_bfe_u32 v11, v15, 16, 1
	s_delay_alu instid0(VALU_DEP_1)
	v_add3_u32 v11, v15, v11, 0x7fff
                                        ; implicit-def: $vgpr15
; %bb.174:                              ;   in Loop: Header=BB6_128 Depth=2
	s_and_not1_saveexec_b32 s25, s10
; %bb.175:                              ;   in Loop: Header=BB6_128 Depth=2
	v_and_b32_e32 v11, 0xffff, v15
	v_or_b32_e32 v43, 0x10000, v15
	s_delay_alu instid0(VALU_DEP_2) | instskip(NEXT) | instid1(VALU_DEP_1)
	v_cmp_eq_u32_e64 s10, 0, v11
	v_cndmask_b32_e64 v11, v43, v15, s10
; %bb.176:                              ;   in Loop: Header=BB6_128 Depth=2
	s_or_b32 exec_lo, exec_lo, s25
	v_lshlrev_b32_e32 v43, 16, v12
	s_delay_alu instid0(VALU_DEP_1) | instskip(NEXT) | instid1(VALU_DEP_1)
	v_dual_lshlrev_b32 v15, 16, v16 :: v_dual_max_num_f32 v43, v43, v43
	v_max_num_f32_e32 v15, v15, v15
	s_delay_alu instid0(VALU_DEP_1) | instskip(NEXT) | instid1(VALU_DEP_1)
	v_dual_min_num_f32 v44, v43, v15 :: v_dual_max_num_f32 v15, v43, v15
	v_cndmask_b32_e32 v43, v15, v44, vcc_lo
	s_delay_alu instid0(VALU_DEP_1) | instskip(NEXT) | instid1(VALU_DEP_1)
	v_and_b32_e32 v15, 0x7f800000, v43
	v_cmp_ne_u32_e64 s10, 0x7f800000, v15
                                        ; implicit-def: $vgpr15
	s_and_saveexec_b32 s25, s10
	s_delay_alu instid0(SALU_CYCLE_1)
	s_xor_b32 s10, exec_lo, s25
; %bb.177:                              ;   in Loop: Header=BB6_128 Depth=2
	v_bfe_u32 v15, v43, 16, 1
	s_delay_alu instid0(VALU_DEP_1)
	v_add3_u32 v15, v43, v15, 0x7fff
                                        ; implicit-def: $vgpr43
; %bb.178:                              ;   in Loop: Header=BB6_128 Depth=2
	s_and_not1_saveexec_b32 s25, s10
; %bb.179:                              ;   in Loop: Header=BB6_128 Depth=2
	v_and_b32_e32 v15, 0xffff, v43
	v_or_b32_e32 v44, 0x10000, v43
	s_delay_alu instid0(VALU_DEP_2) | instskip(NEXT) | instid1(VALU_DEP_1)
	v_cmp_eq_u32_e64 s10, 0, v15
	v_cndmask_b32_e64 v15, v44, v43, s10
; %bb.180:                              ;   in Loop: Header=BB6_128 Depth=2
	s_or_b32 exec_lo, exec_lo, s25
	v_and_b32_e32 v16, 0xffff0000, v16
	v_and_b32_e32 v12, 0xffff0000, v12
	s_delay_alu instid0(VALU_DEP_2) | instskip(NEXT) | instid1(VALU_DEP_2)
	v_max_num_f32_e32 v16, v16, v16
	v_max_num_f32_e32 v12, v12, v12
	s_delay_alu instid0(VALU_DEP_1) | instskip(NEXT) | instid1(VALU_DEP_1)
	v_dual_min_num_f32 v43, v12, v16 :: v_dual_max_num_f32 v12, v12, v16
	v_cndmask_b32_e32 v16, v12, v43, vcc_lo
	s_delay_alu instid0(VALU_DEP_1) | instskip(NEXT) | instid1(VALU_DEP_1)
	v_and_b32_e32 v12, 0x7f800000, v16
	v_cmp_ne_u32_e64 s10, 0x7f800000, v12
                                        ; implicit-def: $vgpr12
	s_and_saveexec_b32 s25, s10
	s_delay_alu instid0(SALU_CYCLE_1)
	s_xor_b32 s10, exec_lo, s25
; %bb.181:                              ;   in Loop: Header=BB6_128 Depth=2
	v_bfe_u32 v12, v16, 16, 1
	s_delay_alu instid0(VALU_DEP_1)
	v_add3_u32 v12, v16, v12, 0x7fff
                                        ; implicit-def: $vgpr16
; %bb.182:                              ;   in Loop: Header=BB6_128 Depth=2
	s_and_not1_saveexec_b32 s25, s10
; %bb.183:                              ;   in Loop: Header=BB6_128 Depth=2
	v_and_b32_e32 v12, 0xffff, v16
	v_or_b32_e32 v43, 0x10000, v16
	s_delay_alu instid0(VALU_DEP_2) | instskip(NEXT) | instid1(VALU_DEP_1)
	v_cmp_eq_u32_e64 s10, 0, v12
	v_cndmask_b32_e64 v12, v43, v16, s10
; %bb.184:                              ;   in Loop: Header=BB6_128 Depth=2
	s_or_b32 exec_lo, exec_lo, s25
	v_lshlrev_b32_e32 v43, 16, v13
	s_delay_alu instid0(VALU_DEP_1) | instskip(NEXT) | instid1(VALU_DEP_1)
	v_dual_max_num_f32 v43, v43, v43 :: v_dual_lshlrev_b32 v16, 16, v17
	v_max_num_f32_e32 v16, v16, v16
	s_delay_alu instid0(VALU_DEP_1) | instskip(NEXT) | instid1(VALU_DEP_1)
	v_dual_min_num_f32 v44, v43, v16 :: v_dual_max_num_f32 v16, v43, v16
	v_cndmask_b32_e32 v43, v16, v44, vcc_lo
	s_delay_alu instid0(VALU_DEP_1) | instskip(NEXT) | instid1(VALU_DEP_1)
	v_and_b32_e32 v16, 0x7f800000, v43
	v_cmp_ne_u32_e64 s10, 0x7f800000, v16
                                        ; implicit-def: $vgpr16
	s_and_saveexec_b32 s25, s10
	s_delay_alu instid0(SALU_CYCLE_1)
	s_xor_b32 s10, exec_lo, s25
; %bb.185:                              ;   in Loop: Header=BB6_128 Depth=2
	v_bfe_u32 v16, v43, 16, 1
	s_delay_alu instid0(VALU_DEP_1)
	v_add3_u32 v16, v43, v16, 0x7fff
                                        ; implicit-def: $vgpr43
; %bb.186:                              ;   in Loop: Header=BB6_128 Depth=2
	s_and_not1_saveexec_b32 s25, s10
; %bb.187:                              ;   in Loop: Header=BB6_128 Depth=2
	v_and_b32_e32 v16, 0xffff, v43
	v_or_b32_e32 v44, 0x10000, v43
	s_delay_alu instid0(VALU_DEP_2) | instskip(NEXT) | instid1(VALU_DEP_1)
	v_cmp_eq_u32_e64 s10, 0, v16
	v_cndmask_b32_e64 v16, v44, v43, s10
; %bb.188:                              ;   in Loop: Header=BB6_128 Depth=2
	s_or_b32 exec_lo, exec_lo, s25
	v_and_b32_e32 v17, 0xffff0000, v17
	v_and_b32_e32 v13, 0xffff0000, v13
	s_delay_alu instid0(VALU_DEP_2) | instskip(NEXT) | instid1(VALU_DEP_2)
	v_max_num_f32_e32 v17, v17, v17
	v_max_num_f32_e32 v13, v13, v13
	s_delay_alu instid0(VALU_DEP_1) | instskip(NEXT) | instid1(VALU_DEP_1)
	v_dual_min_num_f32 v43, v13, v17 :: v_dual_max_num_f32 v13, v13, v17
	v_cndmask_b32_e32 v17, v13, v43, vcc_lo
	s_delay_alu instid0(VALU_DEP_1) | instskip(NEXT) | instid1(VALU_DEP_1)
	v_and_b32_e32 v13, 0x7f800000, v17
	v_cmp_ne_u32_e64 s10, 0x7f800000, v13
                                        ; implicit-def: $vgpr13
	s_and_saveexec_b32 s25, s10
	s_delay_alu instid0(SALU_CYCLE_1)
	s_xor_b32 s10, exec_lo, s25
; %bb.189:                              ;   in Loop: Header=BB6_128 Depth=2
	v_bfe_u32 v13, v17, 16, 1
	s_delay_alu instid0(VALU_DEP_1)
	v_add3_u32 v13, v17, v13, 0x7fff
                                        ; implicit-def: $vgpr17
; %bb.190:                              ;   in Loop: Header=BB6_128 Depth=2
	s_and_not1_saveexec_b32 s25, s10
	s_cbranch_execz .LBB6_127
; %bb.191:                              ;   in Loop: Header=BB6_128 Depth=2
	v_and_b32_e32 v13, 0xffff, v17
	v_or_b32_e32 v43, 0x10000, v17
	s_delay_alu instid0(VALU_DEP_2) | instskip(NEXT) | instid1(VALU_DEP_1)
	v_cmp_eq_u32_e64 s10, 0, v13
	v_cndmask_b32_e64 v13, v43, v17, s10
	s_branch .LBB6_127
.LBB6_192:                              ;   in Loop: Header=BB6_49 Depth=1
	s_or_b32 exec_lo, exec_lo, s24
.LBB6_193:                              ;   in Loop: Header=BB6_49 Depth=1
	s_delay_alu instid0(SALU_CYCLE_1) | instskip(SKIP_3) | instid1(VALU_DEP_1)
	s_or_b32 exec_lo, exec_lo, s11
	v_dual_lshlrev_b32 v24, 10, v41 :: v_dual_mov_b32 v16, 0
	s_mov_b32 s10, 0
	s_mov_b32 s24, exec_lo
                                        ; implicit-def: $vgpr17
	v_cmpx_ne_u32_e64 v119, v24
	s_cbranch_execz .LBB6_231
; %bb.194:                              ;   in Loop: Header=BB6_49 Depth=1
	v_lshlrev_b32_e32 v10, 5, v40
	s_mov_b32 s25, exec_lo
	s_delay_alu instid0(VALU_DEP_1) | instskip(NEXT) | instid1(VALU_DEP_1)
	v_dual_sub_nc_u32 v12, v119, v24 :: v_dual_sub_nc_u32 v10, v116, v10
	v_dual_ashrrev_i32 v13, 31, v12 :: v_dual_ashrrev_i32 v11, 31, v10
	s_delay_alu instid0(VALU_DEP_1) | instskip(NEXT) | instid1(VALU_DEP_1)
	v_dual_lshrrev_b32 v13, 23, v13 :: v_dual_lshrrev_b32 v11, 27, v11
	v_add_nc_u32_e32 v11, v10, v11
	s_delay_alu instid0(VALU_DEP_1) | instskip(NEXT) | instid1(VALU_DEP_1)
	v_and_b32_e32 v14, 0xffffffe0, v11
	v_dual_add_nc_u32 v13, v12, v13 :: v_dual_sub_nc_u32 v25, v10, v14
	s_delay_alu instid0(VALU_DEP_1) | instskip(SKIP_1) | instid1(VALU_DEP_2)
	v_and_b32_e32 v100, 0xfffffe00, v13
	v_dual_ashrrev_i32 v11, 5, v11 :: v_dual_ashrrev_i32 v13, 9, v13
	v_dual_lshlrev_b32 v10, 4, v25 :: v_dual_sub_nc_u32 v101, v12, v100
	s_delay_alu instid0(VALU_DEP_1) | instskip(NEXT) | instid1(VALU_DEP_2)
	v_lshl_add_u32 v10, v11, 9, v10
	v_cmp_lt_i32_e32 vcc_lo, 15, v101
	s_delay_alu instid0(VALU_DEP_4) | instskip(NEXT) | instid1(VALU_DEP_1)
	v_add_co_ci_u32_e64 v13, null, 0, v13, vcc_lo
	v_dual_sub_nc_u32 v103, v12, v10 :: v_dual_sub_nc_u32 v102, v13, v11
	s_delay_alu instid0(VALU_DEP_1)
	v_cmpx_lt_i32_e32 15, v103
	s_cbranch_execz .LBB6_230
; %bb.195:                              ;   in Loop: Header=BB6_49 Depth=1
	s_trap 2
	ds_load_b64 v[12:13], v0
	v_add_nc_u32_e32 v10, v10, v24
	s_bitcmp0_b64 s[12:13], 0
	s_mov_b32 s26, 0
	s_cselect_b32 s10, -1, 0
	s_delay_alu instid0(VALU_DEP_1) | instskip(NEXT) | instid1(VALU_DEP_1)
	v_ashrrev_i32_e32 v11, 31, v10
	v_add_nc_u64_e32 v[18:19], v[10:11], v[96:97]
	v_add_nc_u64_e32 v[22:23], v[10:11], v[98:99]
	s_wait_dscnt 0x0
	v_add_nc_u64_e32 v[20:21], v[12:13], v[10:11]
	s_branch .LBB6_197
.LBB6_196:                              ;   in Loop: Header=BB6_197 Depth=2
	s_or_b32 exec_lo, exec_lo, s27
	v_dual_lshrrev_b32 v14, 16, v14 :: v_dual_lshrrev_b32 v17, 16, v112
	v_dual_lshrrev_b32 v15, 16, v15 :: v_dual_lshrrev_b32 v16, 16, v16
	v_dual_sub_nc_u32 v103, v103, v70 :: v_dual_sub_nc_u32 v102, v102, v64
	s_delay_alu instid0(VALU_DEP_3) | instskip(NEXT) | instid1(VALU_DEP_4)
	v_and_or_b32 v11, 0xffff0000, v11, v14
	v_and_or_b32 v10, 0xffff0000, v10, v17
	s_delay_alu instid0(VALU_DEP_4)
	v_and_or_b32 v12, 0xffff0000, v12, v15
	v_and_or_b32 v13, 0xffff0000, v13, v16
	v_add_nc_u64_e32 v[18:19], v[18:19], v[70:71]
	v_add_nc_u64_e32 v[20:21], v[20:21], v[70:71]
	v_cmp_gt_i32_e64 s11, 16, v103
	global_store_b128 v[22:23], v[10:13], off th:TH_STORE_NT
	s_wait_xcnt 0x0
	v_add_nc_u64_e32 v[22:23], v[22:23], v[70:71]
	s_or_b32 s26, s11, s26
	s_delay_alu instid0(SALU_CYCLE_1)
	s_and_not1_b32 exec_lo, exec_lo, s26
	s_cbranch_execz .LBB6_229
.LBB6_197:                              ;   Parent Loop BB6_49 Depth=1
                                        ; =>  This Inner Loop Header: Depth=2
	global_load_b128 v[14:17], v[20:21], off th:TH_LOAD_NT
	global_load_b128 v[10:13], v[18:19], off th:TH_LOAD_NT
	s_wait_loadcnt 0x0
	v_lshlrev_b32_e32 v113, 16, v10
	s_delay_alu instid0(VALU_DEP_1) | instskip(NEXT) | instid1(VALU_DEP_1)
	v_dual_max_num_f32 v113, v113, v113 :: v_dual_lshlrev_b32 v112, 16, v14
	v_max_num_f32_e32 v112, v112, v112
	s_delay_alu instid0(VALU_DEP_1) | instskip(NEXT) | instid1(VALU_DEP_1)
	v_dual_min_num_f32 v40, v113, v112 :: v_dual_max_num_f32 v112, v113, v112
	v_cndmask_b32_e64 v113, v112, v40, s10
	s_delay_alu instid0(VALU_DEP_1) | instskip(NEXT) | instid1(VALU_DEP_1)
	v_and_b32_e32 v112, 0x7f800000, v113
	v_cmp_ne_u32_e64 s11, 0x7f800000, v112
                                        ; implicit-def: $vgpr112
	s_wait_xcnt 0x0
	s_and_saveexec_b32 s27, s11
	s_delay_alu instid0(SALU_CYCLE_1)
	s_xor_b32 s11, exec_lo, s27
; %bb.198:                              ;   in Loop: Header=BB6_197 Depth=2
	v_bfe_u32 v112, v113, 16, 1
	s_delay_alu instid0(VALU_DEP_1)
	v_add3_u32 v112, v113, v112, 0x7fff
                                        ; implicit-def: $vgpr113
; %bb.199:                              ;   in Loop: Header=BB6_197 Depth=2
	s_and_not1_saveexec_b32 s27, s11
; %bb.200:                              ;   in Loop: Header=BB6_197 Depth=2
	v_and_b32_e32 v112, 0xffff, v113
	v_or_b32_e32 v40, 0x10000, v113
	s_delay_alu instid0(VALU_DEP_2) | instskip(NEXT) | instid1(VALU_DEP_1)
	v_cmp_eq_u32_e64 s11, 0, v112
	v_cndmask_b32_e64 v112, v40, v113, s11
; %bb.201:                              ;   in Loop: Header=BB6_197 Depth=2
	s_or_b32 exec_lo, exec_lo, s27
	v_and_b32_e32 v14, 0xffff0000, v14
	v_and_b32_e32 v10, 0xffff0000, v10
	s_delay_alu instid0(VALU_DEP_2) | instskip(NEXT) | instid1(VALU_DEP_2)
	v_max_num_f32_e32 v14, v14, v14
	v_max_num_f32_e32 v10, v10, v10
	s_delay_alu instid0(VALU_DEP_1) | instskip(NEXT) | instid1(VALU_DEP_1)
	v_dual_min_num_f32 v113, v10, v14 :: v_dual_max_num_f32 v10, v10, v14
	v_cndmask_b32_e64 v14, v10, v113, s10
	s_delay_alu instid0(VALU_DEP_1) | instskip(NEXT) | instid1(VALU_DEP_1)
	v_and_b32_e32 v10, 0x7f800000, v14
	v_cmp_ne_u32_e64 s11, 0x7f800000, v10
                                        ; implicit-def: $vgpr10
	s_and_saveexec_b32 s27, s11
	s_delay_alu instid0(SALU_CYCLE_1)
	s_xor_b32 s11, exec_lo, s27
; %bb.202:                              ;   in Loop: Header=BB6_197 Depth=2
	v_bfe_u32 v10, v14, 16, 1
	s_delay_alu instid0(VALU_DEP_1)
	v_add3_u32 v10, v14, v10, 0x7fff
                                        ; implicit-def: $vgpr14
; %bb.203:                              ;   in Loop: Header=BB6_197 Depth=2
	s_and_not1_saveexec_b32 s27, s11
; %bb.204:                              ;   in Loop: Header=BB6_197 Depth=2
	v_and_b32_e32 v10, 0xffff, v14
	v_or_b32_e32 v113, 0x10000, v14
	s_delay_alu instid0(VALU_DEP_2) | instskip(NEXT) | instid1(VALU_DEP_1)
	v_cmp_eq_u32_e64 s11, 0, v10
	v_cndmask_b32_e64 v10, v113, v14, s11
; %bb.205:                              ;   in Loop: Header=BB6_197 Depth=2
	s_or_b32 exec_lo, exec_lo, s27
	v_lshlrev_b32_e32 v113, 16, v11
	s_delay_alu instid0(VALU_DEP_1) | instskip(NEXT) | instid1(VALU_DEP_1)
	v_dual_max_num_f32 v113, v113, v113 :: v_dual_lshlrev_b32 v14, 16, v15
	v_max_num_f32_e32 v14, v14, v14
	s_delay_alu instid0(VALU_DEP_1) | instskip(NEXT) | instid1(VALU_DEP_1)
	v_dual_min_num_f32 v40, v113, v14 :: v_dual_max_num_f32 v14, v113, v14
	v_cndmask_b32_e64 v113, v14, v40, s10
	s_delay_alu instid0(VALU_DEP_1) | instskip(NEXT) | instid1(VALU_DEP_1)
	v_and_b32_e32 v14, 0x7f800000, v113
	v_cmp_ne_u32_e64 s11, 0x7f800000, v14
                                        ; implicit-def: $vgpr14
	s_and_saveexec_b32 s27, s11
	s_delay_alu instid0(SALU_CYCLE_1)
	s_xor_b32 s11, exec_lo, s27
; %bb.206:                              ;   in Loop: Header=BB6_197 Depth=2
	v_bfe_u32 v14, v113, 16, 1
	s_delay_alu instid0(VALU_DEP_1)
	v_add3_u32 v14, v113, v14, 0x7fff
                                        ; implicit-def: $vgpr113
; %bb.207:                              ;   in Loop: Header=BB6_197 Depth=2
	s_and_not1_saveexec_b32 s27, s11
; %bb.208:                              ;   in Loop: Header=BB6_197 Depth=2
	v_and_b32_e32 v14, 0xffff, v113
	v_or_b32_e32 v40, 0x10000, v113
	s_delay_alu instid0(VALU_DEP_2) | instskip(NEXT) | instid1(VALU_DEP_1)
	v_cmp_eq_u32_e64 s11, 0, v14
	v_cndmask_b32_e64 v14, v40, v113, s11
; %bb.209:                              ;   in Loop: Header=BB6_197 Depth=2
	s_or_b32 exec_lo, exec_lo, s27
	v_and_b32_e32 v15, 0xffff0000, v15
	v_and_b32_e32 v11, 0xffff0000, v11
	s_delay_alu instid0(VALU_DEP_2) | instskip(NEXT) | instid1(VALU_DEP_2)
	v_max_num_f32_e32 v15, v15, v15
	v_max_num_f32_e32 v11, v11, v11
	s_delay_alu instid0(VALU_DEP_1) | instskip(NEXT) | instid1(VALU_DEP_1)
	v_dual_min_num_f32 v113, v11, v15 :: v_dual_max_num_f32 v11, v11, v15
	v_cndmask_b32_e64 v15, v11, v113, s10
	s_delay_alu instid0(VALU_DEP_1) | instskip(NEXT) | instid1(VALU_DEP_1)
	v_and_b32_e32 v11, 0x7f800000, v15
	v_cmp_ne_u32_e64 s11, 0x7f800000, v11
                                        ; implicit-def: $vgpr11
	s_and_saveexec_b32 s27, s11
	s_delay_alu instid0(SALU_CYCLE_1)
	s_xor_b32 s11, exec_lo, s27
; %bb.210:                              ;   in Loop: Header=BB6_197 Depth=2
	v_bfe_u32 v11, v15, 16, 1
	s_delay_alu instid0(VALU_DEP_1)
	v_add3_u32 v11, v15, v11, 0x7fff
                                        ; implicit-def: $vgpr15
; %bb.211:                              ;   in Loop: Header=BB6_197 Depth=2
	s_and_not1_saveexec_b32 s27, s11
; %bb.212:                              ;   in Loop: Header=BB6_197 Depth=2
	v_and_b32_e32 v11, 0xffff, v15
	v_or_b32_e32 v113, 0x10000, v15
	s_delay_alu instid0(VALU_DEP_2) | instskip(NEXT) | instid1(VALU_DEP_1)
	v_cmp_eq_u32_e64 s11, 0, v11
	v_cndmask_b32_e64 v11, v113, v15, s11
; %bb.213:                              ;   in Loop: Header=BB6_197 Depth=2
	s_or_b32 exec_lo, exec_lo, s27
	v_lshlrev_b32_e32 v113, 16, v12
	s_delay_alu instid0(VALU_DEP_1) | instskip(NEXT) | instid1(VALU_DEP_1)
	v_dual_lshlrev_b32 v15, 16, v16 :: v_dual_max_num_f32 v113, v113, v113
	v_max_num_f32_e32 v15, v15, v15
	s_delay_alu instid0(VALU_DEP_1) | instskip(NEXT) | instid1(VALU_DEP_1)
	v_dual_min_num_f32 v40, v113, v15 :: v_dual_max_num_f32 v15, v113, v15
	v_cndmask_b32_e64 v113, v15, v40, s10
	s_delay_alu instid0(VALU_DEP_1) | instskip(NEXT) | instid1(VALU_DEP_1)
	v_and_b32_e32 v15, 0x7f800000, v113
	v_cmp_ne_u32_e64 s11, 0x7f800000, v15
                                        ; implicit-def: $vgpr15
	s_and_saveexec_b32 s27, s11
	s_delay_alu instid0(SALU_CYCLE_1)
	s_xor_b32 s11, exec_lo, s27
; %bb.214:                              ;   in Loop: Header=BB6_197 Depth=2
	v_bfe_u32 v15, v113, 16, 1
	s_delay_alu instid0(VALU_DEP_1)
	v_add3_u32 v15, v113, v15, 0x7fff
                                        ; implicit-def: $vgpr113
; %bb.215:                              ;   in Loop: Header=BB6_197 Depth=2
	s_and_not1_saveexec_b32 s27, s11
; %bb.216:                              ;   in Loop: Header=BB6_197 Depth=2
	v_and_b32_e32 v15, 0xffff, v113
	v_or_b32_e32 v40, 0x10000, v113
	s_delay_alu instid0(VALU_DEP_2) | instskip(NEXT) | instid1(VALU_DEP_1)
	v_cmp_eq_u32_e64 s11, 0, v15
	v_cndmask_b32_e64 v15, v40, v113, s11
; %bb.217:                              ;   in Loop: Header=BB6_197 Depth=2
	s_or_b32 exec_lo, exec_lo, s27
	v_and_b32_e32 v16, 0xffff0000, v16
	v_and_b32_e32 v12, 0xffff0000, v12
	s_delay_alu instid0(VALU_DEP_2) | instskip(NEXT) | instid1(VALU_DEP_2)
	v_max_num_f32_e32 v16, v16, v16
	v_max_num_f32_e32 v12, v12, v12
	s_delay_alu instid0(VALU_DEP_1) | instskip(NEXT) | instid1(VALU_DEP_1)
	v_dual_min_num_f32 v113, v12, v16 :: v_dual_max_num_f32 v12, v12, v16
	v_cndmask_b32_e64 v16, v12, v113, s10
	s_delay_alu instid0(VALU_DEP_1) | instskip(NEXT) | instid1(VALU_DEP_1)
	v_and_b32_e32 v12, 0x7f800000, v16
	v_cmp_ne_u32_e64 s11, 0x7f800000, v12
                                        ; implicit-def: $vgpr12
	s_and_saveexec_b32 s27, s11
	s_delay_alu instid0(SALU_CYCLE_1)
	s_xor_b32 s11, exec_lo, s27
; %bb.218:                              ;   in Loop: Header=BB6_197 Depth=2
	v_bfe_u32 v12, v16, 16, 1
	s_delay_alu instid0(VALU_DEP_1)
	v_add3_u32 v12, v16, v12, 0x7fff
                                        ; implicit-def: $vgpr16
; %bb.219:                              ;   in Loop: Header=BB6_197 Depth=2
	s_and_not1_saveexec_b32 s27, s11
; %bb.220:                              ;   in Loop: Header=BB6_197 Depth=2
	v_and_b32_e32 v12, 0xffff, v16
	v_or_b32_e32 v113, 0x10000, v16
	s_delay_alu instid0(VALU_DEP_2) | instskip(NEXT) | instid1(VALU_DEP_1)
	v_cmp_eq_u32_e64 s11, 0, v12
	v_cndmask_b32_e64 v12, v113, v16, s11
; %bb.221:                              ;   in Loop: Header=BB6_197 Depth=2
	s_or_b32 exec_lo, exec_lo, s27
	v_lshlrev_b32_e32 v16, 16, v17
	s_delay_alu instid0(VALU_DEP_1) | instskip(NEXT) | instid1(VALU_DEP_1)
	v_dual_max_num_f32 v16, v16, v16 :: v_dual_lshlrev_b32 v113, 16, v13
	v_max_num_f32_e32 v113, v113, v113
	s_delay_alu instid0(VALU_DEP_1) | instskip(NEXT) | instid1(VALU_DEP_1)
	v_dual_min_num_f32 v40, v113, v16 :: v_dual_max_num_f32 v16, v113, v16
	v_cndmask_b32_e64 v113, v16, v40, s10
	s_delay_alu instid0(VALU_DEP_1) | instskip(NEXT) | instid1(VALU_DEP_1)
	v_and_b32_e32 v16, 0x7f800000, v113
	v_cmp_ne_u32_e64 s11, 0x7f800000, v16
                                        ; implicit-def: $vgpr16
	s_and_saveexec_b32 s27, s11
	s_delay_alu instid0(SALU_CYCLE_1)
	s_xor_b32 s11, exec_lo, s27
; %bb.222:                              ;   in Loop: Header=BB6_197 Depth=2
	v_bfe_u32 v16, v113, 16, 1
	s_delay_alu instid0(VALU_DEP_1)
	v_add3_u32 v16, v113, v16, 0x7fff
                                        ; implicit-def: $vgpr113
; %bb.223:                              ;   in Loop: Header=BB6_197 Depth=2
	s_and_not1_saveexec_b32 s27, s11
; %bb.224:                              ;   in Loop: Header=BB6_197 Depth=2
	v_and_b32_e32 v16, 0xffff, v113
	v_or_b32_e32 v40, 0x10000, v113
	s_delay_alu instid0(VALU_DEP_2) | instskip(NEXT) | instid1(VALU_DEP_1)
	v_cmp_eq_u32_e64 s11, 0, v16
	v_cndmask_b32_e64 v16, v40, v113, s11
; %bb.225:                              ;   in Loop: Header=BB6_197 Depth=2
	s_or_b32 exec_lo, exec_lo, s27
	v_and_b32_e32 v17, 0xffff0000, v17
	v_and_b32_e32 v13, 0xffff0000, v13
	s_delay_alu instid0(VALU_DEP_2) | instskip(NEXT) | instid1(VALU_DEP_2)
	v_max_num_f32_e32 v17, v17, v17
	v_max_num_f32_e32 v13, v13, v13
	s_delay_alu instid0(VALU_DEP_1) | instskip(NEXT) | instid1(VALU_DEP_1)
	v_dual_min_num_f32 v113, v13, v17 :: v_dual_max_num_f32 v13, v13, v17
	v_cndmask_b32_e64 v17, v13, v113, s10
	s_delay_alu instid0(VALU_DEP_1) | instskip(NEXT) | instid1(VALU_DEP_1)
	v_and_b32_e32 v13, 0x7f800000, v17
	v_cmp_ne_u32_e64 s11, 0x7f800000, v13
                                        ; implicit-def: $vgpr13
	s_and_saveexec_b32 s27, s11
	s_delay_alu instid0(SALU_CYCLE_1)
	s_xor_b32 s11, exec_lo, s27
; %bb.226:                              ;   in Loop: Header=BB6_197 Depth=2
	v_bfe_u32 v13, v17, 16, 1
	s_delay_alu instid0(VALU_DEP_1)
	v_add3_u32 v13, v17, v13, 0x7fff
                                        ; implicit-def: $vgpr17
; %bb.227:                              ;   in Loop: Header=BB6_197 Depth=2
	s_and_not1_saveexec_b32 s27, s11
	s_cbranch_execz .LBB6_196
; %bb.228:                              ;   in Loop: Header=BB6_197 Depth=2
	v_and_b32_e32 v13, 0xffff, v17
	v_or_b32_e32 v113, 0x10000, v17
	s_delay_alu instid0(VALU_DEP_2) | instskip(NEXT) | instid1(VALU_DEP_1)
	v_cmp_eq_u32_e64 s11, 0, v13
	v_cndmask_b32_e64 v13, v113, v17, s11
	s_branch .LBB6_196
.LBB6_229:                              ;   in Loop: Header=BB6_49 Depth=1
	s_or_b32 exec_lo, exec_lo, s26
.LBB6_230:                              ;   in Loop: Header=BB6_49 Depth=1
	s_delay_alu instid0(SALU_CYCLE_1) | instskip(NEXT) | instid1(VALU_DEP_2)
	s_or_b32 exec_lo, exec_lo, s25
	v_cmp_lt_i32_e64 s10, 0, v102
	s_delay_alu instid0(VALU_DEP_1) | instskip(NEXT) | instid1(VALU_DEP_1)
	v_dual_cndmask_b32 v12, 0, v64, s10 :: v_dual_bitop2_b32 v10, 14, v119 bitop3:0x40
	v_dual_sub_nc_u32 v11, v101, v10 :: v_dual_cndmask_b32 v119, v101, v10, vcc_lo
	s_delay_alu instid0(VALU_DEP_1) | instskip(NEXT) | instid1(VALU_DEP_2)
	v_dual_cndmask_b32 v10, 0, v11 :: v_dual_sub_nc_u32 v11, v12, v102
	v_cmp_ne_u32_e32 vcc_lo, 0, v119
	s_delay_alu instid0(VALU_DEP_2) | instskip(NEXT) | instid1(VALU_DEP_3)
	v_add3_u32 v16, v100, v24, v10
	v_lshl_add_u32 v17, v11, 5, v25
	s_and_b32 s10, vcc_lo, exec_lo
.LBB6_231:                              ;   in Loop: Header=BB6_49 Depth=1
	s_or_b32 exec_lo, exec_lo, s24
	s_and_saveexec_b32 s11, s10
	s_cbranch_execz .LBB6_276
.LBB6_232:                              ;   in Loop: Header=BB6_49 Depth=1
	s_delay_alu instid0(VALU_DEP_1) | instskip(SKIP_1) | instid1(VALU_DEP_1)
	v_dual_ashrrev_i32 v10, 31, v17 :: v_dual_ashrrev_i32 v11, 31, v119
	s_mov_b32 s24, exec_lo
	v_dual_lshrrev_b32 v10, 27, v10 :: v_dual_lshrrev_b32 v11, 23, v11
	s_delay_alu instid0(VALU_DEP_1) | instskip(NEXT) | instid1(VALU_DEP_1)
	v_dual_add_nc_u32 v10, v17, v10 :: v_dual_add_nc_u32 v11, v119, v11
	v_dual_ashrrev_i32 v18, 5, v10 :: v_dual_ashrrev_i32 v20, 9, v11
	s_delay_alu instid0(VALU_DEP_1) | instskip(NEXT) | instid1(VALU_DEP_1)
	v_sub_nc_u32_e32 v19, v20, v18
	v_cmpx_lt_i32_e32 0, v19
	s_cbranch_execz .LBB6_268
; %bb.233:                              ;   in Loop: Header=BB6_49 Depth=1
	v_and_b32_e32 v10, 0x7fffffe0, v10
	s_trap 2
	ds_load_b64 v[12:13], v0
	v_lshlrev_b32_e32 v11, 9, v18
	v_add_nc_u64_e32 v[22:23], 0x1c0, v[98:99]
	v_sub_nc_u32_e32 v10, v17, v10
	s_bitcmp0_b64 s[12:13], 0
	s_mov_b32 s25, 0
	s_cselect_b32 vcc_lo, -1, 0
	s_delay_alu instid0(VALU_DEP_1) | instskip(NEXT) | instid1(VALU_DEP_1)
	v_lshlrev_b32_e32 v10, 1, v10
	v_add3_u32 v14, v10, v16, v11
	s_delay_alu instid0(VALU_DEP_1) | instskip(NEXT) | instid1(VALU_DEP_1)
	v_ashrrev_i32_e32 v15, 31, v14
	v_add_nc_u64_e32 v[10:11], v[14:15], v[96:97]
	s_wait_dscnt 0x0
	v_add_nc_u64_e32 v[12:13], v[12:13], v[14:15]
	v_add_nc_u64_e32 v[14:15], v[22:23], v[14:15]
	s_branch .LBB6_235
.LBB6_234:                              ;   in Loop: Header=BB6_235 Depth=2
	s_or_b32 exec_lo, exec_lo, s26
	v_sub_nc_u32_e32 v19, v19, v64
	s_clause 0x7
	flat_store_d16_hi_b16 v[14:15], v21 offset:-448 th:TH_STORE_NT
	flat_store_d16_hi_b16 v[14:15], v24 offset:-384 th:TH_STORE_NT
	;; [unrolled: 1-line block ×7, first 2 shown]
	flat_store_d16_hi_b16 v[14:15], v22 th:TH_STORE_NT
	v_add_nc_u64_e32 v[10:11], v[10:11], v[70:71]
	v_add_nc_u64_e32 v[12:13], v[12:13], v[70:71]
	s_wait_xcnt 0x0
	v_add_nc_u64_e32 v[14:15], v[14:15], v[70:71]
	v_cmp_gt_i32_e64 s10, 1, v19
	s_or_b32 s25, s10, s25
	s_delay_alu instid0(SALU_CYCLE_1)
	s_and_not1_b32 exec_lo, exec_lo, s25
	s_cbranch_execz .LBB6_267
.LBB6_235:                              ;   Parent Loop BB6_49 Depth=1
                                        ; =>  This Inner Loop Header: Depth=2
	s_clause 0x6
	flat_load_u16 v101, v[12:13] offset:128 th:TH_LOAD_NT
	flat_load_u16 v112, v[12:13] offset:192 th:TH_LOAD_NT
	;; [unrolled: 1-line block ×6, first 2 shown]
	flat_load_u16 v21, v[12:13] th:TH_LOAD_NT
	s_clause 0x7
	flat_load_u16 v42, v[10:11] offset:128 th:TH_LOAD_NT
	flat_load_u16 v41, v[10:11] offset:192 th:TH_LOAD_NT
	;; [unrolled: 1-line block ×6, first 2 shown]
	flat_load_u16 v44, v[10:11] th:TH_LOAD_NT
	flat_load_u16 v24, v[10:11] offset:64 th:TH_LOAD_NT
	flat_load_u16 v43, v[12:13] offset:64 th:TH_LOAD_NT
	s_wait_loadcnt_dscnt 0x202
	v_dual_lshlrev_b32 v21, 16, v21 :: v_dual_lshlrev_b32 v44, 16, v44
	s_delay_alu instid0(VALU_DEP_1) | instskip(NEXT) | instid1(VALU_DEP_1)
	v_dual_max_num_f32 v21, v21, v21 :: v_dual_max_num_f32 v44, v44, v44
	v_dual_min_num_f32 v45, v44, v21 :: v_dual_max_num_f32 v21, v44, v21
	s_delay_alu instid0(VALU_DEP_1) | instskip(NEXT) | instid1(VALU_DEP_1)
	v_cndmask_b32_e32 v44, v21, v45, vcc_lo
	v_and_b32_e32 v21, 0x7f800000, v44
	s_delay_alu instid0(VALU_DEP_1) | instskip(SKIP_2) | instid1(SALU_CYCLE_1)
	v_cmp_ne_u32_e64 s10, 0x7f800000, v21
                                        ; implicit-def: $vgpr21
	s_wait_xcnt 0x0
	s_and_saveexec_b32 s26, s10
	s_xor_b32 s10, exec_lo, s26
; %bb.236:                              ;   in Loop: Header=BB6_235 Depth=2
	v_bfe_u32 v21, v44, 16, 1
	s_delay_alu instid0(VALU_DEP_1)
	v_add3_u32 v21, v44, v21, 0x7fff
                                        ; implicit-def: $vgpr44
; %bb.237:                              ;   in Loop: Header=BB6_235 Depth=2
	s_and_not1_saveexec_b32 s26, s10
; %bb.238:                              ;   in Loop: Header=BB6_235 Depth=2
	v_and_b32_e32 v21, 0xffff, v44
	v_or_b32_e32 v45, 0x10000, v44
	s_delay_alu instid0(VALU_DEP_2) | instskip(NEXT) | instid1(VALU_DEP_1)
	v_cmp_eq_u32_e64 s10, 0, v21
	v_cndmask_b32_e64 v21, v45, v44, s10
; %bb.239:                              ;   in Loop: Header=BB6_235 Depth=2
	s_or_b32 exec_lo, exec_lo, s26
	s_wait_loadcnt_dscnt 0x0
	v_dual_lshlrev_b32 v43, 16, v43 :: v_dual_lshlrev_b32 v24, 16, v24
	s_delay_alu instid0(VALU_DEP_1) | instskip(NEXT) | instid1(VALU_DEP_1)
	v_dual_max_num_f32 v43, v43, v43 :: v_dual_max_num_f32 v24, v24, v24
	v_dual_min_num_f32 v44, v24, v43 :: v_dual_max_num_f32 v24, v24, v43
	s_delay_alu instid0(VALU_DEP_1) | instskip(NEXT) | instid1(VALU_DEP_1)
	v_cndmask_b32_e32 v43, v24, v44, vcc_lo
	v_and_b32_e32 v24, 0x7f800000, v43
	s_delay_alu instid0(VALU_DEP_1) | instskip(SKIP_1) | instid1(SALU_CYCLE_1)
	v_cmp_ne_u32_e64 s10, 0x7f800000, v24
                                        ; implicit-def: $vgpr24
	s_and_saveexec_b32 s26, s10
	s_xor_b32 s10, exec_lo, s26
; %bb.240:                              ;   in Loop: Header=BB6_235 Depth=2
	v_bfe_u32 v24, v43, 16, 1
	s_delay_alu instid0(VALU_DEP_1)
	v_add3_u32 v24, v43, v24, 0x7fff
                                        ; implicit-def: $vgpr43
; %bb.241:                              ;   in Loop: Header=BB6_235 Depth=2
	s_and_not1_saveexec_b32 s26, s10
; %bb.242:                              ;   in Loop: Header=BB6_235 Depth=2
	v_and_b32_e32 v24, 0xffff, v43
	v_or_b32_e32 v44, 0x10000, v43
	s_delay_alu instid0(VALU_DEP_2) | instskip(NEXT) | instid1(VALU_DEP_1)
	v_cmp_eq_u32_e64 s10, 0, v24
	v_cndmask_b32_e64 v24, v44, v43, s10
; %bb.243:                              ;   in Loop: Header=BB6_235 Depth=2
	s_or_b32 exec_lo, exec_lo, s26
	v_dual_lshlrev_b32 v101, 16, v101 :: v_dual_lshlrev_b32 v42, 16, v42
	s_delay_alu instid0(VALU_DEP_1) | instskip(NEXT) | instid1(VALU_DEP_1)
	v_dual_max_num_f32 v101, v101, v101 :: v_dual_max_num_f32 v42, v42, v42
	v_dual_min_num_f32 v43, v42, v101 :: v_dual_max_num_f32 v101, v42, v101
	s_delay_alu instid0(VALU_DEP_1) | instskip(NEXT) | instid1(VALU_DEP_1)
	v_cndmask_b32_e32 v42, v101, v43, vcc_lo
	v_and_b32_e32 v101, 0x7f800000, v42
	s_delay_alu instid0(VALU_DEP_1) | instskip(SKIP_1) | instid1(SALU_CYCLE_1)
	v_cmp_ne_u32_e64 s10, 0x7f800000, v101
                                        ; implicit-def: $vgpr101
	s_and_saveexec_b32 s26, s10
	s_xor_b32 s10, exec_lo, s26
; %bb.244:                              ;   in Loop: Header=BB6_235 Depth=2
	v_bfe_u32 v101, v42, 16, 1
	s_delay_alu instid0(VALU_DEP_1)
	v_add3_u32 v101, v42, v101, 0x7fff
                                        ; implicit-def: $vgpr42
; %bb.245:                              ;   in Loop: Header=BB6_235 Depth=2
	s_and_not1_saveexec_b32 s26, s10
; %bb.246:                              ;   in Loop: Header=BB6_235 Depth=2
	v_and_b32_e32 v101, 0xffff, v42
	v_or_b32_e32 v43, 0x10000, v42
	s_delay_alu instid0(VALU_DEP_2) | instskip(NEXT) | instid1(VALU_DEP_1)
	v_cmp_eq_u32_e64 s10, 0, v101
	v_cndmask_b32_e64 v101, v43, v42, s10
; %bb.247:                              ;   in Loop: Header=BB6_235 Depth=2
	s_or_b32 exec_lo, exec_lo, s26
	v_dual_lshlrev_b32 v112, 16, v112 :: v_dual_lshlrev_b32 v41, 16, v41
	s_delay_alu instid0(VALU_DEP_1) | instskip(NEXT) | instid1(VALU_DEP_1)
	v_dual_max_num_f32 v112, v112, v112 :: v_dual_max_num_f32 v41, v41, v41
	v_dual_min_num_f32 v42, v41, v112 :: v_dual_max_num_f32 v112, v41, v112
	s_delay_alu instid0(VALU_DEP_1) | instskip(NEXT) | instid1(VALU_DEP_1)
	v_cndmask_b32_e32 v41, v112, v42, vcc_lo
	v_and_b32_e32 v112, 0x7f800000, v41
	s_delay_alu instid0(VALU_DEP_1) | instskip(SKIP_1) | instid1(SALU_CYCLE_1)
	v_cmp_ne_u32_e64 s10, 0x7f800000, v112
                                        ; implicit-def: $vgpr112
	s_and_saveexec_b32 s26, s10
	s_xor_b32 s10, exec_lo, s26
; %bb.248:                              ;   in Loop: Header=BB6_235 Depth=2
	v_bfe_u32 v112, v41, 16, 1
	s_delay_alu instid0(VALU_DEP_1)
	v_add3_u32 v112, v41, v112, 0x7fff
                                        ; implicit-def: $vgpr41
; %bb.249:                              ;   in Loop: Header=BB6_235 Depth=2
	s_and_not1_saveexec_b32 s26, s10
; %bb.250:                              ;   in Loop: Header=BB6_235 Depth=2
	v_and_b32_e32 v112, 0xffff, v41
	v_or_b32_e32 v42, 0x10000, v41
	s_delay_alu instid0(VALU_DEP_2) | instskip(NEXT) | instid1(VALU_DEP_1)
	v_cmp_eq_u32_e64 s10, 0, v112
	v_cndmask_b32_e64 v112, v42, v41, s10
; %bb.251:                              ;   in Loop: Header=BB6_235 Depth=2
	s_or_b32 exec_lo, exec_lo, s26
	v_dual_lshlrev_b32 v113, 16, v113 :: v_dual_lshlrev_b32 v40, 16, v40
	s_delay_alu instid0(VALU_DEP_1) | instskip(NEXT) | instid1(VALU_DEP_1)
	v_dual_max_num_f32 v113, v113, v113 :: v_dual_max_num_f32 v40, v40, v40
	v_dual_min_num_f32 v41, v40, v113 :: v_dual_max_num_f32 v113, v40, v113
	s_delay_alu instid0(VALU_DEP_1) | instskip(NEXT) | instid1(VALU_DEP_1)
	v_cndmask_b32_e32 v40, v113, v41, vcc_lo
	v_and_b32_e32 v113, 0x7f800000, v40
	s_delay_alu instid0(VALU_DEP_1) | instskip(SKIP_1) | instid1(SALU_CYCLE_1)
	v_cmp_ne_u32_e64 s10, 0x7f800000, v113
                                        ; implicit-def: $vgpr113
	s_and_saveexec_b32 s26, s10
	s_xor_b32 s10, exec_lo, s26
; %bb.252:                              ;   in Loop: Header=BB6_235 Depth=2
	v_bfe_u32 v113, v40, 16, 1
	s_delay_alu instid0(VALU_DEP_1)
	v_add3_u32 v113, v40, v113, 0x7fff
                                        ; implicit-def: $vgpr40
; %bb.253:                              ;   in Loop: Header=BB6_235 Depth=2
	s_and_not1_saveexec_b32 s26, s10
; %bb.254:                              ;   in Loop: Header=BB6_235 Depth=2
	v_and_b32_e32 v113, 0xffff, v40
	v_or_b32_e32 v41, 0x10000, v40
	s_delay_alu instid0(VALU_DEP_2) | instskip(NEXT) | instid1(VALU_DEP_1)
	v_cmp_eq_u32_e64 s10, 0, v113
	v_cndmask_b32_e64 v113, v41, v40, s10
; %bb.255:                              ;   in Loop: Header=BB6_235 Depth=2
	s_or_b32 exec_lo, exec_lo, s26
	v_dual_lshlrev_b32 v102, 16, v102 :: v_dual_lshlrev_b32 v103, 16, v103
	s_delay_alu instid0(VALU_DEP_1) | instskip(NEXT) | instid1(VALU_DEP_1)
	v_dual_max_num_f32 v102, v102, v102 :: v_dual_max_num_f32 v103, v103, v103
	v_dual_min_num_f32 v40, v103, v102 :: v_dual_max_num_f32 v102, v103, v102
	s_delay_alu instid0(VALU_DEP_1) | instskip(NEXT) | instid1(VALU_DEP_1)
	v_cndmask_b32_e32 v103, v102, v40, vcc_lo
	v_and_b32_e32 v102, 0x7f800000, v103
	s_delay_alu instid0(VALU_DEP_1) | instskip(SKIP_1) | instid1(SALU_CYCLE_1)
	v_cmp_ne_u32_e64 s10, 0x7f800000, v102
                                        ; implicit-def: $vgpr102
	s_and_saveexec_b32 s26, s10
	s_xor_b32 s10, exec_lo, s26
; %bb.256:                              ;   in Loop: Header=BB6_235 Depth=2
	v_bfe_u32 v102, v103, 16, 1
	s_delay_alu instid0(VALU_DEP_1)
	v_add3_u32 v102, v103, v102, 0x7fff
                                        ; implicit-def: $vgpr103
; %bb.257:                              ;   in Loop: Header=BB6_235 Depth=2
	s_and_not1_saveexec_b32 s26, s10
; %bb.258:                              ;   in Loop: Header=BB6_235 Depth=2
	v_and_b32_e32 v102, 0xffff, v103
	v_or_b32_e32 v40, 0x10000, v103
	s_delay_alu instid0(VALU_DEP_2) | instskip(NEXT) | instid1(VALU_DEP_1)
	v_cmp_eq_u32_e64 s10, 0, v102
	v_cndmask_b32_e64 v102, v40, v103, s10
; %bb.259:                              ;   in Loop: Header=BB6_235 Depth=2
	s_or_b32 exec_lo, exec_lo, s26
	v_dual_lshlrev_b32 v25, 16, v25 :: v_dual_lshlrev_b32 v100, 16, v100
	s_delay_alu instid0(VALU_DEP_1) | instskip(NEXT) | instid1(VALU_DEP_1)
	v_dual_max_num_f32 v25, v25, v25 :: v_dual_max_num_f32 v100, v100, v100
	v_dual_min_num_f32 v103, v100, v25 :: v_dual_max_num_f32 v25, v100, v25
	s_delay_alu instid0(VALU_DEP_1) | instskip(NEXT) | instid1(VALU_DEP_1)
	v_cndmask_b32_e32 v100, v25, v103, vcc_lo
	v_and_b32_e32 v25, 0x7f800000, v100
	s_delay_alu instid0(VALU_DEP_1) | instskip(SKIP_1) | instid1(SALU_CYCLE_1)
	v_cmp_ne_u32_e64 s10, 0x7f800000, v25
                                        ; implicit-def: $vgpr25
	s_and_saveexec_b32 s26, s10
	s_xor_b32 s10, exec_lo, s26
; %bb.260:                              ;   in Loop: Header=BB6_235 Depth=2
	v_bfe_u32 v25, v100, 16, 1
	s_delay_alu instid0(VALU_DEP_1)
	v_add3_u32 v25, v100, v25, 0x7fff
                                        ; implicit-def: $vgpr100
; %bb.261:                              ;   in Loop: Header=BB6_235 Depth=2
	s_and_not1_saveexec_b32 s26, s10
; %bb.262:                              ;   in Loop: Header=BB6_235 Depth=2
	v_and_b32_e32 v25, 0xffff, v100
	v_or_b32_e32 v103, 0x10000, v100
	s_delay_alu instid0(VALU_DEP_2) | instskip(NEXT) | instid1(VALU_DEP_1)
	v_cmp_eq_u32_e64 s10, 0, v25
	v_cndmask_b32_e64 v25, v103, v100, s10
; %bb.263:                              ;   in Loop: Header=BB6_235 Depth=2
	s_or_b32 exec_lo, exec_lo, s26
	v_dual_lshlrev_b32 v22, 16, v22 :: v_dual_lshlrev_b32 v23, 16, v23
	s_delay_alu instid0(VALU_DEP_1) | instskip(NEXT) | instid1(VALU_DEP_1)
	v_dual_max_num_f32 v22, v22, v22 :: v_dual_max_num_f32 v23, v23, v23
	v_dual_min_num_f32 v100, v23, v22 :: v_dual_max_num_f32 v22, v23, v22
	s_delay_alu instid0(VALU_DEP_1) | instskip(NEXT) | instid1(VALU_DEP_1)
	v_cndmask_b32_e32 v23, v22, v100, vcc_lo
	v_and_b32_e32 v22, 0x7f800000, v23
	s_delay_alu instid0(VALU_DEP_1) | instskip(SKIP_1) | instid1(SALU_CYCLE_1)
	v_cmp_ne_u32_e64 s10, 0x7f800000, v22
                                        ; implicit-def: $vgpr22
	s_and_saveexec_b32 s26, s10
	s_xor_b32 s10, exec_lo, s26
; %bb.264:                              ;   in Loop: Header=BB6_235 Depth=2
	v_bfe_u32 v22, v23, 16, 1
	s_delay_alu instid0(VALU_DEP_1)
	v_add3_u32 v22, v23, v22, 0x7fff
                                        ; implicit-def: $vgpr23
; %bb.265:                              ;   in Loop: Header=BB6_235 Depth=2
	s_and_not1_saveexec_b32 s26, s10
	s_cbranch_execz .LBB6_234
; %bb.266:                              ;   in Loop: Header=BB6_235 Depth=2
	v_and_b32_e32 v22, 0xffff, v23
	v_or_b32_e32 v100, 0x10000, v23
	s_delay_alu instid0(VALU_DEP_2) | instskip(NEXT) | instid1(VALU_DEP_1)
	v_cmp_eq_u32_e64 s10, 0, v22
	v_cndmask_b32_e64 v22, v100, v23, s10
	s_branch .LBB6_234
.LBB6_267:                              ;   in Loop: Header=BB6_49 Depth=1
	s_or_b32 exec_lo, exec_lo, s25
.LBB6_268:                              ;   in Loop: Header=BB6_49 Depth=1
	s_delay_alu instid0(SALU_CYCLE_1) | instskip(SKIP_1) | instid1(VALU_DEP_1)
	s_or_b32 exec_lo, exec_lo, s24
	v_lshlrev_b32_e32 v10, 9, v20
	v_cmp_ne_u32_e32 vcc_lo, v119, v10
	s_and_b32 exec_lo, exec_lo, vcc_lo
	s_cbranch_execz .LBB6_276
; %bb.269:                              ;   in Loop: Header=BB6_49 Depth=1
	v_dual_lshlrev_b32 v11, 5, v18 :: v_dual_lshlrev_b32 v12, 5, v19
	s_delay_alu instid0(VALU_DEP_1) | instskip(NEXT) | instid1(VALU_DEP_1)
	v_sub_nc_u32_e32 v11, v17, v11
	v_sub_nc_u32_e32 v11, v11, v12
	s_delay_alu instid0(VALU_DEP_1) | instskip(NEXT) | instid1(VALU_DEP_1)
	v_ashrrev_i32_e32 v12, 31, v11
	v_lshrrev_b32_e32 v12, 27, v12
	s_delay_alu instid0(VALU_DEP_1) | instskip(NEXT) | instid1(VALU_DEP_1)
	v_add_nc_u32_e32 v12, v11, v12
	v_and_b32_e32 v13, 0x7fffffe0, v12
	s_delay_alu instid0(VALU_DEP_1) | instskip(NEXT) | instid1(VALU_DEP_1)
	v_dual_lshlrev_b32 v12, 1, v12 :: v_dual_sub_nc_u32 v11, v11, v13
	v_and_b32_e32 v12, 0xffffffc0, v12
	s_delay_alu instid0(VALU_DEP_2) | instskip(NEXT) | instid1(VALU_DEP_1)
	v_lshlrev_b32_e32 v11, 1, v11
	v_add3_u32 v10, v12, v11, v10
	s_delay_alu instid0(VALU_DEP_1) | instskip(NEXT) | instid1(VALU_DEP_1)
	v_sub_nc_u32_e32 v17, v119, v10
	v_cmp_lt_i32_e32 vcc_lo, 1, v17
	s_and_b32 exec_lo, exec_lo, vcc_lo
	s_cbranch_execz .LBB6_276
; %bb.270:                              ;   in Loop: Header=BB6_49 Depth=1
	s_trap 2
	ds_load_b64 v[12:13], v0
	v_add_nc_u32_e32 v14, v10, v16
	s_bitcmp0_b64 s[12:13], 0
	s_mov_b32 s12, 0
	s_cselect_b32 vcc_lo, -1, 0
	s_delay_alu instid0(VALU_DEP_1) | instskip(NEXT) | instid1(VALU_DEP_1)
	v_ashrrev_i32_e32 v15, 31, v14
	v_add_nc_u64_e32 v[10:11], v[14:15], v[96:97]
	s_wait_dscnt 0x0
	v_add_nc_u64_e32 v[12:13], v[12:13], v[14:15]
	v_add_nc_u64_e32 v[14:15], v[14:15], v[98:99]
	s_branch .LBB6_272
.LBB6_271:                              ;   in Loop: Header=BB6_272 Depth=2
	s_or_b32 exec_lo, exec_lo, s13
	v_sub_nc_u32_e32 v17, v17, v80
	flat_store_d16_hi_b16 v[14:15], v16 th:TH_STORE_NT
	v_add_nc_u64_e32 v[10:11], v[10:11], v[80:81]
	v_add_nc_u64_e32 v[12:13], v[12:13], v[80:81]
	s_wait_xcnt 0x0
	v_add_nc_u64_e32 v[14:15], v[14:15], v[80:81]
	v_cmp_gt_i32_e64 s10, 2, v17
	s_or_b32 s12, s10, s12
	s_delay_alu instid0(SALU_CYCLE_1)
	s_and_not1_b32 exec_lo, exec_lo, s12
	s_cbranch_execz .LBB6_276
.LBB6_272:                              ;   Parent Loop BB6_49 Depth=1
                                        ; =>  This Inner Loop Header: Depth=2
	flat_load_u16 v16, v[12:13] th:TH_LOAD_NT
	flat_load_u16 v18, v[10:11] th:TH_LOAD_NT
	s_wait_loadcnt_dscnt 0x0
	v_dual_lshlrev_b32 v16, 16, v16 :: v_dual_lshlrev_b32 v18, 16, v18
	s_delay_alu instid0(VALU_DEP_1) | instskip(NEXT) | instid1(VALU_DEP_1)
	v_dual_max_num_f32 v16, v16, v16 :: v_dual_max_num_f32 v18, v18, v18
	v_dual_min_num_f32 v19, v18, v16 :: v_dual_max_num_f32 v16, v18, v16
	s_delay_alu instid0(VALU_DEP_1) | instskip(NEXT) | instid1(VALU_DEP_1)
	v_cndmask_b32_e32 v18, v16, v19, vcc_lo
	v_and_b32_e32 v16, 0x7f800000, v18
	s_delay_alu instid0(VALU_DEP_1) | instskip(SKIP_2) | instid1(SALU_CYCLE_1)
	v_cmp_ne_u32_e64 s10, 0x7f800000, v16
                                        ; implicit-def: $vgpr16
	s_wait_xcnt 0x0
	s_and_saveexec_b32 s13, s10
	s_xor_b32 s10, exec_lo, s13
; %bb.273:                              ;   in Loop: Header=BB6_272 Depth=2
	v_bfe_u32 v16, v18, 16, 1
	s_delay_alu instid0(VALU_DEP_1)
	v_add3_u32 v16, v18, v16, 0x7fff
                                        ; implicit-def: $vgpr18
; %bb.274:                              ;   in Loop: Header=BB6_272 Depth=2
	s_and_not1_saveexec_b32 s13, s10
	s_cbranch_execz .LBB6_271
; %bb.275:                              ;   in Loop: Header=BB6_272 Depth=2
	v_and_b32_e32 v16, 0xffff, v18
	v_or_b32_e32 v19, 0x10000, v18
	s_delay_alu instid0(VALU_DEP_2) | instskip(NEXT) | instid1(VALU_DEP_1)
	v_cmp_eq_u32_e64 s10, 0, v16
	v_cndmask_b32_e64 v16, v19, v18, s10
	s_branch .LBB6_271
.LBB6_276:                              ;   in Loop: Header=BB6_49 Depth=1
	s_or_b32 exec_lo, exec_lo, s11
	v_cmp_ne_u32_e64 s10, 0, v54
	s_and_saveexec_b32 s11, s2
	s_cbranch_execz .LBB6_295
.LBB6_277:                              ;   in Loop: Header=BB6_49 Depth=1
	s_and_saveexec_b32 s12, s3
	s_delay_alu instid0(SALU_CYCLE_1)
	s_xor_b32 s12, exec_lo, s12
	s_cbranch_execz .LBB6_292
; %bb.278:                              ;   in Loop: Header=BB6_49 Depth=1
	s_and_saveexec_b32 s13, s4
	s_cbranch_execz .LBB6_291
; %bb.279:                              ;   in Loop: Header=BB6_49 Depth=1
	s_mov_b32 s25, exec_lo
	s_mov_b32 s24, exec_lo
	v_mbcnt_lo_u32_b32 v10, s25, 0
	global_wb scope:SCOPE_DEV
	s_wait_storecnt 0x0
	s_wait_loadcnt_dscnt 0x0
	global_inv scope:SCOPE_DEV
	v_cmpx_eq_u32_e32 0, v10
	s_cbranch_execz .LBB6_281
; %bb.280:                              ;   in Loop: Header=BB6_49 Depth=1
	s_bcnt1_i32_b32 s25, s25
	s_delay_alu instid0(SALU_CYCLE_1)
	v_mov_b32_e32 v54, s25
	s_wait_loadcnt 0x0
	ds_add_u64 v0, v[54:55]
	s_trap 2
.LBB6_281:                              ;   in Loop: Header=BB6_49 Depth=1
	s_or_b32 exec_lo, exec_lo, s24
	s_trap 2
	ds_load_b64 v[10:11], v0
	s_wait_dscnt 0x0
	v_add_nc_u64_e32 v[38:39], v[38:39], v[64:65]
	s_mov_b32 s24, exec_lo
	s_delay_alu instid0(VALU_DEP_1)
	v_cmpx_lt_u64_e64 v[10:11], v[38:39]
	s_cbranch_execz .LBB6_290
; %bb.282:                              ;   in Loop: Header=BB6_49 Depth=1
	s_mov_b32 s25, 0
	s_mov_b32 s28, 0
                                        ; implicit-def: $sgpr26
                                        ; implicit-def: $sgpr27
	s_branch .LBB6_284
.LBB6_283:                              ;   in Loop: Header=BB6_284 Depth=2
	s_or_b32 exec_lo, exec_lo, s40
	s_delay_alu instid0(SALU_CYCLE_1) | instskip(NEXT) | instid1(SALU_CYCLE_1)
	s_and_b32 s29, exec_lo, s41
	s_or_b32 s25, s29, s25
	s_and_not1_b32 s26, s26, exec_lo
	s_and_b32 s29, s27, exec_lo
	s_delay_alu instid0(SALU_CYCLE_1)
	s_or_b32 s26, s26, s29
	s_and_not1_b32 exec_lo, exec_lo, s25
	s_cbranch_execz .LBB6_288
.LBB6_284:                              ;   Parent Loop BB6_49 Depth=1
                                        ; =>  This Inner Loop Header: Depth=2
	s_add_co_i32 s28, s28, 1
	s_delay_alu instid0(SALU_CYCLE_1) | instskip(SKIP_1) | instid1(SALU_CYCLE_1)
	s_cmp_lg_u32 s28, 0x2710
	s_cselect_b32 s29, -1, 0
	s_and_b32 vcc_lo, exec_lo, s29
	s_cbranch_vccz .LBB6_286
; %bb.285:                              ;   in Loop: Header=BB6_284 Depth=2
	s_mov_b32 s41, -1
	s_or_b32 s27, s27, exec_lo
	s_and_saveexec_b32 s40, s29
	s_cbranch_execz .LBB6_283
	s_branch .LBB6_287
.LBB6_286:                              ;   in Loop: Header=BB6_284 Depth=2
	s_trap 2
	ds_load_b64 v[10:11], v0
	s_and_not1_b32 s29, s29, exec_lo
	s_mov_b32 s28, 0
	s_wait_loadcnt_dscnt 0x0
	flat_load_b32 v10, v[10:11] scope:SCOPE_SYS
	s_wait_loadcnt_dscnt 0x0
	global_inv scope:SCOPE_SYS
	v_cmp_eq_u32_e32 vcc_lo, 0, v10
	s_and_b32 s40, vcc_lo, exec_lo
	s_delay_alu instid0(SALU_CYCLE_1)
	s_or_b32 s29, s29, s40
	s_mov_b32 s41, -1
	s_or_b32 s27, s27, exec_lo
	s_and_saveexec_b32 s40, s29
	s_cbranch_execz .LBB6_283
.LBB6_287:                              ;   in Loop: Header=BB6_284 Depth=2
	s_sleep 1
	s_trap 2
	ds_load_b64 v[10:11], v0
	s_wait_dscnt 0x0
	s_and_not1_b32 s27, s27, exec_lo
	v_cmp_ge_u64_e32 vcc_lo, v[10:11], v[38:39]
	s_or_not1_b32 s41, vcc_lo, exec_lo
	s_branch .LBB6_283
.LBB6_288:                              ;   in Loop: Header=BB6_49 Depth=1
	s_or_b32 exec_lo, exec_lo, s25
	s_and_saveexec_b32 s25, s26
	s_delay_alu instid0(SALU_CYCLE_1)
	s_xor_b32 s25, exec_lo, s25
	s_cbranch_execz .LBB6_290
; %bb.289:                              ;   in Loop: Header=BB6_49 Depth=1
	ds_store_b32 v0, v117
	s_trap 2
.LBB6_290:                              ;   in Loop: Header=BB6_49 Depth=1
	s_or_b32 exec_lo, exec_lo, s24
	;;#ASMSTART
	s_wakeup
	;;#ASMEND
.LBB6_291:                              ;   in Loop: Header=BB6_49 Depth=1
	s_or_b32 exec_lo, exec_lo, s13
.LBB6_292:                              ;   in Loop: Header=BB6_49 Depth=1
	s_and_not1_saveexec_b32 s12, s12
	s_cbranch_execz .LBB6_294
; %bb.293:                              ;   in Loop: Header=BB6_49 Depth=1
	global_wb scope:SCOPE_DEV
	s_wait_storecnt 0x0
	s_wait_loadcnt_dscnt 0x0
	global_inv scope:SCOPE_DEV
	s_barrier_signal -1
	s_barrier_wait -1
.LBB6_294:                              ;   in Loop: Header=BB6_49 Depth=1
	s_or_b32 exec_lo, exec_lo, s12
.LBB6_295:                              ;   in Loop: Header=BB6_49 Depth=1
	s_delay_alu instid0(SALU_CYCLE_1) | instskip(SKIP_1) | instid1(VALU_DEP_1)
	s_or_b32 exec_lo, exec_lo, s11
	v_and_b32_e32 v10, 16, v30
	v_cmp_ne_u32_e32 vcc_lo, 0, v10
	s_and_b32 s11, vcc_lo, s10
	s_delay_alu instid0(SALU_CYCLE_1)
	s_and_saveexec_b32 s10, s11
	s_cbranch_execz .LBB6_297
; %bb.296:                              ;   in Loop: Header=BB6_49 Depth=1
	global_wb scope:SCOPE_SYS
	s_wait_storecnt 0x0
	s_wait_loadcnt_dscnt 0x0
	global_inv scope:SCOPE_SYS
.LBB6_297:                              ;   in Loop: Header=BB6_49 Depth=1
	s_or_b32 exec_lo, exec_lo, s10
	v_cmp_ne_u32_e32 vcc_lo, 0, v10
	s_xor_b32 s10, s7, -1
	s_delay_alu instid0(SALU_CYCLE_1) | instskip(NEXT) | instid1(SALU_CYCLE_1)
	s_and_b32 s11, vcc_lo, s10
	s_and_saveexec_b32 s10, s11
	s_cbranch_execz .LBB6_299
; %bb.298:                              ;   in Loop: Header=BB6_49 Depth=1
	global_wb scope:SCOPE_SYS
	s_wait_storecnt 0x0
	s_wait_loadcnt_dscnt 0x0
	flat_store_b32 v[52:53], v117 scope:SCOPE_SYS
.LBB6_299:                              ;   in Loop: Header=BB6_49 Depth=1
	s_wait_xcnt 0x0
	s_or_b32 exec_lo, exec_lo, s10
	v_and_b32_e32 v10, 48, v30
	s_mov_b32 s10, exec_lo
	s_delay_alu instid0(VALU_DEP_1)
	v_cmpx_ne_u32_e32 0, v10
	s_cbranch_execz .LBB6_301
; %bb.300:                              ;   in Loop: Header=BB6_49 Depth=1
	v_add_nc_u64_e32 v[8:9], 1, v[8:9]
	global_wb scope:SCOPE_SYS
	s_wait_storecnt 0x0
	s_wait_loadcnt_dscnt 0x0
	flat_store_b64 v[32:33], v[8:9] scope:SCOPE_SYS
.LBB6_301:                              ;   in Loop: Header=BB6_49 Depth=1
	s_wait_xcnt 0x0
	s_or_b32 exec_lo, exec_lo, s10
	v_mov_b32_e32 v10, v87
.LBB6_302:                              ;   in Loop: Header=BB6_49 Depth=1
	s_or_b32 exec_lo, exec_lo, s23
	s_and_saveexec_b32 s11, s22
	s_cbranch_execz .LBB6_48
; %bb.303:                              ;   in Loop: Header=BB6_49 Depth=1
	s_delay_alu instid0(VALU_DEP_1) | instskip(SKIP_2) | instid1(VALU_DEP_2)
	v_sub_nc_u32_e32 v10, v86, v10
	v_and_b32_e32 v11, 12, v30
	s_mov_b32 s12, exec_lo
	v_min_i32_e32 v10, v87, v10
	s_delay_alu instid0(VALU_DEP_2)
	v_cmpx_ne_u32_e32 0, v11
	s_cbranch_execz .LBB6_329
; %bb.304:                              ;   in Loop: Header=BB6_49 Depth=1
	v_and_b32_e32 v54, 8, v30
	s_wait_dscnt 0x0
	v_add_nc_u64_e32 v[12:13], 1, v[8:9]
	s_mov_b32 s13, exec_lo
	s_wait_loadcnt 0x0
	v_add_nc_u64_e32 v[14:15], v[48:49], v[54:55]
	s_delay_alu instid0(VALU_DEP_1)
	v_cmpx_lt_u64_e64 v[14:15], v[12:13]
	s_cbranch_execz .LBB6_316
; %bb.305:                              ;   in Loop: Header=BB6_49 Depth=1
	v_and_b32_e32 v9, 64, v30
	s_mov_b32 s22, 0
	s_mov_b32 s26, 0
                                        ; implicit-def: $sgpr23
                                        ; implicit-def: $sgpr24
                                        ; implicit-def: $sgpr25
	s_delay_alu instid0(VALU_DEP_1)
	v_cmp_eq_u32_e32 vcc_lo, 0, v9
	s_branch .LBB6_309
.LBB6_306:                              ;   in Loop: Header=BB6_309 Depth=2
	s_wait_loadcnt_dscnt 0x0
	v_add_nc_u64_e32 v[14:15], v[48:49], v[54:55]
	s_or_b32 s29, s29, exec_lo
	s_delay_alu instid0(VALU_DEP_1)
	v_cmp_ge_u64_e64 s10, v[14:15], v[12:13]
	s_or_not1_b32 s28, s10, exec_lo
.LBB6_307:                              ;   in Loop: Header=BB6_309 Depth=2
	s_or_b32 exec_lo, exec_lo, s41
	s_delay_alu instid0(SALU_CYCLE_1)
	s_and_not1_b32 s10, s25, exec_lo
	s_and_b32 s25, s29, exec_lo
	s_and_not1_b32 s24, s24, exec_lo
	s_and_b32 s28, s28, exec_lo
	s_or_b32 s25, s10, s25
	s_or_b32 s24, s24, s28
.LBB6_308:                              ;   in Loop: Header=BB6_309 Depth=2
	s_or_b32 exec_lo, exec_lo, s27
	s_delay_alu instid0(SALU_CYCLE_1) | instskip(NEXT) | instid1(SALU_CYCLE_1)
	s_and_b32 s10, exec_lo, s24
	s_or_b32 s22, s10, s22
	s_and_not1_b32 s10, s23, exec_lo
	s_and_b32 s23, s25, exec_lo
	s_delay_alu instid0(SALU_CYCLE_1)
	s_or_b32 s23, s10, s23
	s_and_not1_b32 exec_lo, exec_lo, s22
	s_cbranch_execz .LBB6_313
.LBB6_309:                              ;   Parent Loop BB6_49 Depth=1
                                        ; =>  This Inner Loop Header: Depth=2
	s_sleep 1
	s_wait_loadcnt_dscnt 0x0
	flat_load_b64 v[48:49], v[32:33] scope:SCOPE_SYS
	s_or_b32 s25, s25, exec_lo
	s_or_b32 s24, s24, exec_lo
                                        ; implicit-def: $vgpr9
	s_wait_xcnt 0x0
	s_and_saveexec_b32 s27, vcc_lo
	s_cbranch_execz .LBB6_308
; %bb.310:                              ;   in Loop: Header=BB6_309 Depth=2
	s_cmp_lt_i32 s26, 0x270f
	s_mov_b32 s28, -1
	s_cselect_b32 s40, -1, 0
	s_cmp_gt_i32 s26, 0x270e
	s_cbranch_scc0 .LBB6_312
; %bb.311:                              ;   in Loop: Header=BB6_309 Depth=2
	s_trap 2
	ds_load_b64 v[14:15], v0
	s_and_not1_b32 s26, s40, exec_lo
	s_mov_b32 s29, 0
	s_wait_storecnt 0x0
	s_wait_loadcnt_dscnt 0x0
	flat_load_b32 v9, v[14:15] scope:SCOPE_SYS
	s_wait_loadcnt_dscnt 0x0
	global_inv scope:SCOPE_SYS
	v_cmp_eq_u32_e64 s10, 0, v9
	s_and_b32 s10, s10, exec_lo
	s_delay_alu instid0(SALU_CYCLE_1)
	s_or_b32 s40, s26, s10
	s_mov_b32 s26, 0
	s_and_saveexec_b32 s41, s40
	s_cbranch_execz .LBB6_307
	s_branch .LBB6_306
.LBB6_312:                              ;   in Loop: Header=BB6_309 Depth=2
	s_add_co_i32 s26, s26, 1
	s_mov_b32 s29, -1
                                        ; implicit-def: $vgpr9
	s_and_saveexec_b32 s41, s40
	s_cbranch_execz .LBB6_307
	s_branch .LBB6_306
.LBB6_313:                              ;   in Loop: Header=BB6_49 Depth=1
	s_or_b32 exec_lo, exec_lo, s22
	s_xor_b32 s10, s23, -1
	s_delay_alu instid0(SALU_CYCLE_1) | instskip(NEXT) | instid1(SALU_CYCLE_1)
	s_and_saveexec_b32 s22, s10
	s_xor_b32 s10, exec_lo, s22
	s_cbranch_execz .LBB6_315
; %bb.314:                              ;   in Loop: Header=BB6_49 Depth=1
	v_or_b32_e32 v30, 64, v30
	s_wait_storecnt 0x0
	s_wait_loadcnt_dscnt 0x0
	ds_store_b32 v0, v9
	s_trap 2
.LBB6_315:                              ;   in Loop: Header=BB6_49 Depth=1
	s_or_b32 exec_lo, exec_lo, s10
.LBB6_316:                              ;   in Loop: Header=BB6_49 Depth=1
	s_delay_alu instid0(SALU_CYCLE_1) | instskip(SKIP_2) | instid1(VALU_DEP_1)
	s_or_b32 exec_lo, exec_lo, s13
	v_and_b32_e32 v9, 0x108, v30
	;;#ASMSTART
	s_wakeup
	;;#ASMEND
	v_cmp_ne_u32_e32 vcc_lo, 0x108, v9
	v_and_b32_e32 v8, 7, v8
	s_and_saveexec_b32 s10, vcc_lo
	s_delay_alu instid0(SALU_CYCLE_1)
	s_xor_b32 s10, exec_lo, s10
; %bb.317:                              ;   in Loop: Header=BB6_49 Depth=1
	v_mov_b32_e32 v9, v55
; %bb.318:                              ;   in Loop: Header=BB6_49 Depth=1
	s_and_not1_saveexec_b32 s10, s10
	s_cbranch_execz .LBB6_320
; %bb.319:                              ;   in Loop: Header=BB6_49 Depth=1
	v_dual_ashrrev_i32 v11, 31, v10 :: v_dual_mov_b32 v9, v55
	v_mad_nc_u64_u32 v[14:15], v8, 24, v[6:7]
	s_delay_alu instid0(VALU_DEP_2)
	v_lshlrev_b64_e32 v[16:17], 1, v[10:11]
	flat_store_b64 v[14:15], v[16:17] offset:8
.LBB6_320:                              ;   in Loop: Header=BB6_49 Depth=1
	s_wait_xcnt 0x0
	s_or_b32 exec_lo, exec_lo, s10
	v_and_b32_e32 v11, 0x100, v30
	s_mov_b32 s10, -1
	s_mov_b32 s13, exec_lo
                                        ; implicit-def: $vgpr14_vgpr15
	s_delay_alu instid0(VALU_DEP_1)
	v_cmpx_ne_u32_e32 0, v11
	s_cbranch_execz .LBB6_324
; %bb.321:                              ;   in Loop: Header=BB6_49 Depth=1
	v_mad_nc_u64_u32 v[16:17], v8, 24, v[6:7]
	s_mov_b32 s22, exec_lo
                                        ; implicit-def: $vgpr14_vgpr15
	s_delay_alu instid0(VALU_DEP_1)
	v_mad_u32 v17, v9, 24, v17
	flat_load_b32 v11, v[16:17]
	s_wait_loadcnt_dscnt 0x0
	v_cmp_ne_u32_e32 vcc_lo, 1, v11
	s_wait_xcnt 0x0
	v_cmpx_eq_u32_e32 1, v11
	s_cbranch_execz .LBB6_323
; %bb.322:                              ;   in Loop: Header=BB6_49 Depth=1
	flat_load_b32 v14, v[16:17] offset:4 scope:SCOPE_SYS
	s_wait_loadcnt_dscnt 0x0
	v_ashrrev_i32_e32 v15, 31, v14
	s_delay_alu instid0(VALU_DEP_1)
	v_lshrrev_b64 v[14:15], 1, v[14:15]
.LBB6_323:                              ;   in Loop: Header=BB6_49 Depth=1
	s_wait_xcnt 0x0
	s_or_b32 exec_lo, exec_lo, s22
	s_delay_alu instid0(SALU_CYCLE_1)
	s_or_not1_b32 s10, vcc_lo, exec_lo
.LBB6_324:                              ;   in Loop: Header=BB6_49 Depth=1
	s_or_b32 exec_lo, exec_lo, s13
	s_and_saveexec_b32 s13, s10
; %bb.325:                              ;   in Loop: Header=BB6_49 Depth=1
	v_mul_u64_e32 v[14:15], v[8:9], v[34:35]
; %bb.326:                              ;   in Loop: Header=BB6_49 Depth=1
	s_or_b32 exec_lo, exec_lo, s13
	v_cmp_eq_u32_e32 vcc_lo, 0, v54
	v_and_b32_e32 v16, 0x2000, v30
	s_delay_alu instid0(VALU_DEP_3) | instskip(SKIP_2) | instid1(VALU_DEP_1)
	v_lshl_add_u64 v[8:9], v[14:15], 1, v[36:37]
	s_mov_b32 s10, exec_lo
	v_cndmask_b32_e32 v11, 0xc8, v118, vcc_lo
	v_add_nc_u32_e32 v11, v0, v11
	ds_store_b64 v11, v[8:9] offset:584
	v_cmpx_ne_u32_e32 0, v16
	s_cbranch_execz .LBB6_328
; %bb.327:                              ;   in Loop: Header=BB6_49 Depth=1
	ds_load_b64 v[8:9], v0 offset:872
	s_wait_dscnt 0x0
	v_add_nc_u64_e32 v[8:9], 1, v[8:9]
	ds_store_b64 v0, v[8:9] offset:872
.LBB6_328:                              ;   in Loop: Header=BB6_49 Depth=1
	s_or_b32 exec_lo, exec_lo, s10
	v_mov_b64_e32 v[8:9], v[12:13]
.LBB6_329:                              ;   in Loop: Header=BB6_49 Depth=1
	s_or_b32 exec_lo, exec_lo, s12
	s_and_saveexec_b32 s10, s2
	s_cbranch_execz .LBB6_348
; %bb.330:                              ;   in Loop: Header=BB6_49 Depth=1
	s_and_saveexec_b32 s12, s3
	s_delay_alu instid0(SALU_CYCLE_1)
	s_xor_b32 s12, exec_lo, s12
	s_cbranch_execz .LBB6_345
; %bb.331:                              ;   in Loop: Header=BB6_49 Depth=1
	s_and_saveexec_b32 s13, s4
	s_cbranch_execz .LBB6_344
; %bb.332:                              ;   in Loop: Header=BB6_49 Depth=1
	s_mov_b32 s23, exec_lo
	s_mov_b32 s22, exec_lo
	v_mbcnt_lo_u32_b32 v11, s23, 0
	global_wb scope:SCOPE_DEV
	s_wait_storecnt 0x0
	s_wait_loadcnt_dscnt 0x0
	global_inv scope:SCOPE_DEV
	v_cmpx_eq_u32_e32 0, v11
	s_cbranch_execz .LBB6_334
; %bb.333:                              ;   in Loop: Header=BB6_49 Depth=1
	s_bcnt1_i32_b32 s23, s23
	s_delay_alu instid0(SALU_CYCLE_1)
	v_mov_b32_e32 v54, s23
	s_wait_loadcnt 0x0
	ds_add_u64 v0, v[54:55]
	s_trap 2
.LBB6_334:                              ;   in Loop: Header=BB6_49 Depth=1
	s_or_b32 exec_lo, exec_lo, s22
	s_trap 2
	ds_load_b64 v[12:13], v0
	s_wait_dscnt 0x0
	v_add_nc_u64_e32 v[38:39], v[38:39], v[64:65]
	s_mov_b32 s22, exec_lo
	s_delay_alu instid0(VALU_DEP_1)
	v_cmpx_lt_u64_e64 v[12:13], v[38:39]
	s_cbranch_execz .LBB6_343
; %bb.335:                              ;   in Loop: Header=BB6_49 Depth=1
	s_mov_b32 s23, 0
	s_mov_b32 s26, 0
                                        ; implicit-def: $sgpr24
                                        ; implicit-def: $sgpr25
	s_branch .LBB6_337
.LBB6_336:                              ;   in Loop: Header=BB6_337 Depth=2
	s_or_b32 exec_lo, exec_lo, s28
	s_delay_alu instid0(SALU_CYCLE_1) | instskip(NEXT) | instid1(SALU_CYCLE_1)
	s_and_b32 s27, exec_lo, s29
	s_or_b32 s23, s27, s23
	s_and_not1_b32 s24, s24, exec_lo
	s_and_b32 s27, s25, exec_lo
	s_delay_alu instid0(SALU_CYCLE_1)
	s_or_b32 s24, s24, s27
	s_and_not1_b32 exec_lo, exec_lo, s23
	s_cbranch_execz .LBB6_341
.LBB6_337:                              ;   Parent Loop BB6_49 Depth=1
                                        ; =>  This Inner Loop Header: Depth=2
	s_add_co_i32 s26, s26, 1
	s_delay_alu instid0(SALU_CYCLE_1) | instskip(SKIP_1) | instid1(SALU_CYCLE_1)
	s_cmp_lg_u32 s26, 0x2710
	s_cselect_b32 s27, -1, 0
	s_and_b32 vcc_lo, exec_lo, s27
	s_cbranch_vccz .LBB6_339
; %bb.338:                              ;   in Loop: Header=BB6_337 Depth=2
	s_mov_b32 s29, -1
	s_or_b32 s25, s25, exec_lo
	s_and_saveexec_b32 s28, s27
	s_cbranch_execz .LBB6_336
	s_branch .LBB6_340
.LBB6_339:                              ;   in Loop: Header=BB6_337 Depth=2
	s_trap 2
	ds_load_b64 v[12:13], v0
	s_and_not1_b32 s27, s27, exec_lo
	s_mov_b32 s26, 0
	s_wait_loadcnt_dscnt 0x0
	flat_load_b32 v11, v[12:13] scope:SCOPE_SYS
	s_wait_loadcnt_dscnt 0x0
	global_inv scope:SCOPE_SYS
	v_cmp_eq_u32_e32 vcc_lo, 0, v11
	s_and_b32 s28, vcc_lo, exec_lo
	s_delay_alu instid0(SALU_CYCLE_1)
	s_or_b32 s27, s27, s28
	s_mov_b32 s29, -1
	s_or_b32 s25, s25, exec_lo
	s_and_saveexec_b32 s28, s27
	s_cbranch_execz .LBB6_336
.LBB6_340:                              ;   in Loop: Header=BB6_337 Depth=2
	s_sleep 1
	s_trap 2
	ds_load_b64 v[12:13], v0
	s_wait_dscnt 0x0
	s_and_not1_b32 s25, s25, exec_lo
	v_cmp_ge_u64_e32 vcc_lo, v[12:13], v[38:39]
	s_or_not1_b32 s29, vcc_lo, exec_lo
	s_branch .LBB6_336
.LBB6_341:                              ;   in Loop: Header=BB6_49 Depth=1
	s_or_b32 exec_lo, exec_lo, s23
	s_and_saveexec_b32 s23, s24
	s_delay_alu instid0(SALU_CYCLE_1)
	s_xor_b32 s23, exec_lo, s23
	s_cbranch_execz .LBB6_343
; %bb.342:                              ;   in Loop: Header=BB6_49 Depth=1
	ds_store_b32 v0, v117
	s_trap 2
.LBB6_343:                              ;   in Loop: Header=BB6_49 Depth=1
	s_or_b32 exec_lo, exec_lo, s22
	;;#ASMSTART
	s_wakeup
	;;#ASMEND
.LBB6_344:                              ;   in Loop: Header=BB6_49 Depth=1
	s_or_b32 exec_lo, exec_lo, s13
.LBB6_345:                              ;   in Loop: Header=BB6_49 Depth=1
	s_and_not1_saveexec_b32 s12, s12
	s_cbranch_execz .LBB6_347
; %bb.346:                              ;   in Loop: Header=BB6_49 Depth=1
	global_wb scope:SCOPE_DEV
	s_wait_storecnt 0x0
	s_wait_loadcnt_dscnt 0x0
	global_inv scope:SCOPE_DEV
	s_barrier_signal -1
	s_barrier_wait -1
.LBB6_347:                              ;   in Loop: Header=BB6_49 Depth=1
	s_or_b32 exec_lo, exec_lo, s12
.LBB6_348:                              ;   in Loop: Header=BB6_49 Depth=1
	s_delay_alu instid0(SALU_CYCLE_1)
	s_or_b32 exec_lo, exec_lo, s10
	s_trap 2
	ds_load_b32 v11, v0
	v_cmp_lt_i32_e32 vcc_lo, 0, v10
	s_wait_dscnt 0x0
	v_readfirstlane_b32 s10, v11
	v_and_b32_e32 v11, 16, v30
	s_cmp_eq_u32 s10, 0
	s_delay_alu instid0(VALU_DEP_1) | instskip(SKIP_1) | instid1(SALU_CYCLE_1)
	v_cmp_ne_u32_e64 s10, 0, v11
	s_cselect_b32 s12, -1, 0
	s_and_b32 s12, vcc_lo, s12
	s_delay_alu instid0(SALU_CYCLE_1) | instskip(NEXT) | instid1(SALU_CYCLE_1)
	s_and_b32 s12, s10, s12
	s_and_saveexec_b32 s10, s12
	s_cbranch_execz .LBB6_350
; %bb.349:                              ;   in Loop: Header=BB6_49 Depth=1
	global_wb scope:SCOPE_SYS
	s_wait_loadcnt 0x0
	s_wait_storecnt 0x0
	global_inv scope:SCOPE_SYS
.LBB6_350:                              ;   in Loop: Header=BB6_49 Depth=1
	s_or_b32 exec_lo, exec_lo, s10
	v_cmp_ne_u32_e32 vcc_lo, 0, v11
	s_xor_b32 s10, s7, -1
	s_delay_alu instid0(SALU_CYCLE_1) | instskip(NEXT) | instid1(SALU_CYCLE_1)
	s_and_b32 s12, vcc_lo, s10
	s_and_saveexec_b32 s10, s12
	s_cbranch_execz .LBB6_352
; %bb.351:                              ;   in Loop: Header=BB6_49 Depth=1
	global_wb scope:SCOPE_SYS
	s_wait_loadcnt 0x0
	s_wait_storecnt 0x0
	flat_store_b32 v[52:53], v117 scope:SCOPE_SYS
.LBB6_352:                              ;   in Loop: Header=BB6_49 Depth=1
	s_wait_xcnt 0x0
	s_or_b32 exec_lo, exec_lo, s10
	v_and_b32_e32 v10, 48, v30
	s_mov_b32 s10, exec_lo
	s_delay_alu instid0(VALU_DEP_1)
	v_cmpx_ne_u32_e32 0, v10
	s_cbranch_execz .LBB6_47
; %bb.353:                              ;   in Loop: Header=BB6_49 Depth=1
	v_add_nc_u64_e32 v[8:9], 1, v[8:9]
	global_wb scope:SCOPE_SYS
	s_wait_storecnt 0x0
	s_wait_loadcnt_dscnt 0x0
	flat_store_b64 v[32:33], v[8:9] scope:SCOPE_SYS
	s_branch .LBB6_47
.LBB6_354:
	s_or_b32 exec_lo, exec_lo, s19
.LBB6_355:
	s_delay_alu instid0(SALU_CYCLE_1)
	s_or_b32 exec_lo, exec_lo, s18
                                        ; implicit-def: $vgpr26_vgpr27
                                        ; implicit-def: $vgpr4_vgpr5
                                        ; implicit-def: $vgpr34
                                        ; implicit-def: $vgpr48_vgpr49
                                        ; implicit-def: $vgpr36_vgpr37
                                        ; implicit-def: $vgpr32_vgpr33
                                        ; implicit-def: $vgpr0
                                        ; implicit-def: $vgpr15
                                        ; implicit-def: $vgpr50_vgpr51
.LBB6_356:
	s_and_not1_saveexec_b32 s11, s17
	s_cbranch_execz .LBB6_656
; %bb.357:
	v_mov_b64_e32 v[38:39], 0
	s_mov_b32 s17, exec_lo
	v_cmpx_ne_u64_e32 0, v[4:5]
	s_cbranch_execz .LBB6_655
; %bb.358:
	v_dual_ashrrev_i32 v35, 31, v34 :: v_dual_bitop2_b32 v10, 31, v31 bitop3:0x40
	s_wait_dscnt 0x1
	v_dual_mov_b32 v53, 0 :: v_dual_lshrrev_b32 v102, 5, v0
	v_dual_lshrrev_b32 v54, 5, v1 :: v_dual_bitop2_b32 v103, 31, v0 bitop3:0x40
	s_delay_alu instid0(VALU_DEP_3) | instskip(NEXT) | instid1(VALU_DEP_3)
	v_cmp_eq_u32_e64 s4, 0, v10
	v_dual_mov_b32 v65, v53 :: v_dual_lshlrev_b32 v10, 10, v102
	s_lshr_b32 s2, s15, 27
	v_cmp_eq_u32_e32 vcc_lo, 32, v1
	v_mov_b64_e32 v[80:81], 0
	s_delay_alu instid0(VALU_DEP_3)
	v_lshl_or_b32 v64, v103, 4, v10
	v_lshlrev_b32_e32 v10, 1, v1
	v_mov_b64_e32 v[38:39], 0
	v_cmp_ge_u32_e64 s1, v0, v1
	s_add_co_i32 s7, s15, s2
	v_cmp_ne_u32_e64 s2, 32, v1
	v_cmp_ne_u32_e64 s3, v1, v114
	v_mov_b32_e32 v55, v53
	v_cmp_le_u32_e64 s5, v103, v15
	v_cmp_eq_u32_e64 s6, 0, v103
	v_dual_mov_b32 v67, v53 :: v_dual_lshlrev_b32 v66, 10, v54
	v_dual_mov_b32 v69, v53 :: v_dual_lshlrev_b32 v68, 9, v54
	v_and_b32_e32 v70, 0x3fc0, v10
	v_dual_mov_b32 v71, v53 :: v_dual_mov_b32 v112, 1
	s_ashr_i32 s19, s7, 5
	s_mov_b32 s18, 0
	s_xor_b32 s20, vcc_lo, -1
	s_trap 2
	s_branch .LBB6_361
.LBB6_359:                              ;   in Loop: Header=BB6_361 Depth=1
	s_wait_xcnt 0x0
	s_or_b32 exec_lo, exec_lo, s7
.LBB6_360:                              ;   in Loop: Header=BB6_361 Depth=1
	s_delay_alu instid0(SALU_CYCLE_1) | instskip(SKIP_1) | instid1(VALU_DEP_1)
	s_or_b32 exec_lo, exec_lo, s10
	v_add_nc_u64_e32 v[80:81], v[80:81], v[50:51]
	v_cmp_ge_u64_e32 vcc_lo, v[80:81], v[4:5]
	s_or_b32 s18, vcc_lo, s18
	s_delay_alu instid0(SALU_CYCLE_1)
	s_and_not1_b32 exec_lo, exec_lo, s18
	s_cbranch_execz .LBB6_654
.LBB6_361:                              ; =>This Loop Header: Depth=1
                                        ;     Child Loop BB6_370 Depth 2
                                        ;     Child Loop BB6_394 Depth 2
	;; [unrolled: 1-line block ×10, first 2 shown]
	v_sub_nc_u64_e32 v[10:11], v[4:5], v[80:81]
	v_mov_b32_e32 v14, 0
	s_delay_alu instid0(VALU_DEP_2) | instskip(NEXT) | instid1(VALU_DEP_1)
	v_min_u64 v[82:83], v[50:51], v[10:11]
	v_add_nc_u32_e32 v10, 15, v82
	s_delay_alu instid0(VALU_DEP_2) | instskip(NEXT) | instid1(VALU_DEP_2)
	v_cmp_eq_u64_e32 vcc_lo, 0, v[82:83]
	v_and_b32_e32 v10, 0x3ffffff0, v10
	s_or_b32 s21, s1, vcc_lo
	s_delay_alu instid0(SALU_CYCLE_1) | instskip(NEXT) | instid1(VALU_DEP_1)
	s_xor_b32 s7, s21, -1
	v_max_i32_e32 v83, s19, v10
	s_and_saveexec_b32 s22, s7
	s_cbranch_execz .LBB6_608
; %bb.362:                              ;   in Loop: Header=BB6_361 Depth=1
	s_and_saveexec_b32 s7, s0
	s_cbranch_execz .LBB6_364
; %bb.363:                              ;   in Loop: Header=BB6_361 Depth=1
	s_trap 2
	ds_load_b64 v[14:15], v0
	ds_load_2addr_b64 v[10:13], v0 offset1:1
	v_add_nc_u64_e32 v[16:17], v[80:81], v[26:27]
	s_delay_alu instid0(VALU_DEP_1) | instskip(SKIP_1) | instid1(VALU_DEP_1)
	v_lshlrev_b64_e32 v[16:17], 1, v[16:17]
	s_wait_dscnt 0x1
	v_add_nc_u64_e32 v[18:19], v[14:15], v[16:17]
	v_cmp_ne_u64_e32 vcc_lo, 0, v[14:15]
	s_wait_dscnt 0x0
	v_add_nc_u64_e32 v[10:11], v[10:11], v[16:17]
	v_add_nc_u64_e32 v[12:13], v[12:13], v[16:17]
	s_delay_alu instid0(VALU_DEP_4)
	v_dual_cndmask_b32 v15, 0, v19 :: v_dual_cndmask_b32 v14, 0, v18
	ds_store_b64 v0, v[10:11]
	ds_store_b64 v0, v[12:13]
	;; [unrolled: 1-line block ×3, first 2 shown]
.LBB6_364:                              ;   in Loop: Header=BB6_361 Depth=1
	s_or_b32 exec_lo, exec_lo, s7
	v_and_b32_e32 v10, 4, v30
	s_mov_b32 s10, exec_lo
	s_delay_alu instid0(VALU_DEP_1)
	v_cmpx_ne_u32_e32 0, v10
	s_cbranch_execz .LBB6_386
; %bb.365:                              ;   in Loop: Header=BB6_361 Depth=1
	s_wait_dscnt 0x0
	v_add_nc_u64_e32 v[10:11], 1, v[8:9]
	s_mov_b32 s12, exec_lo
	s_wait_loadcnt 0x0
	s_delay_alu instid0(VALU_DEP_1)
	v_cmpx_lt_u64_e64 v[48:49], v[10:11]
	s_cbranch_execz .LBB6_377
; %bb.366:                              ;   in Loop: Header=BB6_361 Depth=1
	v_and_b32_e32 v9, 64, v30
	s_mov_b32 s13, 0
	s_mov_b32 s26, 0
                                        ; implicit-def: $sgpr23
                                        ; implicit-def: $sgpr24
                                        ; implicit-def: $sgpr25
	s_delay_alu instid0(VALU_DEP_1)
	v_cmp_eq_u32_e32 vcc_lo, 0, v9
	s_branch .LBB6_370
.LBB6_367:                              ;   in Loop: Header=BB6_370 Depth=2
	s_wait_loadcnt_dscnt 0x0
	v_cmp_ge_u64_e64 s7, v[48:49], v[10:11]
	s_or_b32 s29, s29, exec_lo
	s_or_not1_b32 s28, s7, exec_lo
.LBB6_368:                              ;   in Loop: Header=BB6_370 Depth=2
	s_or_b32 exec_lo, exec_lo, s41
	s_delay_alu instid0(SALU_CYCLE_1)
	s_and_not1_b32 s7, s25, exec_lo
	s_and_b32 s25, s29, exec_lo
	s_and_not1_b32 s24, s24, exec_lo
	s_and_b32 s28, s28, exec_lo
	s_or_b32 s25, s7, s25
	s_or_b32 s24, s24, s28
.LBB6_369:                              ;   in Loop: Header=BB6_370 Depth=2
	s_or_b32 exec_lo, exec_lo, s27
	s_delay_alu instid0(SALU_CYCLE_1) | instskip(NEXT) | instid1(SALU_CYCLE_1)
	s_and_b32 s7, exec_lo, s24
	s_or_b32 s13, s7, s13
	s_and_not1_b32 s7, s23, exec_lo
	s_and_b32 s23, s25, exec_lo
	s_delay_alu instid0(SALU_CYCLE_1)
	s_or_b32 s23, s7, s23
	s_and_not1_b32 exec_lo, exec_lo, s13
	s_cbranch_execz .LBB6_374
.LBB6_370:                              ;   Parent Loop BB6_361 Depth=1
                                        ; =>  This Inner Loop Header: Depth=2
	s_sleep 1
	s_wait_loadcnt_dscnt 0x0
	flat_load_b64 v[48:49], v[32:33] scope:SCOPE_SYS
	s_or_b32 s25, s25, exec_lo
	s_or_b32 s24, s24, exec_lo
                                        ; implicit-def: $vgpr9
	s_wait_xcnt 0x0
	s_and_saveexec_b32 s27, vcc_lo
	s_cbranch_execz .LBB6_369
; %bb.371:                              ;   in Loop: Header=BB6_370 Depth=2
	s_cmp_lt_i32 s26, 0x270f
	s_mov_b32 s28, -1
	s_cselect_b32 s40, -1, 0
	s_cmp_gt_i32 s26, 0x270e
	s_cbranch_scc0 .LBB6_373
; %bb.372:                              ;   in Loop: Header=BB6_370 Depth=2
	s_trap 2
	ds_load_b64 v[12:13], v0
	s_and_not1_b32 s26, s40, exec_lo
	s_mov_b32 s29, 0
	s_wait_storecnt 0x0
	s_wait_loadcnt_dscnt 0x0
	flat_load_b32 v9, v[12:13] scope:SCOPE_SYS
	s_wait_loadcnt_dscnt 0x0
	global_inv scope:SCOPE_SYS
	v_cmp_eq_u32_e64 s7, 0, v9
	s_and_b32 s7, s7, exec_lo
	s_delay_alu instid0(SALU_CYCLE_1)
	s_or_b32 s40, s26, s7
	s_mov_b32 s26, 0
	s_and_saveexec_b32 s41, s40
	s_cbranch_execz .LBB6_368
	s_branch .LBB6_367
.LBB6_373:                              ;   in Loop: Header=BB6_370 Depth=2
	s_add_co_i32 s26, s26, 1
	s_mov_b32 s29, -1
                                        ; implicit-def: $vgpr9
	s_and_saveexec_b32 s41, s40
	s_cbranch_execz .LBB6_368
	s_branch .LBB6_367
.LBB6_374:                              ;   in Loop: Header=BB6_361 Depth=1
	s_or_b32 exec_lo, exec_lo, s13
	s_xor_b32 s7, s23, -1
	s_delay_alu instid0(SALU_CYCLE_1) | instskip(NEXT) | instid1(SALU_CYCLE_1)
	s_and_saveexec_b32 s13, s7
	s_xor_b32 s7, exec_lo, s13
	s_cbranch_execz .LBB6_376
; %bb.375:                              ;   in Loop: Header=BB6_361 Depth=1
	v_or_b32_e32 v30, 64, v30
	s_wait_storecnt 0x0
	s_wait_loadcnt_dscnt 0x0
	ds_store_b32 v0, v9
	s_trap 2
.LBB6_376:                              ;   in Loop: Header=BB6_361 Depth=1
	s_or_b32 exec_lo, exec_lo, s7
.LBB6_377:                              ;   in Loop: Header=BB6_361 Depth=1
	s_delay_alu instid0(SALU_CYCLE_1) | instskip(SKIP_4) | instid1(VALU_DEP_2)
	s_or_b32 exec_lo, exec_lo, s12
	v_and_b32_e32 v9, 0x100, v30
	v_and_b32_e32 v52, 7, v8
	s_mov_b32 s7, -1
	;;#ASMSTART
	s_wakeup
	;;#ASMEND
	v_cmp_ne_u32_e32 vcc_lo, 0, v9
                                        ; implicit-def: $vgpr8_vgpr9
	s_and_saveexec_b32 s12, vcc_lo
	s_cbranch_execz .LBB6_381
; %bb.378:                              ;   in Loop: Header=BB6_361 Depth=1
	v_mad_nc_u64_u32 v[12:13], v52, 24, v[6:7]
	flat_load_b32 v8, v[12:13]
	s_wait_loadcnt_dscnt 0x0
	v_cmp_eq_u32_e64 s7, 1, v8
	v_cmp_ne_u32_e32 vcc_lo, 1, v8
                                        ; implicit-def: $vgpr8_vgpr9
	s_wait_xcnt 0x0
	s_and_saveexec_b32 s13, s7
	s_cbranch_execz .LBB6_380
; %bb.379:                              ;   in Loop: Header=BB6_361 Depth=1
	flat_load_b32 v8, v[12:13] offset:4 scope:SCOPE_SYS
	s_wait_loadcnt_dscnt 0x0
	v_ashrrev_i32_e32 v9, 31, v8
	s_delay_alu instid0(VALU_DEP_1)
	v_lshrrev_b64 v[8:9], 1, v[8:9]
.LBB6_380:                              ;   in Loop: Header=BB6_361 Depth=1
	s_wait_xcnt 0x0
	s_or_b32 exec_lo, exec_lo, s13
	s_delay_alu instid0(SALU_CYCLE_1)
	s_or_not1_b32 s7, vcc_lo, exec_lo
.LBB6_381:                              ;   in Loop: Header=BB6_361 Depth=1
	s_or_b32 exec_lo, exec_lo, s12
	s_and_saveexec_b32 s12, s7
; %bb.382:                              ;   in Loop: Header=BB6_361 Depth=1
	v_mul_u64_e32 v[8:9], v[52:53], v[34:35]
; %bb.383:                              ;   in Loop: Header=BB6_361 Depth=1
	s_or_b32 exec_lo, exec_lo, s12
	v_and_b32_e32 v12, 0x2000, v30
	s_delay_alu instid0(VALU_DEP_2)
	v_lshl_add_u64 v[8:9], v[8:9], 1, v[36:37]
	s_mov_b32 s7, exec_lo
	ds_store_b64 v0, v[8:9] offset:728
	v_cmpx_ne_u32_e32 0, v12
	s_cbranch_execz .LBB6_385
; %bb.384:                              ;   in Loop: Header=BB6_361 Depth=1
	ds_load_b64 v[8:9], v0 offset:872
	s_wait_dscnt 0x0
	v_add_nc_u64_e32 v[8:9], 1, v[8:9]
	ds_store_b64 v0, v[8:9] offset:872
.LBB6_385:                              ;   in Loop: Header=BB6_361 Depth=1
	s_or_b32 exec_lo, exec_lo, s7
	v_mov_b64_e32 v[8:9], v[10:11]
.LBB6_386:                              ;   in Loop: Header=BB6_361 Depth=1
	s_or_b32 exec_lo, exec_lo, s10
	s_and_saveexec_b32 s7, s2
	s_cbranch_execz .LBB6_405
; %bb.387:                              ;   in Loop: Header=BB6_361 Depth=1
	s_and_saveexec_b32 s10, s3
	s_delay_alu instid0(SALU_CYCLE_1)
	s_xor_b32 s10, exec_lo, s10
	s_cbranch_execz .LBB6_402
; %bb.388:                              ;   in Loop: Header=BB6_361 Depth=1
	s_and_saveexec_b32 s12, s4
	s_cbranch_execz .LBB6_401
; %bb.389:                              ;   in Loop: Header=BB6_361 Depth=1
	s_mov_b32 s23, exec_lo
	s_mov_b32 s13, exec_lo
	v_mbcnt_lo_u32_b32 v10, s23, 0
	global_wb scope:SCOPE_DEV
	s_wait_storecnt 0x0
	s_wait_loadcnt_dscnt 0x0
	global_inv scope:SCOPE_DEV
	v_cmpx_eq_u32_e32 0, v10
	s_cbranch_execz .LBB6_391
; %bb.390:                              ;   in Loop: Header=BB6_361 Depth=1
	s_bcnt1_i32_b32 s23, s23
	s_delay_alu instid0(SALU_CYCLE_1)
	v_mov_b32_e32 v52, s23
	s_wait_loadcnt 0x0
	ds_add_u64 v0, v[52:53]
	s_trap 2
.LBB6_391:                              ;   in Loop: Header=BB6_361 Depth=1
	s_or_b32 exec_lo, exec_lo, s13
	s_trap 2
	ds_load_b64 v[10:11], v0
	s_wait_dscnt 0x0
	v_add_nc_u64_e32 v[38:39], v[38:39], v[54:55]
	s_mov_b32 s13, exec_lo
	s_delay_alu instid0(VALU_DEP_1)
	v_cmpx_lt_u64_e64 v[10:11], v[38:39]
	s_cbranch_execz .LBB6_400
; %bb.392:                              ;   in Loop: Header=BB6_361 Depth=1
	s_mov_b32 s23, 0
	s_mov_b32 s26, 0
                                        ; implicit-def: $sgpr24
                                        ; implicit-def: $sgpr25
	s_branch .LBB6_394
.LBB6_393:                              ;   in Loop: Header=BB6_394 Depth=2
	s_or_b32 exec_lo, exec_lo, s28
	s_delay_alu instid0(SALU_CYCLE_1) | instskip(NEXT) | instid1(SALU_CYCLE_1)
	s_and_b32 s27, exec_lo, s29
	s_or_b32 s23, s27, s23
	s_and_not1_b32 s24, s24, exec_lo
	s_and_b32 s27, s25, exec_lo
	s_delay_alu instid0(SALU_CYCLE_1)
	s_or_b32 s24, s24, s27
	s_and_not1_b32 exec_lo, exec_lo, s23
	s_cbranch_execz .LBB6_398
.LBB6_394:                              ;   Parent Loop BB6_361 Depth=1
                                        ; =>  This Inner Loop Header: Depth=2
	s_add_co_i32 s26, s26, 1
	s_delay_alu instid0(SALU_CYCLE_1) | instskip(SKIP_1) | instid1(SALU_CYCLE_1)
	s_cmp_lg_u32 s26, 0x2710
	s_cselect_b32 s27, -1, 0
	s_and_b32 vcc_lo, exec_lo, s27
	s_cbranch_vccz .LBB6_396
; %bb.395:                              ;   in Loop: Header=BB6_394 Depth=2
	s_mov_b32 s29, -1
	s_or_b32 s25, s25, exec_lo
	s_and_saveexec_b32 s28, s27
	s_cbranch_execz .LBB6_393
	s_branch .LBB6_397
.LBB6_396:                              ;   in Loop: Header=BB6_394 Depth=2
	s_trap 2
	ds_load_b64 v[10:11], v0
	s_and_not1_b32 s27, s27, exec_lo
	s_mov_b32 s26, 0
	s_wait_loadcnt_dscnt 0x0
	flat_load_b32 v10, v[10:11] scope:SCOPE_SYS
	s_wait_loadcnt_dscnt 0x0
	global_inv scope:SCOPE_SYS
	v_cmp_eq_u32_e32 vcc_lo, 0, v10
	s_and_b32 s28, vcc_lo, exec_lo
	s_delay_alu instid0(SALU_CYCLE_1)
	s_or_b32 s27, s27, s28
	s_mov_b32 s29, -1
	s_or_b32 s25, s25, exec_lo
	s_and_saveexec_b32 s28, s27
	s_cbranch_execz .LBB6_393
.LBB6_397:                              ;   in Loop: Header=BB6_394 Depth=2
	s_sleep 1
	s_trap 2
	ds_load_b64 v[10:11], v0
	s_wait_dscnt 0x0
	s_and_not1_b32 s25, s25, exec_lo
	v_cmp_ge_u64_e32 vcc_lo, v[10:11], v[38:39]
	s_or_not1_b32 s29, vcc_lo, exec_lo
	s_branch .LBB6_393
.LBB6_398:                              ;   in Loop: Header=BB6_361 Depth=1
	s_or_b32 exec_lo, exec_lo, s23
	s_and_saveexec_b32 s23, s24
	s_delay_alu instid0(SALU_CYCLE_1)
	s_xor_b32 s23, exec_lo, s23
	s_cbranch_execz .LBB6_400
; %bb.399:                              ;   in Loop: Header=BB6_361 Depth=1
	ds_store_b32 v0, v112
	s_trap 2
.LBB6_400:                              ;   in Loop: Header=BB6_361 Depth=1
	s_or_b32 exec_lo, exec_lo, s13
	;;#ASMSTART
	s_wakeup
	;;#ASMEND
.LBB6_401:                              ;   in Loop: Header=BB6_361 Depth=1
	s_or_b32 exec_lo, exec_lo, s12
.LBB6_402:                              ;   in Loop: Header=BB6_361 Depth=1
	s_and_not1_saveexec_b32 s10, s10
	s_cbranch_execz .LBB6_404
; %bb.403:                              ;   in Loop: Header=BB6_361 Depth=1
	global_wb scope:SCOPE_DEV
	s_wait_storecnt 0x0
	s_wait_loadcnt_dscnt 0x0
	global_inv scope:SCOPE_DEV
	s_barrier_signal -1
	s_barrier_wait -1
.LBB6_404:                              ;   in Loop: Header=BB6_361 Depth=1
	s_or_b32 exec_lo, exec_lo, s10
.LBB6_405:                              ;   in Loop: Header=BB6_361 Depth=1
	s_delay_alu instid0(SALU_CYCLE_1) | instskip(SKIP_3) | instid1(VALU_DEP_1)
	s_or_b32 exec_lo, exec_lo, s7
	s_trap 2
	ds_load_b32 v10, v0
	v_and_b32_e32 v11, 0x4000, v30
	v_cmp_ne_u32_e32 vcc_lo, 0, v11
	s_and_b32 s10, s20, vcc_lo
	s_delay_alu instid0(SALU_CYCLE_1)
	s_and_saveexec_b32 s7, s10
	s_cbranch_execz .LBB6_424
; %bb.406:                              ;   in Loop: Header=BB6_361 Depth=1
	s_and_saveexec_b32 s10, s3
	s_delay_alu instid0(SALU_CYCLE_1)
	s_xor_b32 s10, exec_lo, s10
	s_cbranch_execz .LBB6_421
; %bb.407:                              ;   in Loop: Header=BB6_361 Depth=1
	s_and_saveexec_b32 s12, s4
	s_cbranch_execz .LBB6_420
; %bb.408:                              ;   in Loop: Header=BB6_361 Depth=1
	s_mov_b32 s23, exec_lo
	s_mov_b32 s13, exec_lo
	v_mbcnt_lo_u32_b32 v11, s23, 0
	global_wb scope:SCOPE_DEV
	s_wait_storecnt 0x0
	s_wait_loadcnt_dscnt 0x0
	global_inv scope:SCOPE_DEV
	v_cmpx_eq_u32_e32 0, v11
	s_cbranch_execz .LBB6_410
; %bb.409:                              ;   in Loop: Header=BB6_361 Depth=1
	s_bcnt1_i32_b32 s23, s23
	s_delay_alu instid0(SALU_CYCLE_1)
	v_mov_b32_e32 v52, s23
	s_wait_loadcnt 0x0
	ds_add_u64 v0, v[52:53]
	s_trap 2
.LBB6_410:                              ;   in Loop: Header=BB6_361 Depth=1
	s_or_b32 exec_lo, exec_lo, s13
	s_trap 2
	ds_load_b64 v[12:13], v0
	s_wait_dscnt 0x0
	v_add_nc_u64_e32 v[38:39], v[38:39], v[54:55]
	s_mov_b32 s13, exec_lo
	s_delay_alu instid0(VALU_DEP_1)
	v_cmpx_lt_u64_e64 v[12:13], v[38:39]
	s_cbranch_execz .LBB6_419
; %bb.411:                              ;   in Loop: Header=BB6_361 Depth=1
	s_mov_b32 s23, 0
	s_mov_b32 s26, 0
                                        ; implicit-def: $sgpr24
                                        ; implicit-def: $sgpr25
	s_branch .LBB6_413
.LBB6_412:                              ;   in Loop: Header=BB6_413 Depth=2
	s_or_b32 exec_lo, exec_lo, s28
	s_delay_alu instid0(SALU_CYCLE_1) | instskip(NEXT) | instid1(SALU_CYCLE_1)
	s_and_b32 s27, exec_lo, s29
	s_or_b32 s23, s27, s23
	s_and_not1_b32 s24, s24, exec_lo
	s_and_b32 s27, s25, exec_lo
	s_delay_alu instid0(SALU_CYCLE_1)
	s_or_b32 s24, s24, s27
	s_and_not1_b32 exec_lo, exec_lo, s23
	s_cbranch_execz .LBB6_417
.LBB6_413:                              ;   Parent Loop BB6_361 Depth=1
                                        ; =>  This Inner Loop Header: Depth=2
	s_add_co_i32 s26, s26, 1
	s_delay_alu instid0(SALU_CYCLE_1) | instskip(SKIP_1) | instid1(SALU_CYCLE_1)
	s_cmp_lg_u32 s26, 0x2710
	s_cselect_b32 s27, -1, 0
	s_and_b32 vcc_lo, exec_lo, s27
	s_cbranch_vccz .LBB6_415
; %bb.414:                              ;   in Loop: Header=BB6_413 Depth=2
	s_mov_b32 s29, -1
	s_or_b32 s25, s25, exec_lo
	s_and_saveexec_b32 s28, s27
	s_cbranch_execz .LBB6_412
	s_branch .LBB6_416
.LBB6_415:                              ;   in Loop: Header=BB6_413 Depth=2
	s_trap 2
	ds_load_b64 v[12:13], v0
	s_and_not1_b32 s27, s27, exec_lo
	s_mov_b32 s26, 0
	s_wait_loadcnt_dscnt 0x0
	flat_load_b32 v11, v[12:13] scope:SCOPE_SYS
	s_wait_loadcnt_dscnt 0x0
	global_inv scope:SCOPE_SYS
	v_cmp_eq_u32_e32 vcc_lo, 0, v11
	s_and_b32 s28, vcc_lo, exec_lo
	s_delay_alu instid0(SALU_CYCLE_1)
	s_or_b32 s27, s27, s28
	s_mov_b32 s29, -1
	s_or_b32 s25, s25, exec_lo
	s_and_saveexec_b32 s28, s27
	s_cbranch_execz .LBB6_412
.LBB6_416:                              ;   in Loop: Header=BB6_413 Depth=2
	s_sleep 1
	s_trap 2
	ds_load_b64 v[12:13], v0
	s_wait_dscnt 0x0
	s_and_not1_b32 s25, s25, exec_lo
	v_cmp_ge_u64_e32 vcc_lo, v[12:13], v[38:39]
	s_or_not1_b32 s29, vcc_lo, exec_lo
	s_branch .LBB6_412
.LBB6_417:                              ;   in Loop: Header=BB6_361 Depth=1
	s_or_b32 exec_lo, exec_lo, s23
	s_and_saveexec_b32 s23, s24
	s_delay_alu instid0(SALU_CYCLE_1)
	s_xor_b32 s23, exec_lo, s23
	s_cbranch_execz .LBB6_419
; %bb.418:                              ;   in Loop: Header=BB6_361 Depth=1
	ds_store_b32 v0, v112
	s_trap 2
.LBB6_419:                              ;   in Loop: Header=BB6_361 Depth=1
	s_or_b32 exec_lo, exec_lo, s13
	;;#ASMSTART
	s_wakeup
	;;#ASMEND
.LBB6_420:                              ;   in Loop: Header=BB6_361 Depth=1
	s_or_b32 exec_lo, exec_lo, s12
.LBB6_421:                              ;   in Loop: Header=BB6_361 Depth=1
	s_and_not1_saveexec_b32 s10, s10
	s_cbranch_execz .LBB6_423
; %bb.422:                              ;   in Loop: Header=BB6_361 Depth=1
	global_wb scope:SCOPE_DEV
	s_wait_storecnt 0x0
	s_wait_loadcnt_dscnt 0x0
	global_inv scope:SCOPE_DEV
	s_barrier_signal -1
	s_barrier_wait -1
.LBB6_423:                              ;   in Loop: Header=BB6_361 Depth=1
	s_or_b32 exec_lo, exec_lo, s10
.LBB6_424:                              ;   in Loop: Header=BB6_361 Depth=1
	s_delay_alu instid0(SALU_CYCLE_1)
	s_or_b32 exec_lo, exec_lo, s7
	s_trap 2
	ds_load_b64 v[84:85], v0
	v_min_u32_e32 v83, v83, v82
	s_wait_dscnt 0x0
	v_cmp_eq_u64_e32 vcc_lo, 0, v[84:85]
	s_cbranch_vccnz .LBB6_432
; %bb.425:                              ;   in Loop: Header=BB6_361 Depth=1
	s_trap 2
	ds_load_b64 v[86:87], v0
	s_wait_dscnt 0x0
	v_cmp_eq_u64_e32 vcc_lo, 0, v[86:87]
	s_cbranch_vccnz .LBB6_432
; %bb.426:                              ;   in Loop: Header=BB6_361 Depth=1
	s_trap 2
	ds_load_b64 v[12:13], v0
	s_mov_b32 s7, -1
	s_wait_dscnt 0x0
	v_readfirstlane_b32 s12, v12
	v_readfirstlane_b32 s13, v13
	s_and_saveexec_b32 s10, s5
	s_cbranch_execz .LBB6_428
; %bb.427:                              ;   in Loop: Header=BB6_361 Depth=1
	ds_load_b32 v11, v0 offset:720
	s_wait_dscnt 0x0
	v_and_b32_e32 v11, 15, v11
	s_delay_alu instid0(VALU_DEP_1)
	v_cmp_eq_u32_e32 vcc_lo, 0, v11
	s_or_not1_b32 s7, vcc_lo, exec_lo
.LBB6_428:                              ;   in Loop: Header=BB6_361 Depth=1
	s_or_b32 exec_lo, exec_lo, s10
	s_and_saveexec_b32 s10, s6
	s_cbranch_execz .LBB6_430
; %bb.429:                              ;   in Loop: Header=BB6_361 Depth=1
	ds_load_b32 v11, v0 offset:784
	s_wait_dscnt 0x0
	v_and_b32_e32 v11, 15, v11
	s_delay_alu instid0(VALU_DEP_1) | instskip(SKIP_3) | instid1(SALU_CYCLE_1)
	v_cmp_eq_u32_e32 vcc_lo, 0, v11
	s_and_b32 s23, s7, vcc_lo
	s_and_not1_b32 s7, s7, exec_lo
	s_and_b32 s23, s23, exec_lo
	s_or_b32 s7, s7, s23
.LBB6_430:                              ;   in Loop: Header=BB6_361 Depth=1
	s_or_b32 exec_lo, exec_lo, s10
	v_cmp_eq_u32_e32 vcc_lo, 0, v10
	s_xor_b32 s7, s7, -1
	v_mov_b32_e32 v16, 0
	v_cndmask_b32_e64 v11, 0, 1, s7
	s_mov_b32 s7, -1
	v_cndmask_b32_e32 v52, 0, v83, vcc_lo
	s_delay_alu instid0(VALU_DEP_2) | instskip(NEXT) | instid1(VALU_DEP_2)
	v_cmp_ne_u32_e32 vcc_lo, 0, v11
	v_lshlrev_b32_e32 v113, 1, v52
	s_cbranch_vccz .LBB6_433
; %bb.431:                              ;   in Loop: Header=BB6_361 Depth=1
	v_mov_b32_e32 v17, v0
	s_and_saveexec_b32 s10, s7
	s_cbranch_execnz .LBB6_540
	s_branch .LBB6_584
.LBB6_432:                              ;   in Loop: Header=BB6_361 Depth=1
	s_mov_b32 s7, 0
	s_and_saveexec_b32 s10, s2
	s_cbranch_execnz .LBB6_585
	s_branch .LBB6_603
.LBB6_433:                              ;   in Loop: Header=BB6_361 Depth=1
	v_lshrrev_b32_e32 v116, 9, v52
	s_mov_b32 s10, exec_lo
	s_delay_alu instid0(VALU_DEP_1) | instskip(NEXT) | instid1(VALU_DEP_1)
	v_sub_nc_u32_e32 v115, v116, v102
	v_cmpx_lt_i32_e32 0, v115
	s_cbranch_execz .LBB6_501
; %bb.434:                              ;   in Loop: Header=BB6_361 Depth=1
	s_trap 2
	ds_load_b64 v[10:11], v0
	v_add_nc_u64_e32 v[96:97], v[84:85], v[64:65]
	v_add_nc_u64_e32 v[100:101], v[86:87], v[64:65]
	s_bitcmp0_b64 s[12:13], 0
	s_mov_b32 s23, 0
	s_cselect_b32 vcc_lo, -1, 0
	s_wait_dscnt 0x0
	v_add_nc_u64_e32 v[98:99], v[10:11], v[64:65]
	s_branch .LBB6_436
.LBB6_435:                              ;   in Loop: Header=BB6_436 Depth=2
	s_or_b32 exec_lo, exec_lo, s24
	v_dual_lshrrev_b32 v17, 16, v22 :: v_dual_lshrrev_b32 v22, 16, v117
	v_dual_lshrrev_b32 v23, 16, v23 :: v_dual_lshrrev_b32 v14, 16, v14
	;; [unrolled: 1-line block ×3, first 2 shown]
	s_delay_alu instid0(VALU_DEP_3)
	v_and_or_b32 v19, 0xffff0000, v19, v17
	v_lshrrev_b32_e32 v17, 16, v24
	v_and_or_b32 v18, 0xffff0000, v18, v22
	v_lshrrev_b32_e32 v22, 16, v25
	v_and_or_b32 v20, 0xffff0000, v20, v23
	v_sub_nc_u32_e32 v115, v115, v54
	v_and_or_b32 v21, 0xffff0000, v21, v17
	v_and_or_b32 v11, 0xffff0000, v11, v14
	;; [unrolled: 1-line block ×5, first 2 shown]
	s_clause 0x1
	global_store_b128 v[100:101], v[18:21], off th:TH_STORE_NT
	global_store_b128 v[100:101], v[10:13], off offset:512 th:TH_STORE_NT
	v_add_nc_u64_e32 v[96:97], v[96:97], v[66:67]
	v_add_nc_u64_e32 v[98:99], v[98:99], v[66:67]
	v_cmp_gt_i32_e64 s7, 1, v115
	s_wait_xcnt 0x0
	v_add_nc_u64_e32 v[100:101], v[100:101], v[66:67]
	s_or_b32 s23, s7, s23
	s_delay_alu instid0(SALU_CYCLE_1)
	s_and_not1_b32 exec_lo, exec_lo, s23
	s_cbranch_execz .LBB6_500
.LBB6_436:                              ;   Parent Loop BB6_361 Depth=1
                                        ; =>  This Inner Loop Header: Depth=2
	global_load_b128 v[22:25], v[98:99], off th:TH_LOAD_NT
	s_clause 0x1
	global_load_b128 v[18:21], v[96:97], off th:TH_LOAD_NT
	global_load_b128 v[10:13], v[96:97], off offset:512 th:TH_LOAD_NT
	global_load_b128 v[14:17], v[98:99], off offset:512 th:TH_LOAD_NT
	s_wait_loadcnt 0x3
	v_lshlrev_b32_e32 v117, 16, v22
	s_wait_loadcnt 0x2
	s_delay_alu instid0(VALU_DEP_1) | instskip(NEXT) | instid1(VALU_DEP_1)
	v_dual_max_num_f32 v117, v117, v117 :: v_dual_lshlrev_b32 v118, 16, v18
	v_max_num_f32_e32 v118, v118, v118
	s_delay_alu instid0(VALU_DEP_1) | instskip(NEXT) | instid1(VALU_DEP_1)
	v_dual_min_num_f32 v119, v118, v117 :: v_dual_max_num_f32 v117, v118, v117
	v_cndmask_b32_e32 v118, v117, v119, vcc_lo
	s_delay_alu instid0(VALU_DEP_1) | instskip(NEXT) | instid1(VALU_DEP_1)
	v_and_b32_e32 v117, 0x7f800000, v118
	v_cmp_ne_u32_e64 s7, 0x7f800000, v117
                                        ; implicit-def: $vgpr117
	s_wait_xcnt 0x0
	s_and_saveexec_b32 s24, s7
	s_delay_alu instid0(SALU_CYCLE_1)
	s_xor_b32 s7, exec_lo, s24
; %bb.437:                              ;   in Loop: Header=BB6_436 Depth=2
	v_bfe_u32 v117, v118, 16, 1
	s_delay_alu instid0(VALU_DEP_1)
	v_add3_u32 v117, v118, v117, 0x7fff
                                        ; implicit-def: $vgpr118
; %bb.438:                              ;   in Loop: Header=BB6_436 Depth=2
	s_and_not1_saveexec_b32 s24, s7
; %bb.439:                              ;   in Loop: Header=BB6_436 Depth=2
	v_and_b32_e32 v117, 0xffff, v118
	v_or_b32_e32 v119, 0x10000, v118
	s_delay_alu instid0(VALU_DEP_2) | instskip(NEXT) | instid1(VALU_DEP_1)
	v_cmp_eq_u32_e64 s7, 0, v117
	v_cndmask_b32_e64 v117, v119, v118, s7
; %bb.440:                              ;   in Loop: Header=BB6_436 Depth=2
	s_or_b32 exec_lo, exec_lo, s24
	v_and_b32_e32 v22, 0xffff0000, v22
	v_and_b32_e32 v18, 0xffff0000, v18
	s_delay_alu instid0(VALU_DEP_2) | instskip(NEXT) | instid1(VALU_DEP_2)
	v_max_num_f32_e32 v22, v22, v22
	v_max_num_f32_e32 v18, v18, v18
	s_delay_alu instid0(VALU_DEP_1) | instskip(NEXT) | instid1(VALU_DEP_1)
	v_dual_min_num_f32 v118, v18, v22 :: v_dual_max_num_f32 v18, v18, v22
	v_cndmask_b32_e32 v22, v18, v118, vcc_lo
	s_delay_alu instid0(VALU_DEP_1) | instskip(NEXT) | instid1(VALU_DEP_1)
	v_and_b32_e32 v18, 0x7f800000, v22
	v_cmp_ne_u32_e64 s7, 0x7f800000, v18
                                        ; implicit-def: $vgpr18
	s_and_saveexec_b32 s24, s7
	s_delay_alu instid0(SALU_CYCLE_1)
	s_xor_b32 s7, exec_lo, s24
; %bb.441:                              ;   in Loop: Header=BB6_436 Depth=2
	v_bfe_u32 v18, v22, 16, 1
	s_delay_alu instid0(VALU_DEP_1)
	v_add3_u32 v18, v22, v18, 0x7fff
                                        ; implicit-def: $vgpr22
; %bb.442:                              ;   in Loop: Header=BB6_436 Depth=2
	s_and_not1_saveexec_b32 s24, s7
; %bb.443:                              ;   in Loop: Header=BB6_436 Depth=2
	v_and_b32_e32 v18, 0xffff, v22
	v_or_b32_e32 v118, 0x10000, v22
	s_delay_alu instid0(VALU_DEP_2) | instskip(NEXT) | instid1(VALU_DEP_1)
	v_cmp_eq_u32_e64 s7, 0, v18
	v_cndmask_b32_e64 v18, v118, v22, s7
; %bb.444:                              ;   in Loop: Header=BB6_436 Depth=2
	s_or_b32 exec_lo, exec_lo, s24
	v_lshlrev_b32_e32 v118, 16, v19
	s_delay_alu instid0(VALU_DEP_1) | instskip(NEXT) | instid1(VALU_DEP_1)
	v_dual_lshlrev_b32 v22, 16, v23 :: v_dual_max_num_f32 v118, v118, v118
	v_max_num_f32_e32 v22, v22, v22
	s_delay_alu instid0(VALU_DEP_1) | instskip(NEXT) | instid1(VALU_DEP_1)
	v_dual_min_num_f32 v119, v118, v22 :: v_dual_max_num_f32 v22, v118, v22
	v_cndmask_b32_e32 v118, v22, v119, vcc_lo
	s_delay_alu instid0(VALU_DEP_1) | instskip(NEXT) | instid1(VALU_DEP_1)
	v_and_b32_e32 v22, 0x7f800000, v118
	v_cmp_ne_u32_e64 s7, 0x7f800000, v22
                                        ; implicit-def: $vgpr22
	s_and_saveexec_b32 s24, s7
	s_delay_alu instid0(SALU_CYCLE_1)
	s_xor_b32 s7, exec_lo, s24
; %bb.445:                              ;   in Loop: Header=BB6_436 Depth=2
	v_bfe_u32 v22, v118, 16, 1
	s_delay_alu instid0(VALU_DEP_1)
	v_add3_u32 v22, v118, v22, 0x7fff
                                        ; implicit-def: $vgpr118
; %bb.446:                              ;   in Loop: Header=BB6_436 Depth=2
	s_and_not1_saveexec_b32 s24, s7
; %bb.447:                              ;   in Loop: Header=BB6_436 Depth=2
	v_and_b32_e32 v22, 0xffff, v118
	v_or_b32_e32 v119, 0x10000, v118
	s_delay_alu instid0(VALU_DEP_2) | instskip(NEXT) | instid1(VALU_DEP_1)
	v_cmp_eq_u32_e64 s7, 0, v22
	v_cndmask_b32_e64 v22, v119, v118, s7
; %bb.448:                              ;   in Loop: Header=BB6_436 Depth=2
	s_or_b32 exec_lo, exec_lo, s24
	v_and_b32_e32 v23, 0xffff0000, v23
	v_and_b32_e32 v19, 0xffff0000, v19
	s_delay_alu instid0(VALU_DEP_2) | instskip(NEXT) | instid1(VALU_DEP_2)
	v_max_num_f32_e32 v23, v23, v23
	v_max_num_f32_e32 v19, v19, v19
	s_delay_alu instid0(VALU_DEP_1) | instskip(NEXT) | instid1(VALU_DEP_1)
	v_dual_min_num_f32 v118, v19, v23 :: v_dual_max_num_f32 v19, v19, v23
	v_cndmask_b32_e32 v23, v19, v118, vcc_lo
	s_delay_alu instid0(VALU_DEP_1) | instskip(NEXT) | instid1(VALU_DEP_1)
	v_and_b32_e32 v19, 0x7f800000, v23
	v_cmp_ne_u32_e64 s7, 0x7f800000, v19
                                        ; implicit-def: $vgpr19
	s_and_saveexec_b32 s24, s7
	s_delay_alu instid0(SALU_CYCLE_1)
	s_xor_b32 s7, exec_lo, s24
; %bb.449:                              ;   in Loop: Header=BB6_436 Depth=2
	v_bfe_u32 v19, v23, 16, 1
	s_delay_alu instid0(VALU_DEP_1)
	v_add3_u32 v19, v23, v19, 0x7fff
                                        ; implicit-def: $vgpr23
; %bb.450:                              ;   in Loop: Header=BB6_436 Depth=2
	s_and_not1_saveexec_b32 s24, s7
; %bb.451:                              ;   in Loop: Header=BB6_436 Depth=2
	v_and_b32_e32 v19, 0xffff, v23
	v_or_b32_e32 v118, 0x10000, v23
	s_delay_alu instid0(VALU_DEP_2) | instskip(NEXT) | instid1(VALU_DEP_1)
	v_cmp_eq_u32_e64 s7, 0, v19
	v_cndmask_b32_e64 v19, v118, v23, s7
; %bb.452:                              ;   in Loop: Header=BB6_436 Depth=2
	s_or_b32 exec_lo, exec_lo, s24
	v_lshlrev_b32_e32 v118, 16, v20
	s_delay_alu instid0(VALU_DEP_1) | instskip(NEXT) | instid1(VALU_DEP_1)
	v_dual_max_num_f32 v118, v118, v118 :: v_dual_lshlrev_b32 v23, 16, v24
	v_max_num_f32_e32 v23, v23, v23
	s_delay_alu instid0(VALU_DEP_1) | instskip(NEXT) | instid1(VALU_DEP_1)
	v_dual_min_num_f32 v119, v118, v23 :: v_dual_max_num_f32 v23, v118, v23
	v_cndmask_b32_e32 v118, v23, v119, vcc_lo
	s_delay_alu instid0(VALU_DEP_1) | instskip(NEXT) | instid1(VALU_DEP_1)
	v_and_b32_e32 v23, 0x7f800000, v118
	v_cmp_ne_u32_e64 s7, 0x7f800000, v23
                                        ; implicit-def: $vgpr23
	s_and_saveexec_b32 s24, s7
	s_delay_alu instid0(SALU_CYCLE_1)
	s_xor_b32 s7, exec_lo, s24
; %bb.453:                              ;   in Loop: Header=BB6_436 Depth=2
	v_bfe_u32 v23, v118, 16, 1
	s_delay_alu instid0(VALU_DEP_1)
	v_add3_u32 v23, v118, v23, 0x7fff
                                        ; implicit-def: $vgpr118
; %bb.454:                              ;   in Loop: Header=BB6_436 Depth=2
	s_and_not1_saveexec_b32 s24, s7
; %bb.455:                              ;   in Loop: Header=BB6_436 Depth=2
	v_and_b32_e32 v23, 0xffff, v118
	v_or_b32_e32 v119, 0x10000, v118
	s_delay_alu instid0(VALU_DEP_2) | instskip(NEXT) | instid1(VALU_DEP_1)
	v_cmp_eq_u32_e64 s7, 0, v23
	v_cndmask_b32_e64 v23, v119, v118, s7
; %bb.456:                              ;   in Loop: Header=BB6_436 Depth=2
	s_or_b32 exec_lo, exec_lo, s24
	v_and_b32_e32 v24, 0xffff0000, v24
	v_and_b32_e32 v20, 0xffff0000, v20
	s_delay_alu instid0(VALU_DEP_2) | instskip(NEXT) | instid1(VALU_DEP_2)
	v_max_num_f32_e32 v24, v24, v24
	v_max_num_f32_e32 v20, v20, v20
	s_delay_alu instid0(VALU_DEP_1) | instskip(NEXT) | instid1(VALU_DEP_1)
	v_dual_min_num_f32 v118, v20, v24 :: v_dual_max_num_f32 v20, v20, v24
	v_cndmask_b32_e32 v24, v20, v118, vcc_lo
	s_delay_alu instid0(VALU_DEP_1) | instskip(NEXT) | instid1(VALU_DEP_1)
	v_and_b32_e32 v20, 0x7f800000, v24
	v_cmp_ne_u32_e64 s7, 0x7f800000, v20
                                        ; implicit-def: $vgpr20
	s_and_saveexec_b32 s24, s7
	s_delay_alu instid0(SALU_CYCLE_1)
	s_xor_b32 s7, exec_lo, s24
; %bb.457:                              ;   in Loop: Header=BB6_436 Depth=2
	v_bfe_u32 v20, v24, 16, 1
	s_delay_alu instid0(VALU_DEP_1)
	v_add3_u32 v20, v24, v20, 0x7fff
                                        ; implicit-def: $vgpr24
; %bb.458:                              ;   in Loop: Header=BB6_436 Depth=2
	s_and_not1_saveexec_b32 s24, s7
; %bb.459:                              ;   in Loop: Header=BB6_436 Depth=2
	v_and_b32_e32 v20, 0xffff, v24
	v_or_b32_e32 v118, 0x10000, v24
	s_delay_alu instid0(VALU_DEP_2) | instskip(NEXT) | instid1(VALU_DEP_1)
	v_cmp_eq_u32_e64 s7, 0, v20
	v_cndmask_b32_e64 v20, v118, v24, s7
; %bb.460:                              ;   in Loop: Header=BB6_436 Depth=2
	s_or_b32 exec_lo, exec_lo, s24
	v_lshlrev_b32_e32 v118, 16, v21
	s_delay_alu instid0(VALU_DEP_1) | instskip(NEXT) | instid1(VALU_DEP_1)
	v_dual_lshlrev_b32 v24, 16, v25 :: v_dual_max_num_f32 v118, v118, v118
	v_max_num_f32_e32 v24, v24, v24
	s_delay_alu instid0(VALU_DEP_1) | instskip(NEXT) | instid1(VALU_DEP_1)
	v_dual_min_num_f32 v119, v118, v24 :: v_dual_max_num_f32 v24, v118, v24
	v_cndmask_b32_e32 v118, v24, v119, vcc_lo
	s_delay_alu instid0(VALU_DEP_1) | instskip(NEXT) | instid1(VALU_DEP_1)
	v_and_b32_e32 v24, 0x7f800000, v118
	v_cmp_ne_u32_e64 s7, 0x7f800000, v24
                                        ; implicit-def: $vgpr24
	s_and_saveexec_b32 s24, s7
	s_delay_alu instid0(SALU_CYCLE_1)
	s_xor_b32 s7, exec_lo, s24
; %bb.461:                              ;   in Loop: Header=BB6_436 Depth=2
	v_bfe_u32 v24, v118, 16, 1
	s_delay_alu instid0(VALU_DEP_1)
	v_add3_u32 v24, v118, v24, 0x7fff
                                        ; implicit-def: $vgpr118
; %bb.462:                              ;   in Loop: Header=BB6_436 Depth=2
	s_and_not1_saveexec_b32 s24, s7
; %bb.463:                              ;   in Loop: Header=BB6_436 Depth=2
	v_and_b32_e32 v24, 0xffff, v118
	v_or_b32_e32 v119, 0x10000, v118
	s_delay_alu instid0(VALU_DEP_2) | instskip(NEXT) | instid1(VALU_DEP_1)
	v_cmp_eq_u32_e64 s7, 0, v24
	v_cndmask_b32_e64 v24, v119, v118, s7
; %bb.464:                              ;   in Loop: Header=BB6_436 Depth=2
	s_or_b32 exec_lo, exec_lo, s24
	v_and_b32_e32 v25, 0xffff0000, v25
	v_and_b32_e32 v21, 0xffff0000, v21
	s_delay_alu instid0(VALU_DEP_2) | instskip(NEXT) | instid1(VALU_DEP_2)
	v_max_num_f32_e32 v25, v25, v25
	v_max_num_f32_e32 v21, v21, v21
	s_delay_alu instid0(VALU_DEP_1) | instskip(NEXT) | instid1(VALU_DEP_1)
	v_dual_min_num_f32 v118, v21, v25 :: v_dual_max_num_f32 v21, v21, v25
	v_cndmask_b32_e32 v25, v21, v118, vcc_lo
	s_delay_alu instid0(VALU_DEP_1) | instskip(NEXT) | instid1(VALU_DEP_1)
	v_and_b32_e32 v21, 0x7f800000, v25
	v_cmp_ne_u32_e64 s7, 0x7f800000, v21
                                        ; implicit-def: $vgpr21
	s_and_saveexec_b32 s24, s7
	s_delay_alu instid0(SALU_CYCLE_1)
	s_xor_b32 s7, exec_lo, s24
; %bb.465:                              ;   in Loop: Header=BB6_436 Depth=2
	v_bfe_u32 v21, v25, 16, 1
	s_delay_alu instid0(VALU_DEP_1)
	v_add3_u32 v21, v25, v21, 0x7fff
                                        ; implicit-def: $vgpr25
; %bb.466:                              ;   in Loop: Header=BB6_436 Depth=2
	s_and_not1_saveexec_b32 s24, s7
; %bb.467:                              ;   in Loop: Header=BB6_436 Depth=2
	v_and_b32_e32 v21, 0xffff, v25
	v_or_b32_e32 v118, 0x10000, v25
	s_delay_alu instid0(VALU_DEP_2) | instskip(NEXT) | instid1(VALU_DEP_1)
	v_cmp_eq_u32_e64 s7, 0, v21
	v_cndmask_b32_e64 v21, v118, v25, s7
; %bb.468:                              ;   in Loop: Header=BB6_436 Depth=2
	s_or_b32 exec_lo, exec_lo, s24
	s_wait_loadcnt 0x0
	v_lshlrev_b32_e32 v25, 16, v14
	s_delay_alu instid0(VALU_DEP_1) | instskip(NEXT) | instid1(VALU_DEP_1)
	v_dual_max_num_f32 v25, v25, v25 :: v_dual_lshlrev_b32 v118, 16, v10
	v_max_num_f32_e32 v118, v118, v118
	s_delay_alu instid0(VALU_DEP_1) | instskip(NEXT) | instid1(VALU_DEP_1)
	v_dual_min_num_f32 v119, v118, v25 :: v_dual_max_num_f32 v25, v118, v25
	v_cndmask_b32_e32 v118, v25, v119, vcc_lo
	s_delay_alu instid0(VALU_DEP_1) | instskip(NEXT) | instid1(VALU_DEP_1)
	v_and_b32_e32 v25, 0x7f800000, v118
	v_cmp_ne_u32_e64 s7, 0x7f800000, v25
                                        ; implicit-def: $vgpr25
	s_and_saveexec_b32 s24, s7
	s_delay_alu instid0(SALU_CYCLE_1)
	s_xor_b32 s7, exec_lo, s24
; %bb.469:                              ;   in Loop: Header=BB6_436 Depth=2
	v_bfe_u32 v25, v118, 16, 1
	s_delay_alu instid0(VALU_DEP_1)
	v_add3_u32 v25, v118, v25, 0x7fff
                                        ; implicit-def: $vgpr118
; %bb.470:                              ;   in Loop: Header=BB6_436 Depth=2
	s_and_not1_saveexec_b32 s24, s7
; %bb.471:                              ;   in Loop: Header=BB6_436 Depth=2
	v_and_b32_e32 v25, 0xffff, v118
	v_or_b32_e32 v119, 0x10000, v118
	s_delay_alu instid0(VALU_DEP_2) | instskip(NEXT) | instid1(VALU_DEP_1)
	v_cmp_eq_u32_e64 s7, 0, v25
	v_cndmask_b32_e64 v25, v119, v118, s7
; %bb.472:                              ;   in Loop: Header=BB6_436 Depth=2
	s_or_b32 exec_lo, exec_lo, s24
	v_and_b32_e32 v14, 0xffff0000, v14
	v_and_b32_e32 v10, 0xffff0000, v10
	s_delay_alu instid0(VALU_DEP_2) | instskip(NEXT) | instid1(VALU_DEP_2)
	v_max_num_f32_e32 v14, v14, v14
	v_max_num_f32_e32 v10, v10, v10
	s_delay_alu instid0(VALU_DEP_1) | instskip(NEXT) | instid1(VALU_DEP_1)
	v_dual_min_num_f32 v118, v10, v14 :: v_dual_max_num_f32 v10, v10, v14
	v_cndmask_b32_e32 v14, v10, v118, vcc_lo
	s_delay_alu instid0(VALU_DEP_1) | instskip(NEXT) | instid1(VALU_DEP_1)
	v_and_b32_e32 v10, 0x7f800000, v14
	v_cmp_ne_u32_e64 s7, 0x7f800000, v10
                                        ; implicit-def: $vgpr10
	s_and_saveexec_b32 s24, s7
	s_delay_alu instid0(SALU_CYCLE_1)
	s_xor_b32 s7, exec_lo, s24
; %bb.473:                              ;   in Loop: Header=BB6_436 Depth=2
	v_bfe_u32 v10, v14, 16, 1
	s_delay_alu instid0(VALU_DEP_1)
	v_add3_u32 v10, v14, v10, 0x7fff
                                        ; implicit-def: $vgpr14
; %bb.474:                              ;   in Loop: Header=BB6_436 Depth=2
	s_and_not1_saveexec_b32 s24, s7
; %bb.475:                              ;   in Loop: Header=BB6_436 Depth=2
	v_and_b32_e32 v10, 0xffff, v14
	v_or_b32_e32 v118, 0x10000, v14
	s_delay_alu instid0(VALU_DEP_2) | instskip(NEXT) | instid1(VALU_DEP_1)
	v_cmp_eq_u32_e64 s7, 0, v10
	v_cndmask_b32_e64 v10, v118, v14, s7
; %bb.476:                              ;   in Loop: Header=BB6_436 Depth=2
	s_or_b32 exec_lo, exec_lo, s24
	v_lshlrev_b32_e32 v118, 16, v11
	s_delay_alu instid0(VALU_DEP_1) | instskip(NEXT) | instid1(VALU_DEP_1)
	v_dual_lshlrev_b32 v14, 16, v15 :: v_dual_max_num_f32 v118, v118, v118
	v_max_num_f32_e32 v14, v14, v14
	s_delay_alu instid0(VALU_DEP_1) | instskip(NEXT) | instid1(VALU_DEP_1)
	v_dual_min_num_f32 v119, v118, v14 :: v_dual_max_num_f32 v14, v118, v14
	v_cndmask_b32_e32 v118, v14, v119, vcc_lo
	s_delay_alu instid0(VALU_DEP_1) | instskip(NEXT) | instid1(VALU_DEP_1)
	v_and_b32_e32 v14, 0x7f800000, v118
	v_cmp_ne_u32_e64 s7, 0x7f800000, v14
                                        ; implicit-def: $vgpr14
	s_and_saveexec_b32 s24, s7
	s_delay_alu instid0(SALU_CYCLE_1)
	s_xor_b32 s7, exec_lo, s24
; %bb.477:                              ;   in Loop: Header=BB6_436 Depth=2
	v_bfe_u32 v14, v118, 16, 1
	s_delay_alu instid0(VALU_DEP_1)
	v_add3_u32 v14, v118, v14, 0x7fff
                                        ; implicit-def: $vgpr118
; %bb.478:                              ;   in Loop: Header=BB6_436 Depth=2
	s_and_not1_saveexec_b32 s24, s7
; %bb.479:                              ;   in Loop: Header=BB6_436 Depth=2
	v_and_b32_e32 v14, 0xffff, v118
	v_or_b32_e32 v119, 0x10000, v118
	s_delay_alu instid0(VALU_DEP_2) | instskip(NEXT) | instid1(VALU_DEP_1)
	v_cmp_eq_u32_e64 s7, 0, v14
	v_cndmask_b32_e64 v14, v119, v118, s7
; %bb.480:                              ;   in Loop: Header=BB6_436 Depth=2
	s_or_b32 exec_lo, exec_lo, s24
	v_and_b32_e32 v15, 0xffff0000, v15
	v_and_b32_e32 v11, 0xffff0000, v11
	s_delay_alu instid0(VALU_DEP_2) | instskip(NEXT) | instid1(VALU_DEP_2)
	v_max_num_f32_e32 v15, v15, v15
	v_max_num_f32_e32 v11, v11, v11
	s_delay_alu instid0(VALU_DEP_1) | instskip(NEXT) | instid1(VALU_DEP_1)
	v_dual_min_num_f32 v118, v11, v15 :: v_dual_max_num_f32 v11, v11, v15
	v_cndmask_b32_e32 v15, v11, v118, vcc_lo
	s_delay_alu instid0(VALU_DEP_1) | instskip(NEXT) | instid1(VALU_DEP_1)
	v_and_b32_e32 v11, 0x7f800000, v15
	v_cmp_ne_u32_e64 s7, 0x7f800000, v11
                                        ; implicit-def: $vgpr11
	s_and_saveexec_b32 s24, s7
	s_delay_alu instid0(SALU_CYCLE_1)
	s_xor_b32 s7, exec_lo, s24
; %bb.481:                              ;   in Loop: Header=BB6_436 Depth=2
	v_bfe_u32 v11, v15, 16, 1
	s_delay_alu instid0(VALU_DEP_1)
	v_add3_u32 v11, v15, v11, 0x7fff
                                        ; implicit-def: $vgpr15
; %bb.482:                              ;   in Loop: Header=BB6_436 Depth=2
	s_and_not1_saveexec_b32 s24, s7
; %bb.483:                              ;   in Loop: Header=BB6_436 Depth=2
	v_and_b32_e32 v11, 0xffff, v15
	v_or_b32_e32 v118, 0x10000, v15
	s_delay_alu instid0(VALU_DEP_2) | instskip(NEXT) | instid1(VALU_DEP_1)
	v_cmp_eq_u32_e64 s7, 0, v11
	v_cndmask_b32_e64 v11, v118, v15, s7
; %bb.484:                              ;   in Loop: Header=BB6_436 Depth=2
	s_or_b32 exec_lo, exec_lo, s24
	v_lshlrev_b32_e32 v118, 16, v12
	s_delay_alu instid0(VALU_DEP_1) | instskip(NEXT) | instid1(VALU_DEP_1)
	v_dual_max_num_f32 v118, v118, v118 :: v_dual_lshlrev_b32 v15, 16, v16
	v_max_num_f32_e32 v15, v15, v15
	s_delay_alu instid0(VALU_DEP_1) | instskip(NEXT) | instid1(VALU_DEP_1)
	v_dual_min_num_f32 v119, v118, v15 :: v_dual_max_num_f32 v15, v118, v15
	v_cndmask_b32_e32 v118, v15, v119, vcc_lo
	s_delay_alu instid0(VALU_DEP_1) | instskip(NEXT) | instid1(VALU_DEP_1)
	v_and_b32_e32 v15, 0x7f800000, v118
	v_cmp_ne_u32_e64 s7, 0x7f800000, v15
                                        ; implicit-def: $vgpr15
	s_and_saveexec_b32 s24, s7
	s_delay_alu instid0(SALU_CYCLE_1)
	s_xor_b32 s7, exec_lo, s24
; %bb.485:                              ;   in Loop: Header=BB6_436 Depth=2
	v_bfe_u32 v15, v118, 16, 1
	s_delay_alu instid0(VALU_DEP_1)
	v_add3_u32 v15, v118, v15, 0x7fff
                                        ; implicit-def: $vgpr118
; %bb.486:                              ;   in Loop: Header=BB6_436 Depth=2
	s_and_not1_saveexec_b32 s24, s7
; %bb.487:                              ;   in Loop: Header=BB6_436 Depth=2
	v_and_b32_e32 v15, 0xffff, v118
	v_or_b32_e32 v119, 0x10000, v118
	s_delay_alu instid0(VALU_DEP_2) | instskip(NEXT) | instid1(VALU_DEP_1)
	v_cmp_eq_u32_e64 s7, 0, v15
	v_cndmask_b32_e64 v15, v119, v118, s7
; %bb.488:                              ;   in Loop: Header=BB6_436 Depth=2
	s_or_b32 exec_lo, exec_lo, s24
	v_and_b32_e32 v16, 0xffff0000, v16
	v_and_b32_e32 v12, 0xffff0000, v12
	s_delay_alu instid0(VALU_DEP_2) | instskip(NEXT) | instid1(VALU_DEP_2)
	v_max_num_f32_e32 v16, v16, v16
	v_max_num_f32_e32 v12, v12, v12
	s_delay_alu instid0(VALU_DEP_1) | instskip(NEXT) | instid1(VALU_DEP_1)
	v_dual_min_num_f32 v118, v12, v16 :: v_dual_max_num_f32 v12, v12, v16
	v_cndmask_b32_e32 v16, v12, v118, vcc_lo
	s_delay_alu instid0(VALU_DEP_1) | instskip(NEXT) | instid1(VALU_DEP_1)
	v_and_b32_e32 v12, 0x7f800000, v16
	v_cmp_ne_u32_e64 s7, 0x7f800000, v12
                                        ; implicit-def: $vgpr12
	s_and_saveexec_b32 s24, s7
	s_delay_alu instid0(SALU_CYCLE_1)
	s_xor_b32 s7, exec_lo, s24
; %bb.489:                              ;   in Loop: Header=BB6_436 Depth=2
	v_bfe_u32 v12, v16, 16, 1
	s_delay_alu instid0(VALU_DEP_1)
	v_add3_u32 v12, v16, v12, 0x7fff
                                        ; implicit-def: $vgpr16
; %bb.490:                              ;   in Loop: Header=BB6_436 Depth=2
	s_and_not1_saveexec_b32 s24, s7
; %bb.491:                              ;   in Loop: Header=BB6_436 Depth=2
	v_and_b32_e32 v12, 0xffff, v16
	v_or_b32_e32 v118, 0x10000, v16
	s_delay_alu instid0(VALU_DEP_2) | instskip(NEXT) | instid1(VALU_DEP_1)
	v_cmp_eq_u32_e64 s7, 0, v12
	v_cndmask_b32_e64 v12, v118, v16, s7
; %bb.492:                              ;   in Loop: Header=BB6_436 Depth=2
	s_or_b32 exec_lo, exec_lo, s24
	v_lshlrev_b32_e32 v118, 16, v13
	s_delay_alu instid0(VALU_DEP_1) | instskip(NEXT) | instid1(VALU_DEP_1)
	v_dual_lshlrev_b32 v16, 16, v17 :: v_dual_max_num_f32 v118, v118, v118
	v_max_num_f32_e32 v16, v16, v16
	s_delay_alu instid0(VALU_DEP_1) | instskip(NEXT) | instid1(VALU_DEP_1)
	v_dual_min_num_f32 v119, v118, v16 :: v_dual_max_num_f32 v16, v118, v16
	v_cndmask_b32_e32 v118, v16, v119, vcc_lo
	s_delay_alu instid0(VALU_DEP_1) | instskip(NEXT) | instid1(VALU_DEP_1)
	v_and_b32_e32 v16, 0x7f800000, v118
	v_cmp_ne_u32_e64 s7, 0x7f800000, v16
                                        ; implicit-def: $vgpr16
	s_and_saveexec_b32 s24, s7
	s_delay_alu instid0(SALU_CYCLE_1)
	s_xor_b32 s7, exec_lo, s24
; %bb.493:                              ;   in Loop: Header=BB6_436 Depth=2
	v_bfe_u32 v16, v118, 16, 1
	s_delay_alu instid0(VALU_DEP_1)
	v_add3_u32 v16, v118, v16, 0x7fff
                                        ; implicit-def: $vgpr118
; %bb.494:                              ;   in Loop: Header=BB6_436 Depth=2
	s_and_not1_saveexec_b32 s24, s7
; %bb.495:                              ;   in Loop: Header=BB6_436 Depth=2
	v_and_b32_e32 v16, 0xffff, v118
	v_or_b32_e32 v119, 0x10000, v118
	s_delay_alu instid0(VALU_DEP_2) | instskip(NEXT) | instid1(VALU_DEP_1)
	v_cmp_eq_u32_e64 s7, 0, v16
	v_cndmask_b32_e64 v16, v119, v118, s7
; %bb.496:                              ;   in Loop: Header=BB6_436 Depth=2
	s_or_b32 exec_lo, exec_lo, s24
	v_and_b32_e32 v17, 0xffff0000, v17
	v_and_b32_e32 v13, 0xffff0000, v13
	s_delay_alu instid0(VALU_DEP_2) | instskip(NEXT) | instid1(VALU_DEP_2)
	v_max_num_f32_e32 v17, v17, v17
	v_max_num_f32_e32 v13, v13, v13
	s_delay_alu instid0(VALU_DEP_1) | instskip(NEXT) | instid1(VALU_DEP_1)
	v_dual_min_num_f32 v118, v13, v17 :: v_dual_max_num_f32 v13, v13, v17
	v_cndmask_b32_e32 v17, v13, v118, vcc_lo
	s_delay_alu instid0(VALU_DEP_1) | instskip(NEXT) | instid1(VALU_DEP_1)
	v_and_b32_e32 v13, 0x7f800000, v17
	v_cmp_ne_u32_e64 s7, 0x7f800000, v13
                                        ; implicit-def: $vgpr13
	s_and_saveexec_b32 s24, s7
	s_delay_alu instid0(SALU_CYCLE_1)
	s_xor_b32 s7, exec_lo, s24
; %bb.497:                              ;   in Loop: Header=BB6_436 Depth=2
	v_bfe_u32 v13, v17, 16, 1
	s_delay_alu instid0(VALU_DEP_1)
	v_add3_u32 v13, v17, v13, 0x7fff
                                        ; implicit-def: $vgpr17
; %bb.498:                              ;   in Loop: Header=BB6_436 Depth=2
	s_and_not1_saveexec_b32 s24, s7
	s_cbranch_execz .LBB6_435
; %bb.499:                              ;   in Loop: Header=BB6_436 Depth=2
	v_and_b32_e32 v13, 0xffff, v17
	v_or_b32_e32 v118, 0x10000, v17
	s_delay_alu instid0(VALU_DEP_2) | instskip(NEXT) | instid1(VALU_DEP_1)
	v_cmp_eq_u32_e64 s7, 0, v13
	v_cndmask_b32_e64 v13, v118, v17, s7
	s_branch .LBB6_435
.LBB6_500:                              ;   in Loop: Header=BB6_361 Depth=1
	s_or_b32 exec_lo, exec_lo, s23
.LBB6_501:                              ;   in Loop: Header=BB6_361 Depth=1
	s_delay_alu instid0(SALU_CYCLE_1) | instskip(SKIP_3) | instid1(VALU_DEP_1)
	s_or_b32 exec_lo, exec_lo, s10
	v_dual_lshlrev_b32 v24, 10, v116 :: v_dual_mov_b32 v16, 0
	s_mov_b32 s7, 0
	s_mov_b32 s23, exec_lo
                                        ; implicit-def: $vgpr17
	v_cmpx_ne_u32_e64 v113, v24
	s_cbranch_execz .LBB6_539
; %bb.502:                              ;   in Loop: Header=BB6_361 Depth=1
	v_dual_lshlrev_b32 v10, 5, v115 :: v_dual_sub_nc_u32 v12, v113, v24
	s_mov_b32 s24, exec_lo
	s_delay_alu instid0(VALU_DEP_1) | instskip(NEXT) | instid1(VALU_DEP_1)
	v_dual_sub_nc_u32 v10, v103, v10 :: v_dual_ashrrev_i32 v13, 31, v12
	v_dual_ashrrev_i32 v11, 31, v10 :: v_dual_lshrrev_b32 v13, 23, v13
	s_delay_alu instid0(VALU_DEP_1) | instskip(NEXT) | instid1(VALU_DEP_1)
	v_lshrrev_b32_e32 v11, 27, v11
	v_add_nc_u32_e32 v11, v10, v11
	s_delay_alu instid0(VALU_DEP_1) | instskip(NEXT) | instid1(VALU_DEP_1)
	v_and_b32_e32 v14, 0xffffffe0, v11
	v_dual_add_nc_u32 v13, v12, v13 :: v_dual_sub_nc_u32 v25, v10, v14
	s_delay_alu instid0(VALU_DEP_1) | instskip(SKIP_1) | instid1(VALU_DEP_2)
	v_and_b32_e32 v96, 0xfffffe00, v13
	v_dual_ashrrev_i32 v11, 5, v11 :: v_dual_ashrrev_i32 v13, 9, v13
	v_dual_lshlrev_b32 v10, 4, v25 :: v_dual_sub_nc_u32 v97, v12, v96
	s_delay_alu instid0(VALU_DEP_1) | instskip(NEXT) | instid1(VALU_DEP_2)
	v_lshl_add_u32 v10, v11, 9, v10
	v_cmp_lt_i32_e32 vcc_lo, 15, v97
	s_delay_alu instid0(VALU_DEP_4) | instskip(NEXT) | instid1(VALU_DEP_1)
	v_add_co_ci_u32_e64 v13, null, 0, v13, vcc_lo
	v_dual_sub_nc_u32 v99, v12, v10 :: v_dual_sub_nc_u32 v98, v13, v11
	s_delay_alu instid0(VALU_DEP_1)
	v_cmpx_lt_i32_e32 15, v99
	s_cbranch_execz .LBB6_538
; %bb.503:                              ;   in Loop: Header=BB6_361 Depth=1
	s_trap 2
	ds_load_b64 v[12:13], v0
	v_add_nc_u32_e32 v10, v10, v24
	s_bitcmp0_b64 s[12:13], 0
	s_mov_b32 s25, 0
	s_cselect_b32 s7, -1, 0
	s_delay_alu instid0(VALU_DEP_1) | instskip(NEXT) | instid1(VALU_DEP_1)
	v_ashrrev_i32_e32 v11, 31, v10
	v_add_nc_u64_e32 v[18:19], v[10:11], v[84:85]
	v_add_nc_u64_e32 v[22:23], v[10:11], v[86:87]
	s_wait_dscnt 0x0
	v_add_nc_u64_e32 v[20:21], v[12:13], v[10:11]
	s_branch .LBB6_505
.LBB6_504:                              ;   in Loop: Header=BB6_505 Depth=2
	s_or_b32 exec_lo, exec_lo, s26
	v_dual_lshrrev_b32 v14, 16, v14 :: v_dual_lshrrev_b32 v17, 16, v100
	v_dual_lshrrev_b32 v15, 16, v15 :: v_dual_lshrrev_b32 v16, 16, v16
	v_dual_sub_nc_u32 v99, v99, v68 :: v_dual_sub_nc_u32 v98, v98, v54
	s_delay_alu instid0(VALU_DEP_3) | instskip(NEXT) | instid1(VALU_DEP_4)
	v_and_or_b32 v11, 0xffff0000, v11, v14
	v_and_or_b32 v10, 0xffff0000, v10, v17
	s_delay_alu instid0(VALU_DEP_4)
	v_and_or_b32 v12, 0xffff0000, v12, v15
	v_and_or_b32 v13, 0xffff0000, v13, v16
	v_add_nc_u64_e32 v[18:19], v[18:19], v[68:69]
	v_add_nc_u64_e32 v[20:21], v[20:21], v[68:69]
	v_cmp_gt_i32_e64 s10, 16, v99
	global_store_b128 v[22:23], v[10:13], off th:TH_STORE_NT
	s_wait_xcnt 0x0
	v_add_nc_u64_e32 v[22:23], v[22:23], v[68:69]
	s_or_b32 s25, s10, s25
	s_delay_alu instid0(SALU_CYCLE_1)
	s_and_not1_b32 exec_lo, exec_lo, s25
	s_cbranch_execz .LBB6_537
.LBB6_505:                              ;   Parent Loop BB6_361 Depth=1
                                        ; =>  This Inner Loop Header: Depth=2
	global_load_b128 v[14:17], v[20:21], off th:TH_LOAD_NT
	global_load_b128 v[10:13], v[18:19], off th:TH_LOAD_NT
	s_wait_loadcnt 0x0
	v_lshlrev_b32_e32 v101, 16, v10
	s_delay_alu instid0(VALU_DEP_1) | instskip(NEXT) | instid1(VALU_DEP_1)
	v_dual_max_num_f32 v101, v101, v101 :: v_dual_lshlrev_b32 v100, 16, v14
	v_max_num_f32_e32 v100, v100, v100
	s_delay_alu instid0(VALU_DEP_1) | instskip(NEXT) | instid1(VALU_DEP_1)
	v_dual_min_num_f32 v115, v101, v100 :: v_dual_max_num_f32 v100, v101, v100
	v_cndmask_b32_e64 v101, v100, v115, s7
	s_delay_alu instid0(VALU_DEP_1) | instskip(NEXT) | instid1(VALU_DEP_1)
	v_and_b32_e32 v100, 0x7f800000, v101
	v_cmp_ne_u32_e64 s10, 0x7f800000, v100
                                        ; implicit-def: $vgpr100
	s_wait_xcnt 0x0
	s_and_saveexec_b32 s26, s10
	s_delay_alu instid0(SALU_CYCLE_1)
	s_xor_b32 s10, exec_lo, s26
; %bb.506:                              ;   in Loop: Header=BB6_505 Depth=2
	v_bfe_u32 v100, v101, 16, 1
	s_delay_alu instid0(VALU_DEP_1)
	v_add3_u32 v100, v101, v100, 0x7fff
                                        ; implicit-def: $vgpr101
; %bb.507:                              ;   in Loop: Header=BB6_505 Depth=2
	s_and_not1_saveexec_b32 s26, s10
; %bb.508:                              ;   in Loop: Header=BB6_505 Depth=2
	v_and_b32_e32 v100, 0xffff, v101
	v_or_b32_e32 v115, 0x10000, v101
	s_delay_alu instid0(VALU_DEP_2) | instskip(NEXT) | instid1(VALU_DEP_1)
	v_cmp_eq_u32_e64 s10, 0, v100
	v_cndmask_b32_e64 v100, v115, v101, s10
; %bb.509:                              ;   in Loop: Header=BB6_505 Depth=2
	s_or_b32 exec_lo, exec_lo, s26
	v_and_b32_e32 v14, 0xffff0000, v14
	v_and_b32_e32 v10, 0xffff0000, v10
	s_delay_alu instid0(VALU_DEP_2) | instskip(NEXT) | instid1(VALU_DEP_2)
	v_max_num_f32_e32 v14, v14, v14
	v_max_num_f32_e32 v10, v10, v10
	s_delay_alu instid0(VALU_DEP_1) | instskip(NEXT) | instid1(VALU_DEP_1)
	v_dual_min_num_f32 v101, v10, v14 :: v_dual_max_num_f32 v10, v10, v14
	v_cndmask_b32_e64 v14, v10, v101, s7
	s_delay_alu instid0(VALU_DEP_1) | instskip(NEXT) | instid1(VALU_DEP_1)
	v_and_b32_e32 v10, 0x7f800000, v14
	v_cmp_ne_u32_e64 s10, 0x7f800000, v10
                                        ; implicit-def: $vgpr10
	s_and_saveexec_b32 s26, s10
	s_delay_alu instid0(SALU_CYCLE_1)
	s_xor_b32 s10, exec_lo, s26
; %bb.510:                              ;   in Loop: Header=BB6_505 Depth=2
	v_bfe_u32 v10, v14, 16, 1
	s_delay_alu instid0(VALU_DEP_1)
	v_add3_u32 v10, v14, v10, 0x7fff
                                        ; implicit-def: $vgpr14
; %bb.511:                              ;   in Loop: Header=BB6_505 Depth=2
	s_and_not1_saveexec_b32 s26, s10
; %bb.512:                              ;   in Loop: Header=BB6_505 Depth=2
	v_and_b32_e32 v10, 0xffff, v14
	v_or_b32_e32 v101, 0x10000, v14
	s_delay_alu instid0(VALU_DEP_2) | instskip(NEXT) | instid1(VALU_DEP_1)
	v_cmp_eq_u32_e64 s10, 0, v10
	v_cndmask_b32_e64 v10, v101, v14, s10
; %bb.513:                              ;   in Loop: Header=BB6_505 Depth=2
	s_or_b32 exec_lo, exec_lo, s26
	v_lshlrev_b32_e32 v101, 16, v11
	s_delay_alu instid0(VALU_DEP_1) | instskip(NEXT) | instid1(VALU_DEP_1)
	v_dual_max_num_f32 v101, v101, v101 :: v_dual_lshlrev_b32 v14, 16, v15
	v_max_num_f32_e32 v14, v14, v14
	s_delay_alu instid0(VALU_DEP_1) | instskip(NEXT) | instid1(VALU_DEP_1)
	v_dual_min_num_f32 v115, v101, v14 :: v_dual_max_num_f32 v14, v101, v14
	v_cndmask_b32_e64 v101, v14, v115, s7
	s_delay_alu instid0(VALU_DEP_1) | instskip(NEXT) | instid1(VALU_DEP_1)
	v_and_b32_e32 v14, 0x7f800000, v101
	v_cmp_ne_u32_e64 s10, 0x7f800000, v14
                                        ; implicit-def: $vgpr14
	s_and_saveexec_b32 s26, s10
	s_delay_alu instid0(SALU_CYCLE_1)
	s_xor_b32 s10, exec_lo, s26
; %bb.514:                              ;   in Loop: Header=BB6_505 Depth=2
	v_bfe_u32 v14, v101, 16, 1
	s_delay_alu instid0(VALU_DEP_1)
	v_add3_u32 v14, v101, v14, 0x7fff
                                        ; implicit-def: $vgpr101
; %bb.515:                              ;   in Loop: Header=BB6_505 Depth=2
	s_and_not1_saveexec_b32 s26, s10
; %bb.516:                              ;   in Loop: Header=BB6_505 Depth=2
	v_and_b32_e32 v14, 0xffff, v101
	v_or_b32_e32 v115, 0x10000, v101
	s_delay_alu instid0(VALU_DEP_2) | instskip(NEXT) | instid1(VALU_DEP_1)
	v_cmp_eq_u32_e64 s10, 0, v14
	v_cndmask_b32_e64 v14, v115, v101, s10
; %bb.517:                              ;   in Loop: Header=BB6_505 Depth=2
	s_or_b32 exec_lo, exec_lo, s26
	v_and_b32_e32 v15, 0xffff0000, v15
	v_and_b32_e32 v11, 0xffff0000, v11
	s_delay_alu instid0(VALU_DEP_2) | instskip(NEXT) | instid1(VALU_DEP_2)
	v_max_num_f32_e32 v15, v15, v15
	v_max_num_f32_e32 v11, v11, v11
	s_delay_alu instid0(VALU_DEP_1) | instskip(NEXT) | instid1(VALU_DEP_1)
	v_dual_min_num_f32 v101, v11, v15 :: v_dual_max_num_f32 v11, v11, v15
	v_cndmask_b32_e64 v15, v11, v101, s7
	s_delay_alu instid0(VALU_DEP_1) | instskip(NEXT) | instid1(VALU_DEP_1)
	v_and_b32_e32 v11, 0x7f800000, v15
	v_cmp_ne_u32_e64 s10, 0x7f800000, v11
                                        ; implicit-def: $vgpr11
	s_and_saveexec_b32 s26, s10
	s_delay_alu instid0(SALU_CYCLE_1)
	s_xor_b32 s10, exec_lo, s26
; %bb.518:                              ;   in Loop: Header=BB6_505 Depth=2
	v_bfe_u32 v11, v15, 16, 1
	s_delay_alu instid0(VALU_DEP_1)
	v_add3_u32 v11, v15, v11, 0x7fff
                                        ; implicit-def: $vgpr15
; %bb.519:                              ;   in Loop: Header=BB6_505 Depth=2
	s_and_not1_saveexec_b32 s26, s10
; %bb.520:                              ;   in Loop: Header=BB6_505 Depth=2
	v_and_b32_e32 v11, 0xffff, v15
	v_or_b32_e32 v101, 0x10000, v15
	s_delay_alu instid0(VALU_DEP_2) | instskip(NEXT) | instid1(VALU_DEP_1)
	v_cmp_eq_u32_e64 s10, 0, v11
	v_cndmask_b32_e64 v11, v101, v15, s10
; %bb.521:                              ;   in Loop: Header=BB6_505 Depth=2
	s_or_b32 exec_lo, exec_lo, s26
	v_lshlrev_b32_e32 v101, 16, v12
	s_delay_alu instid0(VALU_DEP_1) | instskip(NEXT) | instid1(VALU_DEP_1)
	v_dual_lshlrev_b32 v15, 16, v16 :: v_dual_max_num_f32 v101, v101, v101
	v_max_num_f32_e32 v15, v15, v15
	s_delay_alu instid0(VALU_DEP_1) | instskip(NEXT) | instid1(VALU_DEP_1)
	v_dual_min_num_f32 v115, v101, v15 :: v_dual_max_num_f32 v15, v101, v15
	v_cndmask_b32_e64 v101, v15, v115, s7
	s_delay_alu instid0(VALU_DEP_1) | instskip(NEXT) | instid1(VALU_DEP_1)
	v_and_b32_e32 v15, 0x7f800000, v101
	v_cmp_ne_u32_e64 s10, 0x7f800000, v15
                                        ; implicit-def: $vgpr15
	s_and_saveexec_b32 s26, s10
	s_delay_alu instid0(SALU_CYCLE_1)
	s_xor_b32 s10, exec_lo, s26
; %bb.522:                              ;   in Loop: Header=BB6_505 Depth=2
	v_bfe_u32 v15, v101, 16, 1
	s_delay_alu instid0(VALU_DEP_1)
	v_add3_u32 v15, v101, v15, 0x7fff
                                        ; implicit-def: $vgpr101
; %bb.523:                              ;   in Loop: Header=BB6_505 Depth=2
	s_and_not1_saveexec_b32 s26, s10
; %bb.524:                              ;   in Loop: Header=BB6_505 Depth=2
	v_and_b32_e32 v15, 0xffff, v101
	v_or_b32_e32 v115, 0x10000, v101
	s_delay_alu instid0(VALU_DEP_2) | instskip(NEXT) | instid1(VALU_DEP_1)
	v_cmp_eq_u32_e64 s10, 0, v15
	v_cndmask_b32_e64 v15, v115, v101, s10
; %bb.525:                              ;   in Loop: Header=BB6_505 Depth=2
	s_or_b32 exec_lo, exec_lo, s26
	v_and_b32_e32 v16, 0xffff0000, v16
	v_and_b32_e32 v12, 0xffff0000, v12
	s_delay_alu instid0(VALU_DEP_2) | instskip(NEXT) | instid1(VALU_DEP_2)
	v_max_num_f32_e32 v16, v16, v16
	v_max_num_f32_e32 v12, v12, v12
	s_delay_alu instid0(VALU_DEP_1) | instskip(NEXT) | instid1(VALU_DEP_1)
	v_dual_min_num_f32 v101, v12, v16 :: v_dual_max_num_f32 v12, v12, v16
	v_cndmask_b32_e64 v16, v12, v101, s7
	s_delay_alu instid0(VALU_DEP_1) | instskip(NEXT) | instid1(VALU_DEP_1)
	v_and_b32_e32 v12, 0x7f800000, v16
	v_cmp_ne_u32_e64 s10, 0x7f800000, v12
                                        ; implicit-def: $vgpr12
	s_and_saveexec_b32 s26, s10
	s_delay_alu instid0(SALU_CYCLE_1)
	s_xor_b32 s10, exec_lo, s26
; %bb.526:                              ;   in Loop: Header=BB6_505 Depth=2
	v_bfe_u32 v12, v16, 16, 1
	s_delay_alu instid0(VALU_DEP_1)
	v_add3_u32 v12, v16, v12, 0x7fff
                                        ; implicit-def: $vgpr16
; %bb.527:                              ;   in Loop: Header=BB6_505 Depth=2
	s_and_not1_saveexec_b32 s26, s10
; %bb.528:                              ;   in Loop: Header=BB6_505 Depth=2
	v_and_b32_e32 v12, 0xffff, v16
	v_or_b32_e32 v101, 0x10000, v16
	s_delay_alu instid0(VALU_DEP_2) | instskip(NEXT) | instid1(VALU_DEP_1)
	v_cmp_eq_u32_e64 s10, 0, v12
	v_cndmask_b32_e64 v12, v101, v16, s10
; %bb.529:                              ;   in Loop: Header=BB6_505 Depth=2
	s_or_b32 exec_lo, exec_lo, s26
	v_lshlrev_b32_e32 v16, 16, v17
	s_delay_alu instid0(VALU_DEP_1) | instskip(NEXT) | instid1(VALU_DEP_1)
	v_dual_max_num_f32 v16, v16, v16 :: v_dual_lshlrev_b32 v101, 16, v13
	v_max_num_f32_e32 v101, v101, v101
	s_delay_alu instid0(VALU_DEP_1) | instskip(NEXT) | instid1(VALU_DEP_1)
	v_dual_min_num_f32 v115, v101, v16 :: v_dual_max_num_f32 v16, v101, v16
	v_cndmask_b32_e64 v101, v16, v115, s7
	s_delay_alu instid0(VALU_DEP_1) | instskip(NEXT) | instid1(VALU_DEP_1)
	v_and_b32_e32 v16, 0x7f800000, v101
	v_cmp_ne_u32_e64 s10, 0x7f800000, v16
                                        ; implicit-def: $vgpr16
	s_and_saveexec_b32 s26, s10
	s_delay_alu instid0(SALU_CYCLE_1)
	s_xor_b32 s10, exec_lo, s26
; %bb.530:                              ;   in Loop: Header=BB6_505 Depth=2
	v_bfe_u32 v16, v101, 16, 1
	s_delay_alu instid0(VALU_DEP_1)
	v_add3_u32 v16, v101, v16, 0x7fff
                                        ; implicit-def: $vgpr101
; %bb.531:                              ;   in Loop: Header=BB6_505 Depth=2
	s_and_not1_saveexec_b32 s26, s10
; %bb.532:                              ;   in Loop: Header=BB6_505 Depth=2
	v_and_b32_e32 v16, 0xffff, v101
	v_or_b32_e32 v115, 0x10000, v101
	s_delay_alu instid0(VALU_DEP_2) | instskip(NEXT) | instid1(VALU_DEP_1)
	v_cmp_eq_u32_e64 s10, 0, v16
	v_cndmask_b32_e64 v16, v115, v101, s10
; %bb.533:                              ;   in Loop: Header=BB6_505 Depth=2
	s_or_b32 exec_lo, exec_lo, s26
	v_and_b32_e32 v17, 0xffff0000, v17
	v_and_b32_e32 v13, 0xffff0000, v13
	s_delay_alu instid0(VALU_DEP_2) | instskip(NEXT) | instid1(VALU_DEP_2)
	v_max_num_f32_e32 v17, v17, v17
	v_max_num_f32_e32 v13, v13, v13
	s_delay_alu instid0(VALU_DEP_1) | instskip(NEXT) | instid1(VALU_DEP_1)
	v_dual_min_num_f32 v101, v13, v17 :: v_dual_max_num_f32 v13, v13, v17
	v_cndmask_b32_e64 v17, v13, v101, s7
	s_delay_alu instid0(VALU_DEP_1) | instskip(NEXT) | instid1(VALU_DEP_1)
	v_and_b32_e32 v13, 0x7f800000, v17
	v_cmp_ne_u32_e64 s10, 0x7f800000, v13
                                        ; implicit-def: $vgpr13
	s_and_saveexec_b32 s26, s10
	s_delay_alu instid0(SALU_CYCLE_1)
	s_xor_b32 s10, exec_lo, s26
; %bb.534:                              ;   in Loop: Header=BB6_505 Depth=2
	v_bfe_u32 v13, v17, 16, 1
	s_delay_alu instid0(VALU_DEP_1)
	v_add3_u32 v13, v17, v13, 0x7fff
                                        ; implicit-def: $vgpr17
; %bb.535:                              ;   in Loop: Header=BB6_505 Depth=2
	s_and_not1_saveexec_b32 s26, s10
	s_cbranch_execz .LBB6_504
; %bb.536:                              ;   in Loop: Header=BB6_505 Depth=2
	v_and_b32_e32 v13, 0xffff, v17
	v_or_b32_e32 v101, 0x10000, v17
	s_delay_alu instid0(VALU_DEP_2) | instskip(NEXT) | instid1(VALU_DEP_1)
	v_cmp_eq_u32_e64 s10, 0, v13
	v_cndmask_b32_e64 v13, v101, v17, s10
	s_branch .LBB6_504
.LBB6_537:                              ;   in Loop: Header=BB6_361 Depth=1
	s_or_b32 exec_lo, exec_lo, s25
.LBB6_538:                              ;   in Loop: Header=BB6_361 Depth=1
	s_delay_alu instid0(SALU_CYCLE_1) | instskip(NEXT) | instid1(VALU_DEP_2)
	s_or_b32 exec_lo, exec_lo, s24
	v_cmp_lt_i32_e64 s7, 0, v98
	s_delay_alu instid0(VALU_DEP_1) | instskip(NEXT) | instid1(VALU_DEP_1)
	v_dual_cndmask_b32 v12, 0, v54, s7 :: v_dual_bitop2_b32 v10, 14, v113 bitop3:0x40
	v_dual_sub_nc_u32 v11, v97, v10 :: v_dual_cndmask_b32 v113, v97, v10, vcc_lo
	s_delay_alu instid0(VALU_DEP_1) | instskip(NEXT) | instid1(VALU_DEP_2)
	v_dual_cndmask_b32 v10, 0, v11 :: v_dual_sub_nc_u32 v11, v12, v98
	v_cmp_ne_u32_e32 vcc_lo, 0, v113
	s_delay_alu instid0(VALU_DEP_2) | instskip(NEXT) | instid1(VALU_DEP_3)
	v_add3_u32 v16, v96, v24, v10
	v_lshl_add_u32 v17, v11, 5, v25
	s_and_b32 s7, vcc_lo, exec_lo
.LBB6_539:                              ;   in Loop: Header=BB6_361 Depth=1
	s_or_b32 exec_lo, exec_lo, s23
	s_and_saveexec_b32 s10, s7
	s_cbranch_execz .LBB6_584
.LBB6_540:                              ;   in Loop: Header=BB6_361 Depth=1
	v_ashrrev_i32_e32 v11, 31, v113
	v_ashrrev_i32_e32 v10, 31, v17
	s_mov_b32 s23, exec_lo
	s_delay_alu instid0(VALU_DEP_1) | instskip(NEXT) | instid1(VALU_DEP_1)
	v_dual_lshrrev_b32 v11, 23, v11 :: v_dual_lshrrev_b32 v10, 27, v10
	v_add_nc_u32_e32 v11, v113, v11
	s_delay_alu instid0(VALU_DEP_1) | instskip(NEXT) | instid1(VALU_DEP_1)
	v_dual_add_nc_u32 v10, v17, v10 :: v_dual_ashrrev_i32 v20, 9, v11
	v_ashrrev_i32_e32 v18, 5, v10
	s_delay_alu instid0(VALU_DEP_1) | instskip(NEXT) | instid1(VALU_DEP_1)
	v_sub_nc_u32_e32 v19, v20, v18
	v_cmpx_lt_i32_e32 0, v19
	s_cbranch_execz .LBB6_576
; %bb.541:                              ;   in Loop: Header=BB6_361 Depth=1
	v_and_b32_e32 v10, 0x7fffffe0, v10
	s_trap 2
	ds_load_b64 v[12:13], v0
	v_lshlrev_b32_e32 v11, 9, v18
	v_add_nc_u64_e32 v[22:23], 0x1c0, v[86:87]
	v_sub_nc_u32_e32 v10, v17, v10
	s_bitcmp0_b64 s[12:13], 0
	s_mov_b32 s24, 0
	s_cselect_b32 vcc_lo, -1, 0
	s_delay_alu instid0(VALU_DEP_1) | instskip(NEXT) | instid1(VALU_DEP_1)
	v_lshlrev_b32_e32 v10, 1, v10
	v_add3_u32 v14, v10, v16, v11
	s_delay_alu instid0(VALU_DEP_1) | instskip(NEXT) | instid1(VALU_DEP_1)
	v_ashrrev_i32_e32 v15, 31, v14
	v_add_nc_u64_e32 v[10:11], v[14:15], v[84:85]
	s_wait_dscnt 0x0
	v_add_nc_u64_e32 v[12:13], v[12:13], v[14:15]
	v_add_nc_u64_e32 v[14:15], v[22:23], v[14:15]
	s_branch .LBB6_543
.LBB6_542:                              ;   in Loop: Header=BB6_543 Depth=2
	s_or_b32 exec_lo, exec_lo, s25
	v_sub_nc_u32_e32 v19, v19, v54
	s_clause 0x7
	flat_store_d16_hi_b16 v[14:15], v21 offset:-448 th:TH_STORE_NT
	flat_store_d16_hi_b16 v[14:15], v24 offset:-384 th:TH_STORE_NT
	;; [unrolled: 1-line block ×7, first 2 shown]
	flat_store_d16_hi_b16 v[14:15], v22 th:TH_STORE_NT
	v_add_nc_u64_e32 v[10:11], v[10:11], v[68:69]
	v_add_nc_u64_e32 v[12:13], v[12:13], v[68:69]
	s_wait_xcnt 0x0
	v_add_nc_u64_e32 v[14:15], v[14:15], v[68:69]
	v_cmp_gt_i32_e64 s7, 1, v19
	s_or_b32 s24, s7, s24
	s_delay_alu instid0(SALU_CYCLE_1)
	s_and_not1_b32 exec_lo, exec_lo, s24
	s_cbranch_execz .LBB6_575
.LBB6_543:                              ;   Parent Loop BB6_361 Depth=1
                                        ; =>  This Inner Loop Header: Depth=2
	s_clause 0x6
	flat_load_u16 v97, v[12:13] offset:128 th:TH_LOAD_NT
	flat_load_u16 v100, v[12:13] offset:192 th:TH_LOAD_NT
	;; [unrolled: 1-line block ×6, first 2 shown]
	flat_load_u16 v21, v[12:13] th:TH_LOAD_NT
	s_clause 0x7
	flat_load_u16 v117, v[10:11] offset:128 th:TH_LOAD_NT
	flat_load_u16 v116, v[10:11] offset:192 th:TH_LOAD_NT
	;; [unrolled: 1-line block ×6, first 2 shown]
	flat_load_u16 v119, v[10:11] th:TH_LOAD_NT
	flat_load_u16 v24, v[10:11] offset:64 th:TH_LOAD_NT
	flat_load_u16 v118, v[12:13] offset:64 th:TH_LOAD_NT
	s_wait_loadcnt_dscnt 0x202
	v_dual_lshlrev_b32 v21, 16, v21 :: v_dual_lshlrev_b32 v119, 16, v119
	s_delay_alu instid0(VALU_DEP_1) | instskip(NEXT) | instid1(VALU_DEP_1)
	v_dual_max_num_f32 v21, v21, v21 :: v_dual_max_num_f32 v119, v119, v119
	v_dual_min_num_f32 v40, v119, v21 :: v_dual_max_num_f32 v21, v119, v21
	s_delay_alu instid0(VALU_DEP_1) | instskip(NEXT) | instid1(VALU_DEP_1)
	v_cndmask_b32_e32 v119, v21, v40, vcc_lo
	v_and_b32_e32 v21, 0x7f800000, v119
	s_delay_alu instid0(VALU_DEP_1) | instskip(SKIP_2) | instid1(SALU_CYCLE_1)
	v_cmp_ne_u32_e64 s7, 0x7f800000, v21
                                        ; implicit-def: $vgpr21
	s_wait_xcnt 0x0
	s_and_saveexec_b32 s25, s7
	s_xor_b32 s7, exec_lo, s25
; %bb.544:                              ;   in Loop: Header=BB6_543 Depth=2
	v_bfe_u32 v21, v119, 16, 1
	s_delay_alu instid0(VALU_DEP_1)
	v_add3_u32 v21, v119, v21, 0x7fff
                                        ; implicit-def: $vgpr119
; %bb.545:                              ;   in Loop: Header=BB6_543 Depth=2
	s_and_not1_saveexec_b32 s25, s7
; %bb.546:                              ;   in Loop: Header=BB6_543 Depth=2
	v_and_b32_e32 v21, 0xffff, v119
	v_or_b32_e32 v40, 0x10000, v119
	s_delay_alu instid0(VALU_DEP_2) | instskip(NEXT) | instid1(VALU_DEP_1)
	v_cmp_eq_u32_e64 s7, 0, v21
	v_cndmask_b32_e64 v21, v40, v119, s7
; %bb.547:                              ;   in Loop: Header=BB6_543 Depth=2
	s_or_b32 exec_lo, exec_lo, s25
	s_wait_loadcnt_dscnt 0x0
	v_dual_lshlrev_b32 v118, 16, v118 :: v_dual_lshlrev_b32 v24, 16, v24
	s_delay_alu instid0(VALU_DEP_1) | instskip(NEXT) | instid1(VALU_DEP_1)
	v_dual_max_num_f32 v118, v118, v118 :: v_dual_max_num_f32 v24, v24, v24
	v_dual_min_num_f32 v119, v24, v118 :: v_dual_max_num_f32 v24, v24, v118
	s_delay_alu instid0(VALU_DEP_1) | instskip(NEXT) | instid1(VALU_DEP_1)
	v_cndmask_b32_e32 v118, v24, v119, vcc_lo
	v_and_b32_e32 v24, 0x7f800000, v118
	s_delay_alu instid0(VALU_DEP_1) | instskip(SKIP_1) | instid1(SALU_CYCLE_1)
	v_cmp_ne_u32_e64 s7, 0x7f800000, v24
                                        ; implicit-def: $vgpr24
	s_and_saveexec_b32 s25, s7
	s_xor_b32 s7, exec_lo, s25
; %bb.548:                              ;   in Loop: Header=BB6_543 Depth=2
	v_bfe_u32 v24, v118, 16, 1
	s_delay_alu instid0(VALU_DEP_1)
	v_add3_u32 v24, v118, v24, 0x7fff
                                        ; implicit-def: $vgpr118
; %bb.549:                              ;   in Loop: Header=BB6_543 Depth=2
	s_and_not1_saveexec_b32 s25, s7
; %bb.550:                              ;   in Loop: Header=BB6_543 Depth=2
	v_and_b32_e32 v24, 0xffff, v118
	v_or_b32_e32 v119, 0x10000, v118
	s_delay_alu instid0(VALU_DEP_2) | instskip(NEXT) | instid1(VALU_DEP_1)
	v_cmp_eq_u32_e64 s7, 0, v24
	v_cndmask_b32_e64 v24, v119, v118, s7
; %bb.551:                              ;   in Loop: Header=BB6_543 Depth=2
	s_or_b32 exec_lo, exec_lo, s25
	v_lshlrev_b32_e32 v97, 16, v97
	v_lshlrev_b32_e32 v117, 16, v117
	s_delay_alu instid0(VALU_DEP_2) | instskip(NEXT) | instid1(VALU_DEP_2)
	v_max_num_f32_e32 v97, v97, v97
	v_max_num_f32_e32 v117, v117, v117
	s_delay_alu instid0(VALU_DEP_1) | instskip(NEXT) | instid1(VALU_DEP_1)
	v_dual_min_num_f32 v118, v117, v97 :: v_dual_max_num_f32 v97, v117, v97
	v_cndmask_b32_e32 v117, v97, v118, vcc_lo
	s_delay_alu instid0(VALU_DEP_1) | instskip(NEXT) | instid1(VALU_DEP_1)
	v_and_b32_e32 v97, 0x7f800000, v117
	v_cmp_ne_u32_e64 s7, 0x7f800000, v97
                                        ; implicit-def: $vgpr97
	s_and_saveexec_b32 s25, s7
	s_delay_alu instid0(SALU_CYCLE_1)
	s_xor_b32 s7, exec_lo, s25
; %bb.552:                              ;   in Loop: Header=BB6_543 Depth=2
	v_bfe_u32 v97, v117, 16, 1
	s_delay_alu instid0(VALU_DEP_1)
	v_add3_u32 v97, v117, v97, 0x7fff
                                        ; implicit-def: $vgpr117
; %bb.553:                              ;   in Loop: Header=BB6_543 Depth=2
	s_and_not1_saveexec_b32 s25, s7
; %bb.554:                              ;   in Loop: Header=BB6_543 Depth=2
	v_and_b32_e32 v97, 0xffff, v117
	v_or_b32_e32 v118, 0x10000, v117
	s_delay_alu instid0(VALU_DEP_2) | instskip(NEXT) | instid1(VALU_DEP_1)
	v_cmp_eq_u32_e64 s7, 0, v97
	v_cndmask_b32_e64 v97, v118, v117, s7
; %bb.555:                              ;   in Loop: Header=BB6_543 Depth=2
	s_or_b32 exec_lo, exec_lo, s25
	v_lshlrev_b32_e32 v100, 16, v100
	v_lshlrev_b32_e32 v116, 16, v116
	s_delay_alu instid0(VALU_DEP_2) | instskip(NEXT) | instid1(VALU_DEP_2)
	v_max_num_f32_e32 v100, v100, v100
	v_max_num_f32_e32 v116, v116, v116
	s_delay_alu instid0(VALU_DEP_1) | instskip(NEXT) | instid1(VALU_DEP_1)
	v_dual_min_num_f32 v117, v116, v100 :: v_dual_max_num_f32 v100, v116, v100
	v_cndmask_b32_e32 v116, v100, v117, vcc_lo
	s_delay_alu instid0(VALU_DEP_1) | instskip(NEXT) | instid1(VALU_DEP_1)
	v_and_b32_e32 v100, 0x7f800000, v116
	v_cmp_ne_u32_e64 s7, 0x7f800000, v100
                                        ; implicit-def: $vgpr100
	s_and_saveexec_b32 s25, s7
	s_delay_alu instid0(SALU_CYCLE_1)
	s_xor_b32 s7, exec_lo, s25
; %bb.556:                              ;   in Loop: Header=BB6_543 Depth=2
	v_bfe_u32 v100, v116, 16, 1
	s_delay_alu instid0(VALU_DEP_1)
	v_add3_u32 v100, v116, v100, 0x7fff
                                        ; implicit-def: $vgpr116
; %bb.557:                              ;   in Loop: Header=BB6_543 Depth=2
	s_and_not1_saveexec_b32 s25, s7
; %bb.558:                              ;   in Loop: Header=BB6_543 Depth=2
	v_and_b32_e32 v100, 0xffff, v116
	v_or_b32_e32 v117, 0x10000, v116
	s_delay_alu instid0(VALU_DEP_2) | instskip(NEXT) | instid1(VALU_DEP_1)
	v_cmp_eq_u32_e64 s7, 0, v100
	v_cndmask_b32_e64 v100, v117, v116, s7
; %bb.559:                              ;   in Loop: Header=BB6_543 Depth=2
	s_or_b32 exec_lo, exec_lo, s25
	v_dual_lshlrev_b32 v101, 16, v101 :: v_dual_lshlrev_b32 v115, 16, v115
	s_delay_alu instid0(VALU_DEP_1) | instskip(NEXT) | instid1(VALU_DEP_1)
	v_dual_max_num_f32 v101, v101, v101 :: v_dual_max_num_f32 v115, v115, v115
	v_dual_min_num_f32 v116, v115, v101 :: v_dual_max_num_f32 v101, v115, v101
	s_delay_alu instid0(VALU_DEP_1) | instskip(NEXT) | instid1(VALU_DEP_1)
	v_cndmask_b32_e32 v115, v101, v116, vcc_lo
	v_and_b32_e32 v101, 0x7f800000, v115
	s_delay_alu instid0(VALU_DEP_1) | instskip(SKIP_1) | instid1(SALU_CYCLE_1)
	v_cmp_ne_u32_e64 s7, 0x7f800000, v101
                                        ; implicit-def: $vgpr101
	s_and_saveexec_b32 s25, s7
	s_xor_b32 s7, exec_lo, s25
; %bb.560:                              ;   in Loop: Header=BB6_543 Depth=2
	v_bfe_u32 v101, v115, 16, 1
	s_delay_alu instid0(VALU_DEP_1)
	v_add3_u32 v101, v115, v101, 0x7fff
                                        ; implicit-def: $vgpr115
; %bb.561:                              ;   in Loop: Header=BB6_543 Depth=2
	s_and_not1_saveexec_b32 s25, s7
; %bb.562:                              ;   in Loop: Header=BB6_543 Depth=2
	v_and_b32_e32 v101, 0xffff, v115
	v_or_b32_e32 v116, 0x10000, v115
	s_delay_alu instid0(VALU_DEP_2) | instskip(NEXT) | instid1(VALU_DEP_1)
	v_cmp_eq_u32_e64 s7, 0, v101
	v_cndmask_b32_e64 v101, v116, v115, s7
; %bb.563:                              ;   in Loop: Header=BB6_543 Depth=2
	s_or_b32 exec_lo, exec_lo, s25
	v_dual_lshlrev_b32 v98, 16, v98 :: v_dual_lshlrev_b32 v99, 16, v99
	s_delay_alu instid0(VALU_DEP_1) | instskip(NEXT) | instid1(VALU_DEP_1)
	v_dual_max_num_f32 v98, v98, v98 :: v_dual_max_num_f32 v99, v99, v99
	v_dual_min_num_f32 v115, v99, v98 :: v_dual_max_num_f32 v98, v99, v98
	s_delay_alu instid0(VALU_DEP_1) | instskip(NEXT) | instid1(VALU_DEP_1)
	v_cndmask_b32_e32 v99, v98, v115, vcc_lo
	v_and_b32_e32 v98, 0x7f800000, v99
	s_delay_alu instid0(VALU_DEP_1) | instskip(SKIP_1) | instid1(SALU_CYCLE_1)
	v_cmp_ne_u32_e64 s7, 0x7f800000, v98
                                        ; implicit-def: $vgpr98
	s_and_saveexec_b32 s25, s7
	s_xor_b32 s7, exec_lo, s25
; %bb.564:                              ;   in Loop: Header=BB6_543 Depth=2
	v_bfe_u32 v98, v99, 16, 1
	s_delay_alu instid0(VALU_DEP_1)
	v_add3_u32 v98, v99, v98, 0x7fff
                                        ; implicit-def: $vgpr99
; %bb.565:                              ;   in Loop: Header=BB6_543 Depth=2
	s_and_not1_saveexec_b32 s25, s7
; %bb.566:                              ;   in Loop: Header=BB6_543 Depth=2
	v_and_b32_e32 v98, 0xffff, v99
	v_or_b32_e32 v115, 0x10000, v99
	s_delay_alu instid0(VALU_DEP_2) | instskip(NEXT) | instid1(VALU_DEP_1)
	v_cmp_eq_u32_e64 s7, 0, v98
	v_cndmask_b32_e64 v98, v115, v99, s7
; %bb.567:                              ;   in Loop: Header=BB6_543 Depth=2
	s_or_b32 exec_lo, exec_lo, s25
	v_dual_lshlrev_b32 v25, 16, v25 :: v_dual_lshlrev_b32 v96, 16, v96
	s_delay_alu instid0(VALU_DEP_1) | instskip(NEXT) | instid1(VALU_DEP_1)
	v_dual_max_num_f32 v25, v25, v25 :: v_dual_max_num_f32 v96, v96, v96
	v_dual_min_num_f32 v99, v96, v25 :: v_dual_max_num_f32 v25, v96, v25
	s_delay_alu instid0(VALU_DEP_1) | instskip(NEXT) | instid1(VALU_DEP_1)
	v_cndmask_b32_e32 v96, v25, v99, vcc_lo
	v_and_b32_e32 v25, 0x7f800000, v96
	s_delay_alu instid0(VALU_DEP_1) | instskip(SKIP_1) | instid1(SALU_CYCLE_1)
	v_cmp_ne_u32_e64 s7, 0x7f800000, v25
                                        ; implicit-def: $vgpr25
	s_and_saveexec_b32 s25, s7
	s_xor_b32 s7, exec_lo, s25
; %bb.568:                              ;   in Loop: Header=BB6_543 Depth=2
	v_bfe_u32 v25, v96, 16, 1
	s_delay_alu instid0(VALU_DEP_1)
	v_add3_u32 v25, v96, v25, 0x7fff
                                        ; implicit-def: $vgpr96
; %bb.569:                              ;   in Loop: Header=BB6_543 Depth=2
	s_and_not1_saveexec_b32 s25, s7
; %bb.570:                              ;   in Loop: Header=BB6_543 Depth=2
	v_and_b32_e32 v25, 0xffff, v96
	v_or_b32_e32 v99, 0x10000, v96
	s_delay_alu instid0(VALU_DEP_2) | instskip(NEXT) | instid1(VALU_DEP_1)
	v_cmp_eq_u32_e64 s7, 0, v25
	v_cndmask_b32_e64 v25, v99, v96, s7
; %bb.571:                              ;   in Loop: Header=BB6_543 Depth=2
	s_or_b32 exec_lo, exec_lo, s25
	v_dual_lshlrev_b32 v22, 16, v22 :: v_dual_lshlrev_b32 v23, 16, v23
	s_delay_alu instid0(VALU_DEP_1) | instskip(NEXT) | instid1(VALU_DEP_1)
	v_dual_max_num_f32 v22, v22, v22 :: v_dual_max_num_f32 v23, v23, v23
	v_dual_min_num_f32 v96, v23, v22 :: v_dual_max_num_f32 v22, v23, v22
	s_delay_alu instid0(VALU_DEP_1) | instskip(NEXT) | instid1(VALU_DEP_1)
	v_cndmask_b32_e32 v23, v22, v96, vcc_lo
	v_and_b32_e32 v22, 0x7f800000, v23
	s_delay_alu instid0(VALU_DEP_1) | instskip(SKIP_1) | instid1(SALU_CYCLE_1)
	v_cmp_ne_u32_e64 s7, 0x7f800000, v22
                                        ; implicit-def: $vgpr22
	s_and_saveexec_b32 s25, s7
	s_xor_b32 s7, exec_lo, s25
; %bb.572:                              ;   in Loop: Header=BB6_543 Depth=2
	v_bfe_u32 v22, v23, 16, 1
	s_delay_alu instid0(VALU_DEP_1)
	v_add3_u32 v22, v23, v22, 0x7fff
                                        ; implicit-def: $vgpr23
; %bb.573:                              ;   in Loop: Header=BB6_543 Depth=2
	s_and_not1_saveexec_b32 s25, s7
	s_cbranch_execz .LBB6_542
; %bb.574:                              ;   in Loop: Header=BB6_543 Depth=2
	v_and_b32_e32 v22, 0xffff, v23
	v_or_b32_e32 v96, 0x10000, v23
	s_delay_alu instid0(VALU_DEP_2) | instskip(NEXT) | instid1(VALU_DEP_1)
	v_cmp_eq_u32_e64 s7, 0, v22
	v_cndmask_b32_e64 v22, v96, v23, s7
	s_branch .LBB6_542
.LBB6_575:                              ;   in Loop: Header=BB6_361 Depth=1
	s_or_b32 exec_lo, exec_lo, s24
.LBB6_576:                              ;   in Loop: Header=BB6_361 Depth=1
	s_delay_alu instid0(SALU_CYCLE_1) | instskip(SKIP_1) | instid1(VALU_DEP_1)
	s_or_b32 exec_lo, exec_lo, s23
	v_lshlrev_b32_e32 v10, 9, v20
	v_cmp_ne_u32_e32 vcc_lo, v113, v10
	s_and_b32 exec_lo, exec_lo, vcc_lo
	s_cbranch_execz .LBB6_584
; %bb.577:                              ;   in Loop: Header=BB6_361 Depth=1
	v_dual_lshlrev_b32 v11, 5, v18 :: v_dual_lshlrev_b32 v12, 5, v19
	s_delay_alu instid0(VALU_DEP_1) | instskip(NEXT) | instid1(VALU_DEP_1)
	v_sub_nc_u32_e32 v11, v17, v11
	v_sub_nc_u32_e32 v11, v11, v12
	s_delay_alu instid0(VALU_DEP_1) | instskip(NEXT) | instid1(VALU_DEP_1)
	v_ashrrev_i32_e32 v12, 31, v11
	v_lshrrev_b32_e32 v12, 27, v12
	s_delay_alu instid0(VALU_DEP_1) | instskip(NEXT) | instid1(VALU_DEP_1)
	v_add_nc_u32_e32 v12, v11, v12
	v_and_b32_e32 v13, 0x7fffffe0, v12
	s_delay_alu instid0(VALU_DEP_1) | instskip(NEXT) | instid1(VALU_DEP_1)
	v_dual_lshlrev_b32 v12, 1, v12 :: v_dual_sub_nc_u32 v11, v11, v13
	v_and_b32_e32 v12, 0xffffffc0, v12
	s_delay_alu instid0(VALU_DEP_2) | instskip(NEXT) | instid1(VALU_DEP_1)
	v_lshlrev_b32_e32 v11, 1, v11
	v_add3_u32 v10, v12, v11, v10
	s_delay_alu instid0(VALU_DEP_1) | instskip(NEXT) | instid1(VALU_DEP_1)
	v_sub_nc_u32_e32 v17, v113, v10
	v_cmp_lt_i32_e32 vcc_lo, 1, v17
	s_and_b32 exec_lo, exec_lo, vcc_lo
	s_cbranch_execz .LBB6_584
; %bb.578:                              ;   in Loop: Header=BB6_361 Depth=1
	s_trap 2
	ds_load_b64 v[12:13], v0
	v_add_nc_u32_e32 v14, v10, v16
	s_bitcmp0_b64 s[12:13], 0
	s_mov_b32 s12, 0
	s_cselect_b32 vcc_lo, -1, 0
	s_delay_alu instid0(VALU_DEP_1) | instskip(NEXT) | instid1(VALU_DEP_1)
	v_ashrrev_i32_e32 v15, 31, v14
	v_add_nc_u64_e32 v[10:11], v[14:15], v[84:85]
	s_wait_dscnt 0x0
	v_add_nc_u64_e32 v[12:13], v[12:13], v[14:15]
	v_add_nc_u64_e32 v[14:15], v[14:15], v[86:87]
	s_branch .LBB6_580
.LBB6_579:                              ;   in Loop: Header=BB6_580 Depth=2
	s_or_b32 exec_lo, exec_lo, s13
	v_sub_nc_u32_e32 v17, v17, v70
	flat_store_d16_hi_b16 v[14:15], v16 th:TH_STORE_NT
	v_add_nc_u64_e32 v[10:11], v[10:11], v[70:71]
	v_add_nc_u64_e32 v[12:13], v[12:13], v[70:71]
	s_wait_xcnt 0x0
	v_add_nc_u64_e32 v[14:15], v[14:15], v[70:71]
	v_cmp_gt_i32_e64 s7, 2, v17
	s_or_b32 s12, s7, s12
	s_delay_alu instid0(SALU_CYCLE_1)
	s_and_not1_b32 exec_lo, exec_lo, s12
	s_cbranch_execz .LBB6_584
.LBB6_580:                              ;   Parent Loop BB6_361 Depth=1
                                        ; =>  This Inner Loop Header: Depth=2
	flat_load_u16 v16, v[12:13] th:TH_LOAD_NT
	flat_load_u16 v18, v[10:11] th:TH_LOAD_NT
	s_wait_loadcnt_dscnt 0x0
	v_dual_lshlrev_b32 v16, 16, v16 :: v_dual_lshlrev_b32 v18, 16, v18
	s_delay_alu instid0(VALU_DEP_1) | instskip(NEXT) | instid1(VALU_DEP_1)
	v_dual_max_num_f32 v16, v16, v16 :: v_dual_max_num_f32 v18, v18, v18
	v_dual_min_num_f32 v19, v18, v16 :: v_dual_max_num_f32 v16, v18, v16
	s_delay_alu instid0(VALU_DEP_1) | instskip(NEXT) | instid1(VALU_DEP_1)
	v_cndmask_b32_e32 v18, v16, v19, vcc_lo
	v_and_b32_e32 v16, 0x7f800000, v18
	s_delay_alu instid0(VALU_DEP_1) | instskip(SKIP_2) | instid1(SALU_CYCLE_1)
	v_cmp_ne_u32_e64 s7, 0x7f800000, v16
                                        ; implicit-def: $vgpr16
	s_wait_xcnt 0x0
	s_and_saveexec_b32 s13, s7
	s_xor_b32 s7, exec_lo, s13
; %bb.581:                              ;   in Loop: Header=BB6_580 Depth=2
	v_bfe_u32 v16, v18, 16, 1
	s_delay_alu instid0(VALU_DEP_1)
	v_add3_u32 v16, v18, v16, 0x7fff
                                        ; implicit-def: $vgpr18
; %bb.582:                              ;   in Loop: Header=BB6_580 Depth=2
	s_and_not1_saveexec_b32 s13, s7
	s_cbranch_execz .LBB6_579
; %bb.583:                              ;   in Loop: Header=BB6_580 Depth=2
	v_and_b32_e32 v16, 0xffff, v18
	v_or_b32_e32 v19, 0x10000, v18
	s_delay_alu instid0(VALU_DEP_2) | instskip(NEXT) | instid1(VALU_DEP_1)
	v_cmp_eq_u32_e64 s7, 0, v16
	v_cndmask_b32_e64 v16, v19, v18, s7
	s_branch .LBB6_579
.LBB6_584:                              ;   in Loop: Header=BB6_361 Depth=1
	s_or_b32 exec_lo, exec_lo, s10
	v_cmp_ne_u32_e64 s7, 0, v52
	s_and_saveexec_b32 s10, s2
	s_cbranch_execz .LBB6_603
.LBB6_585:                              ;   in Loop: Header=BB6_361 Depth=1
	s_and_saveexec_b32 s12, s3
	s_delay_alu instid0(SALU_CYCLE_1)
	s_xor_b32 s12, exec_lo, s12
	s_cbranch_execz .LBB6_600
; %bb.586:                              ;   in Loop: Header=BB6_361 Depth=1
	s_and_saveexec_b32 s13, s4
	s_cbranch_execz .LBB6_599
; %bb.587:                              ;   in Loop: Header=BB6_361 Depth=1
	s_mov_b32 s24, exec_lo
	s_mov_b32 s23, exec_lo
	v_mbcnt_lo_u32_b32 v10, s24, 0
	global_wb scope:SCOPE_DEV
	s_wait_storecnt 0x0
	s_wait_loadcnt_dscnt 0x0
	global_inv scope:SCOPE_DEV
	v_cmpx_eq_u32_e32 0, v10
	s_cbranch_execz .LBB6_589
; %bb.588:                              ;   in Loop: Header=BB6_361 Depth=1
	s_bcnt1_i32_b32 s24, s24
	s_delay_alu instid0(SALU_CYCLE_1)
	v_mov_b32_e32 v52, s24
	s_wait_loadcnt 0x0
	ds_add_u64 v0, v[52:53]
	s_trap 2
.LBB6_589:                              ;   in Loop: Header=BB6_361 Depth=1
	s_or_b32 exec_lo, exec_lo, s23
	s_trap 2
	ds_load_b64 v[10:11], v0
	s_wait_dscnt 0x0
	v_add_nc_u64_e32 v[38:39], v[38:39], v[54:55]
	s_mov_b32 s23, exec_lo
	s_delay_alu instid0(VALU_DEP_1)
	v_cmpx_lt_u64_e64 v[10:11], v[38:39]
	s_cbranch_execz .LBB6_598
; %bb.590:                              ;   in Loop: Header=BB6_361 Depth=1
	s_mov_b32 s24, 0
	s_mov_b32 s27, 0
                                        ; implicit-def: $sgpr25
                                        ; implicit-def: $sgpr26
	s_branch .LBB6_592
.LBB6_591:                              ;   in Loop: Header=BB6_592 Depth=2
	s_or_b32 exec_lo, exec_lo, s29
	s_delay_alu instid0(SALU_CYCLE_1) | instskip(NEXT) | instid1(SALU_CYCLE_1)
	s_and_b32 s28, exec_lo, s40
	s_or_b32 s24, s28, s24
	s_and_not1_b32 s25, s25, exec_lo
	s_and_b32 s28, s26, exec_lo
	s_delay_alu instid0(SALU_CYCLE_1)
	s_or_b32 s25, s25, s28
	s_and_not1_b32 exec_lo, exec_lo, s24
	s_cbranch_execz .LBB6_596
.LBB6_592:                              ;   Parent Loop BB6_361 Depth=1
                                        ; =>  This Inner Loop Header: Depth=2
	s_add_co_i32 s27, s27, 1
	s_delay_alu instid0(SALU_CYCLE_1) | instskip(SKIP_1) | instid1(SALU_CYCLE_1)
	s_cmp_lg_u32 s27, 0x2710
	s_cselect_b32 s28, -1, 0
	s_and_b32 vcc_lo, exec_lo, s28
	s_cbranch_vccz .LBB6_594
; %bb.593:                              ;   in Loop: Header=BB6_592 Depth=2
	s_mov_b32 s40, -1
	s_or_b32 s26, s26, exec_lo
	s_and_saveexec_b32 s29, s28
	s_cbranch_execz .LBB6_591
	s_branch .LBB6_595
.LBB6_594:                              ;   in Loop: Header=BB6_592 Depth=2
	s_trap 2
	ds_load_b64 v[10:11], v0
	s_and_not1_b32 s28, s28, exec_lo
	s_mov_b32 s27, 0
	s_wait_loadcnt_dscnt 0x0
	flat_load_b32 v10, v[10:11] scope:SCOPE_SYS
	s_wait_loadcnt_dscnt 0x0
	global_inv scope:SCOPE_SYS
	v_cmp_eq_u32_e32 vcc_lo, 0, v10
	s_and_b32 s29, vcc_lo, exec_lo
	s_delay_alu instid0(SALU_CYCLE_1)
	s_or_b32 s28, s28, s29
	s_mov_b32 s40, -1
	s_or_b32 s26, s26, exec_lo
	s_and_saveexec_b32 s29, s28
	s_cbranch_execz .LBB6_591
.LBB6_595:                              ;   in Loop: Header=BB6_592 Depth=2
	s_sleep 1
	s_trap 2
	ds_load_b64 v[10:11], v0
	s_wait_dscnt 0x0
	s_and_not1_b32 s26, s26, exec_lo
	v_cmp_ge_u64_e32 vcc_lo, v[10:11], v[38:39]
	s_or_not1_b32 s40, vcc_lo, exec_lo
	s_branch .LBB6_591
.LBB6_596:                              ;   in Loop: Header=BB6_361 Depth=1
	s_or_b32 exec_lo, exec_lo, s24
	s_and_saveexec_b32 s24, s25
	s_delay_alu instid0(SALU_CYCLE_1)
	s_xor_b32 s24, exec_lo, s24
	s_cbranch_execz .LBB6_598
; %bb.597:                              ;   in Loop: Header=BB6_361 Depth=1
	ds_store_b32 v0, v112
	s_trap 2
.LBB6_598:                              ;   in Loop: Header=BB6_361 Depth=1
	s_or_b32 exec_lo, exec_lo, s23
	;;#ASMSTART
	s_wakeup
	;;#ASMEND
.LBB6_599:                              ;   in Loop: Header=BB6_361 Depth=1
	s_or_b32 exec_lo, exec_lo, s13
.LBB6_600:                              ;   in Loop: Header=BB6_361 Depth=1
	s_and_not1_saveexec_b32 s12, s12
	s_cbranch_execz .LBB6_602
; %bb.601:                              ;   in Loop: Header=BB6_361 Depth=1
	global_wb scope:SCOPE_DEV
	s_wait_storecnt 0x0
	s_wait_loadcnt_dscnt 0x0
	global_inv scope:SCOPE_DEV
	s_barrier_signal -1
	s_barrier_wait -1
.LBB6_602:                              ;   in Loop: Header=BB6_361 Depth=1
	s_or_b32 exec_lo, exec_lo, s12
.LBB6_603:                              ;   in Loop: Header=BB6_361 Depth=1
	s_delay_alu instid0(SALU_CYCLE_1) | instskip(SKIP_1) | instid1(VALU_DEP_1)
	s_or_b32 exec_lo, exec_lo, s10
	v_and_b32_e32 v10, 16, v30
	v_cmp_ne_u32_e32 vcc_lo, 0, v10
	s_and_b32 s10, vcc_lo, s7
	s_delay_alu instid0(SALU_CYCLE_1)
	s_and_saveexec_b32 s7, s10
	s_cbranch_execz .LBB6_605
; %bb.604:                              ;   in Loop: Header=BB6_361 Depth=1
	global_wb scope:SCOPE_SYS
	s_wait_storecnt 0x0
	s_wait_loadcnt_dscnt 0x0
	global_inv scope:SCOPE_SYS
.LBB6_605:                              ;   in Loop: Header=BB6_361 Depth=1
	s_or_b32 exec_lo, exec_lo, s7
	v_and_b32_e32 v10, 32, v30
	s_mov_b32 s7, exec_lo
	s_delay_alu instid0(VALU_DEP_1)
	v_cmpx_ne_u32_e32 0, v10
	s_cbranch_execz .LBB6_607
; %bb.606:                              ;   in Loop: Header=BB6_361 Depth=1
	v_add_nc_u64_e32 v[8:9], 1, v[8:9]
	global_wb scope:SCOPE_SYS
	s_wait_storecnt 0x0
	s_wait_loadcnt_dscnt 0x0
	flat_store_b64 v[32:33], v[8:9] scope:SCOPE_SYS
.LBB6_607:                              ;   in Loop: Header=BB6_361 Depth=1
	s_wait_xcnt 0x0
	s_or_b32 exec_lo, exec_lo, s7
	v_mov_b32_e32 v14, v83
.LBB6_608:                              ;   in Loop: Header=BB6_361 Depth=1
	s_or_b32 exec_lo, exec_lo, s22
	s_and_saveexec_b32 s10, s21
	s_cbranch_execz .LBB6_360
; %bb.609:                              ;   in Loop: Header=BB6_361 Depth=1
	v_and_b32_e32 v10, 4, v30
	s_mov_b32 s12, exec_lo
	s_delay_alu instid0(VALU_DEP_1)
	v_cmpx_ne_u32_e32 0, v10
	s_cbranch_execz .LBB6_631
; %bb.610:                              ;   in Loop: Header=BB6_361 Depth=1
	s_wait_dscnt 0x0
	v_add_nc_u64_e32 v[10:11], 1, v[8:9]
	s_mov_b32 s13, exec_lo
	s_wait_loadcnt 0x0
	s_delay_alu instid0(VALU_DEP_1)
	v_cmpx_lt_u64_e64 v[48:49], v[10:11]
	s_cbranch_execz .LBB6_622
; %bb.611:                              ;   in Loop: Header=BB6_361 Depth=1
	v_and_b32_e32 v9, 64, v30
	s_mov_b32 s21, 0
	s_mov_b32 s25, 0
                                        ; implicit-def: $sgpr22
                                        ; implicit-def: $sgpr23
                                        ; implicit-def: $sgpr24
	s_delay_alu instid0(VALU_DEP_1)
	v_cmp_eq_u32_e32 vcc_lo, 0, v9
	s_branch .LBB6_615
.LBB6_612:                              ;   in Loop: Header=BB6_615 Depth=2
	s_wait_loadcnt_dscnt 0x0
	v_cmp_ge_u64_e64 s7, v[48:49], v[10:11]
	s_or_b32 s28, s28, exec_lo
	s_or_not1_b32 s27, s7, exec_lo
.LBB6_613:                              ;   in Loop: Header=BB6_615 Depth=2
	s_or_b32 exec_lo, exec_lo, s40
	s_delay_alu instid0(SALU_CYCLE_1)
	s_and_not1_b32 s7, s24, exec_lo
	s_and_b32 s24, s28, exec_lo
	s_and_not1_b32 s23, s23, exec_lo
	s_and_b32 s27, s27, exec_lo
	s_or_b32 s24, s7, s24
	s_or_b32 s23, s23, s27
.LBB6_614:                              ;   in Loop: Header=BB6_615 Depth=2
	s_or_b32 exec_lo, exec_lo, s26
	s_delay_alu instid0(SALU_CYCLE_1) | instskip(NEXT) | instid1(SALU_CYCLE_1)
	s_and_b32 s7, exec_lo, s23
	s_or_b32 s21, s7, s21
	s_and_not1_b32 s7, s22, exec_lo
	s_and_b32 s22, s24, exec_lo
	s_delay_alu instid0(SALU_CYCLE_1)
	s_or_b32 s22, s7, s22
	s_and_not1_b32 exec_lo, exec_lo, s21
	s_cbranch_execz .LBB6_619
.LBB6_615:                              ;   Parent Loop BB6_361 Depth=1
                                        ; =>  This Inner Loop Header: Depth=2
	s_sleep 1
	s_wait_loadcnt_dscnt 0x0
	flat_load_b64 v[48:49], v[32:33] scope:SCOPE_SYS
	s_or_b32 s24, s24, exec_lo
	s_or_b32 s23, s23, exec_lo
                                        ; implicit-def: $vgpr9
	s_wait_xcnt 0x0
	s_and_saveexec_b32 s26, vcc_lo
	s_cbranch_execz .LBB6_614
; %bb.616:                              ;   in Loop: Header=BB6_615 Depth=2
	s_cmp_lt_i32 s25, 0x270f
	s_mov_b32 s27, -1
	s_cselect_b32 s29, -1, 0
	s_cmp_gt_i32 s25, 0x270e
	s_cbranch_scc0 .LBB6_618
; %bb.617:                              ;   in Loop: Header=BB6_615 Depth=2
	s_trap 2
	ds_load_b64 v[12:13], v0
	s_and_not1_b32 s25, s29, exec_lo
	s_mov_b32 s28, 0
	s_wait_storecnt 0x0
	s_wait_loadcnt_dscnt 0x0
	flat_load_b32 v9, v[12:13] scope:SCOPE_SYS
	s_wait_loadcnt_dscnt 0x0
	global_inv scope:SCOPE_SYS
	v_cmp_eq_u32_e64 s7, 0, v9
	s_and_b32 s7, s7, exec_lo
	s_delay_alu instid0(SALU_CYCLE_1)
	s_or_b32 s29, s25, s7
	s_mov_b32 s25, 0
	s_and_saveexec_b32 s40, s29
	s_cbranch_execz .LBB6_613
	s_branch .LBB6_612
.LBB6_618:                              ;   in Loop: Header=BB6_615 Depth=2
	s_add_co_i32 s25, s25, 1
	s_mov_b32 s28, -1
                                        ; implicit-def: $vgpr9
	s_and_saveexec_b32 s40, s29
	s_cbranch_execz .LBB6_613
	s_branch .LBB6_612
.LBB6_619:                              ;   in Loop: Header=BB6_361 Depth=1
	s_or_b32 exec_lo, exec_lo, s21
	s_xor_b32 s7, s22, -1
	s_delay_alu instid0(SALU_CYCLE_1) | instskip(NEXT) | instid1(SALU_CYCLE_1)
	s_and_saveexec_b32 s21, s7
	s_xor_b32 s7, exec_lo, s21
	s_cbranch_execz .LBB6_621
; %bb.620:                              ;   in Loop: Header=BB6_361 Depth=1
	v_or_b32_e32 v30, 64, v30
	s_wait_storecnt 0x0
	s_wait_loadcnt_dscnt 0x0
	ds_store_b32 v0, v9
	s_trap 2
.LBB6_621:                              ;   in Loop: Header=BB6_361 Depth=1
	s_or_b32 exec_lo, exec_lo, s7
.LBB6_622:                              ;   in Loop: Header=BB6_361 Depth=1
	s_delay_alu instid0(SALU_CYCLE_1) | instskip(SKIP_4) | instid1(VALU_DEP_2)
	s_or_b32 exec_lo, exec_lo, s13
	v_and_b32_e32 v9, 0x100, v30
	v_and_b32_e32 v52, 7, v8
	s_mov_b32 s7, -1
	;;#ASMSTART
	s_wakeup
	;;#ASMEND
	v_cmp_ne_u32_e32 vcc_lo, 0, v9
                                        ; implicit-def: $vgpr8_vgpr9
	s_and_saveexec_b32 s13, vcc_lo
	s_cbranch_execz .LBB6_626
; %bb.623:                              ;   in Loop: Header=BB6_361 Depth=1
	v_mad_nc_u64_u32 v[12:13], v52, 24, v[6:7]
	flat_load_b32 v8, v[12:13]
	s_wait_loadcnt_dscnt 0x0
	v_cmp_eq_u32_e64 s7, 1, v8
	v_cmp_ne_u32_e32 vcc_lo, 1, v8
                                        ; implicit-def: $vgpr8_vgpr9
	s_wait_xcnt 0x0
	s_and_saveexec_b32 s21, s7
	s_cbranch_execz .LBB6_625
; %bb.624:                              ;   in Loop: Header=BB6_361 Depth=1
	flat_load_b32 v8, v[12:13] offset:4 scope:SCOPE_SYS
	s_wait_loadcnt_dscnt 0x0
	v_ashrrev_i32_e32 v9, 31, v8
	s_delay_alu instid0(VALU_DEP_1)
	v_lshrrev_b64 v[8:9], 1, v[8:9]
.LBB6_625:                              ;   in Loop: Header=BB6_361 Depth=1
	s_wait_xcnt 0x0
	s_or_b32 exec_lo, exec_lo, s21
	s_delay_alu instid0(SALU_CYCLE_1)
	s_or_not1_b32 s7, vcc_lo, exec_lo
.LBB6_626:                              ;   in Loop: Header=BB6_361 Depth=1
	s_or_b32 exec_lo, exec_lo, s13
	s_and_saveexec_b32 s13, s7
; %bb.627:                              ;   in Loop: Header=BB6_361 Depth=1
	v_mul_u64_e32 v[8:9], v[52:53], v[34:35]
; %bb.628:                              ;   in Loop: Header=BB6_361 Depth=1
	s_or_b32 exec_lo, exec_lo, s13
	v_and_b32_e32 v12, 0x2000, v30
	s_delay_alu instid0(VALU_DEP_2)
	v_lshl_add_u64 v[8:9], v[8:9], 1, v[36:37]
	s_mov_b32 s7, exec_lo
	ds_store_b64 v0, v[8:9] offset:728
	v_cmpx_ne_u32_e32 0, v12
	s_cbranch_execz .LBB6_630
; %bb.629:                              ;   in Loop: Header=BB6_361 Depth=1
	ds_load_b64 v[8:9], v0 offset:872
	s_wait_dscnt 0x0
	v_add_nc_u64_e32 v[8:9], 1, v[8:9]
	ds_store_b64 v0, v[8:9] offset:872
.LBB6_630:                              ;   in Loop: Header=BB6_361 Depth=1
	s_or_b32 exec_lo, exec_lo, s7
	v_mov_b64_e32 v[8:9], v[10:11]
.LBB6_631:                              ;   in Loop: Header=BB6_361 Depth=1
	s_or_b32 exec_lo, exec_lo, s12
	s_and_saveexec_b32 s7, s2
	s_cbranch_execz .LBB6_650
; %bb.632:                              ;   in Loop: Header=BB6_361 Depth=1
	s_and_saveexec_b32 s12, s3
	s_delay_alu instid0(SALU_CYCLE_1)
	s_xor_b32 s12, exec_lo, s12
	s_cbranch_execz .LBB6_647
; %bb.633:                              ;   in Loop: Header=BB6_361 Depth=1
	s_and_saveexec_b32 s13, s4
	s_cbranch_execz .LBB6_646
; %bb.634:                              ;   in Loop: Header=BB6_361 Depth=1
	s_mov_b32 s22, exec_lo
	s_mov_b32 s21, exec_lo
	v_mbcnt_lo_u32_b32 v10, s22, 0
	global_wb scope:SCOPE_DEV
	s_wait_storecnt 0x0
	s_wait_loadcnt_dscnt 0x0
	global_inv scope:SCOPE_DEV
	v_cmpx_eq_u32_e32 0, v10
	s_cbranch_execz .LBB6_636
; %bb.635:                              ;   in Loop: Header=BB6_361 Depth=1
	s_bcnt1_i32_b32 s22, s22
	s_delay_alu instid0(SALU_CYCLE_1)
	v_mov_b32_e32 v52, s22
	s_wait_loadcnt 0x0
	ds_add_u64 v0, v[52:53]
	s_trap 2
.LBB6_636:                              ;   in Loop: Header=BB6_361 Depth=1
	s_or_b32 exec_lo, exec_lo, s21
	s_trap 2
	ds_load_b64 v[10:11], v0
	s_wait_dscnt 0x0
	v_add_nc_u64_e32 v[38:39], v[38:39], v[54:55]
	s_mov_b32 s21, exec_lo
	s_delay_alu instid0(VALU_DEP_1)
	v_cmpx_lt_u64_e64 v[10:11], v[38:39]
	s_cbranch_execz .LBB6_645
; %bb.637:                              ;   in Loop: Header=BB6_361 Depth=1
	s_mov_b32 s22, 0
	s_mov_b32 s25, 0
                                        ; implicit-def: $sgpr23
                                        ; implicit-def: $sgpr24
	s_branch .LBB6_639
.LBB6_638:                              ;   in Loop: Header=BB6_639 Depth=2
	s_or_b32 exec_lo, exec_lo, s27
	s_delay_alu instid0(SALU_CYCLE_1) | instskip(NEXT) | instid1(SALU_CYCLE_1)
	s_and_b32 s26, exec_lo, s28
	s_or_b32 s22, s26, s22
	s_and_not1_b32 s23, s23, exec_lo
	s_and_b32 s26, s24, exec_lo
	s_delay_alu instid0(SALU_CYCLE_1)
	s_or_b32 s23, s23, s26
	s_and_not1_b32 exec_lo, exec_lo, s22
	s_cbranch_execz .LBB6_643
.LBB6_639:                              ;   Parent Loop BB6_361 Depth=1
                                        ; =>  This Inner Loop Header: Depth=2
	s_add_co_i32 s25, s25, 1
	s_delay_alu instid0(SALU_CYCLE_1) | instskip(SKIP_1) | instid1(SALU_CYCLE_1)
	s_cmp_lg_u32 s25, 0x2710
	s_cselect_b32 s26, -1, 0
	s_and_b32 vcc_lo, exec_lo, s26
	s_cbranch_vccz .LBB6_641
; %bb.640:                              ;   in Loop: Header=BB6_639 Depth=2
	s_mov_b32 s28, -1
	s_or_b32 s24, s24, exec_lo
	s_and_saveexec_b32 s27, s26
	s_cbranch_execz .LBB6_638
	s_branch .LBB6_642
.LBB6_641:                              ;   in Loop: Header=BB6_639 Depth=2
	s_trap 2
	ds_load_b64 v[10:11], v0
	s_and_not1_b32 s26, s26, exec_lo
	s_mov_b32 s25, 0
	s_wait_loadcnt_dscnt 0x0
	flat_load_b32 v10, v[10:11] scope:SCOPE_SYS
	s_wait_loadcnt_dscnt 0x0
	global_inv scope:SCOPE_SYS
	v_cmp_eq_u32_e32 vcc_lo, 0, v10
	s_and_b32 s27, vcc_lo, exec_lo
	s_delay_alu instid0(SALU_CYCLE_1)
	s_or_b32 s26, s26, s27
	s_mov_b32 s28, -1
	s_or_b32 s24, s24, exec_lo
	s_and_saveexec_b32 s27, s26
	s_cbranch_execz .LBB6_638
.LBB6_642:                              ;   in Loop: Header=BB6_639 Depth=2
	s_sleep 1
	s_trap 2
	ds_load_b64 v[10:11], v0
	s_wait_dscnt 0x0
	s_and_not1_b32 s24, s24, exec_lo
	v_cmp_ge_u64_e32 vcc_lo, v[10:11], v[38:39]
	s_or_not1_b32 s28, vcc_lo, exec_lo
	s_branch .LBB6_638
.LBB6_643:                              ;   in Loop: Header=BB6_361 Depth=1
	s_or_b32 exec_lo, exec_lo, s22
	s_and_saveexec_b32 s22, s23
	s_delay_alu instid0(SALU_CYCLE_1)
	s_xor_b32 s22, exec_lo, s22
	s_cbranch_execz .LBB6_645
; %bb.644:                              ;   in Loop: Header=BB6_361 Depth=1
	ds_store_b32 v0, v112
	s_trap 2
.LBB6_645:                              ;   in Loop: Header=BB6_361 Depth=1
	s_or_b32 exec_lo, exec_lo, s21
	;;#ASMSTART
	s_wakeup
	;;#ASMEND
.LBB6_646:                              ;   in Loop: Header=BB6_361 Depth=1
	s_or_b32 exec_lo, exec_lo, s13
.LBB6_647:                              ;   in Loop: Header=BB6_361 Depth=1
	s_and_not1_saveexec_b32 s12, s12
	s_cbranch_execz .LBB6_649
; %bb.648:                              ;   in Loop: Header=BB6_361 Depth=1
	global_wb scope:SCOPE_DEV
	s_wait_storecnt 0x0
	s_wait_loadcnt_dscnt 0x0
	global_inv scope:SCOPE_DEV
	s_barrier_signal -1
	s_barrier_wait -1
.LBB6_649:                              ;   in Loop: Header=BB6_361 Depth=1
	s_or_b32 exec_lo, exec_lo, s12
.LBB6_650:                              ;   in Loop: Header=BB6_361 Depth=1
	s_delay_alu instid0(SALU_CYCLE_1) | instskip(SKIP_3) | instid1(VALU_DEP_1)
	s_or_b32 exec_lo, exec_lo, s7
	s_trap 2
	ds_load_b32 v10, v0
	v_sub_nc_u32_e32 v11, v82, v14
	v_min_i32_e32 v11, v83, v11
	s_delay_alu instid0(VALU_DEP_1) | instskip(SKIP_4) | instid1(VALU_DEP_1)
	v_cmp_lt_i32_e32 vcc_lo, 0, v11
	s_wait_dscnt 0x0
	v_readfirstlane_b32 s7, v10
	v_and_b32_e32 v10, 16, v30
	s_cmp_eq_u32 s7, 0
	v_cmp_ne_u32_e64 s7, 0, v10
	s_cselect_b32 s12, -1, 0
	s_delay_alu instid0(SALU_CYCLE_1) | instskip(NEXT) | instid1(SALU_CYCLE_1)
	s_and_b32 s12, vcc_lo, s12
	s_and_b32 s12, s7, s12
	s_delay_alu instid0(SALU_CYCLE_1)
	s_and_saveexec_b32 s7, s12
	s_cbranch_execz .LBB6_652
; %bb.651:                              ;   in Loop: Header=BB6_361 Depth=1
	global_wb scope:SCOPE_SYS
	s_wait_loadcnt 0x0
	s_wait_storecnt 0x0
	global_inv scope:SCOPE_SYS
.LBB6_652:                              ;   in Loop: Header=BB6_361 Depth=1
	s_or_b32 exec_lo, exec_lo, s7
	v_and_b32_e32 v10, 32, v30
	s_mov_b32 s7, exec_lo
	s_delay_alu instid0(VALU_DEP_1)
	v_cmpx_ne_u32_e32 0, v10
	s_cbranch_execz .LBB6_359
; %bb.653:                              ;   in Loop: Header=BB6_361 Depth=1
	v_add_nc_u64_e32 v[8:9], 1, v[8:9]
	global_wb scope:SCOPE_SYS
	s_wait_loadcnt 0x0
	s_wait_storecnt 0x0
	flat_store_b64 v[32:33], v[8:9] scope:SCOPE_SYS
	s_branch .LBB6_359
.LBB6_654:
	s_or_b32 exec_lo, exec_lo, s18
.LBB6_655:
	s_delay_alu instid0(SALU_CYCLE_1)
	s_or_b32 exec_lo, exec_lo, s17
.LBB6_656:
	s_delay_alu instid0(SALU_CYCLE_1)
	s_or_b32 exec_lo, exec_lo, s11
                                        ; implicit-def: $vgpr26_vgpr27
                                        ; implicit-def: $vgpr4_vgpr5
                                        ; implicit-def: $vgpr52_vgpr53
                                        ; implicit-def: $vgpr34
                                        ; implicit-def: $vgpr48_vgpr49
                                        ; implicit-def: $vgpr36_vgpr37
                                        ; implicit-def: $vgpr32_vgpr33
                                        ; implicit-def: $vgpr0
                                        ; implicit-def: $vgpr15
                                        ; implicit-def: $vgpr50_vgpr51
.LBB6_657:
	s_and_not1_saveexec_b32 s11, s16
	s_cbranch_execz .LBB6_831
; %bb.658:
	v_mov_b64_e32 v[38:39], 0
	s_mov_b32 s12, exec_lo
	v_cmpx_ne_u64_e32 0, v[4:5]
	s_cbranch_execz .LBB6_830
; %bb.659:
	v_dual_ashrrev_i32 v35, 31, v34 :: v_dual_bitop2_b32 v10, 31, v31 bitop3:0x40
	v_dual_mov_b32 v11, 0 :: v_dual_bitop2_b32 v82, 31, v0 bitop3:0x40
	v_dual_lshrrev_b32 v12, 5, v1 :: v_dual_lshrrev_b32 v83, 5, v0
	s_delay_alu instid0(VALU_DEP_3) | instskip(NEXT) | instid1(VALU_DEP_3)
	v_cmp_eq_u32_e64 s4, 0, v10
	v_dual_mov_b32 v13, v11 :: v_dual_lshlrev_b32 v10, 4, v82
	s_delay_alu instid0(VALU_DEP_3)
	v_dual_lshlrev_b32 v18, 1, v1 :: v_dual_lshlrev_b32 v14, 11, v12
	s_lshr_b32 s2, s15, 27
	v_cmp_eq_u32_e32 vcc_lo, 32, v1
	v_mov_b64_e32 v[20:21], 0
	s_wait_dscnt 0x1
	v_cmp_ne_u64_e64 s7, 0, v[52:53]
	s_wait_dscnt 0x0
	v_mov_b64_e32 v[24:25], 0
	v_mov_b64_e32 v[38:39], 0
	v_cmp_ge_u32_e64 s1, v0, v1
	s_add_co_i32 s15, s15, s2
	v_cmp_ne_u32_e64 s2, 32, v1
	v_cmp_ne_u32_e64 s3, v1, v114
	v_cmp_eq_u32_e64 s5, 0, v82
	v_cmp_lt_u32_e64 s6, v82, v15
	v_dual_mov_b32 v15, v11 :: v_dual_lshlrev_b32 v16, 9, v12
	v_dual_mov_b32 v17, v11 :: v_dual_mov_b32 v19, v11
	v_and_b32_e32 v18, 0x3fc0, v18
	v_lshl_or_b32 v22, v83, 11, v10
	v_dual_mov_b32 v23, v11 :: v_dual_mov_b32 v84, 1
	s_ashr_i32 s15, s15, 5
	s_mov_b32 s13, 0
	s_xor_b32 s16, vcc_lo, -1
	s_trap 2
	s_branch .LBB6_663
.LBB6_660:                              ;   in Loop: Header=BB6_663 Depth=1
	s_wait_xcnt 0x0
	s_or_b32 exec_lo, exec_lo, s17
	v_add_nc_u64_e32 v[8:9], 1, v[8:9]
	global_wb scope:SCOPE_SYS
	s_wait_storecnt 0x0
	s_wait_loadcnt_dscnt 0x0
	flat_store_b64 v[32:33], v[8:9] scope:SCOPE_SYS
.LBB6_661:                              ;   in Loop: Header=BB6_663 Depth=1
	s_wait_xcnt 0x0
	s_or_b32 exec_lo, exec_lo, s10
.LBB6_662:                              ;   in Loop: Header=BB6_663 Depth=1
	s_delay_alu instid0(SALU_CYCLE_1) | instskip(SKIP_1) | instid1(VALU_DEP_1)
	s_or_b32 exec_lo, exec_lo, s18
	v_add_nc_u64_e32 v[24:25], v[24:25], v[50:51]
	v_cmp_ge_u64_e32 vcc_lo, v[24:25], v[4:5]
	s_or_b32 s13, vcc_lo, s13
	s_delay_alu instid0(SALU_CYCLE_1)
	s_and_not1_b32 exec_lo, exec_lo, s13
	s_cbranch_execz .LBB6_829
.LBB6_663:                              ; =>This Loop Header: Depth=1
                                        ;     Child Loop BB6_672 Depth 2
                                        ;     Child Loop BB6_696 Depth 2
	;; [unrolled: 1-line block ×10, first 2 shown]
	v_sub_nc_u64_e32 v[54:55], v[4:5], v[24:25]
	s_delay_alu instid0(VALU_DEP_1) | instskip(NEXT) | instid1(VALU_DEP_1)
	v_min_u64 v[54:55], v[50:51], v[54:55]
	v_add_nc_u32_e32 v10, 15, v54
	s_delay_alu instid0(VALU_DEP_2) | instskip(NEXT) | instid1(VALU_DEP_2)
	v_cmp_eq_u64_e32 vcc_lo, 0, v[54:55]
	v_and_b32_e32 v10, 0x3ffffff0, v10
	s_or_b32 s17, s1, vcc_lo
	s_delay_alu instid0(SALU_CYCLE_1) | instskip(NEXT) | instid1(VALU_DEP_1)
	s_xor_b32 s10, s17, -1
	v_dual_mov_b32 v10, 0 :: v_dual_max_i32 v55, s15, v10
	s_and_saveexec_b32 s18, s10
	s_cbranch_execz .LBB6_780
; %bb.664:                              ;   in Loop: Header=BB6_663 Depth=1
	s_and_saveexec_b32 s10, s0
	s_cbranch_execz .LBB6_666
; %bb.665:                              ;   in Loop: Header=BB6_663 Depth=1
	s_trap 2
	ds_load_b64 v[64:65], v0
	s_wait_dscnt 0x0
	v_lshl_add_u64 v[64:65], v[26:27], 1, v[64:65]
	s_delay_alu instid0(VALU_DEP_1)
	v_lshl_add_u64 v[64:65], v[24:25], 1, v[64:65]
	ds_store_b64 v0, v[64:65]
	ds_store_b64 v0, v[20:21]
.LBB6_666:                              ;   in Loop: Header=BB6_663 Depth=1
	s_or_b32 exec_lo, exec_lo, s10
	v_and_b32_e32 v10, 8, v30
	v_min_u32_e32 v55, v55, v54
	s_mov_b32 s19, exec_lo
	s_delay_alu instid0(VALU_DEP_2)
	v_cmpx_ne_u32_e32 0, v10
	s_cbranch_execz .LBB6_688
; %bb.667:                              ;   in Loop: Header=BB6_663 Depth=1
	s_wait_loadcnt 0x0
	v_add_nc_u64_e32 v[66:67], 8, v[48:49]
	v_add_nc_u64_e32 v[64:65], 1, v[8:9]
	s_mov_b32 s20, exec_lo
	s_delay_alu instid0(VALU_DEP_1)
	v_cmpx_lt_u64_e64 v[66:67], v[64:65]
	s_cbranch_execz .LBB6_679
; %bb.668:                              ;   in Loop: Header=BB6_663 Depth=1
	v_and_b32_e32 v9, 64, v30
	s_mov_b32 s21, 0
	s_mov_b32 s25, 0
                                        ; implicit-def: $sgpr22
                                        ; implicit-def: $sgpr23
                                        ; implicit-def: $sgpr24
	s_delay_alu instid0(VALU_DEP_1)
	v_cmp_eq_u32_e32 vcc_lo, 0, v9
	s_branch .LBB6_672
.LBB6_669:                              ;   in Loop: Header=BB6_672 Depth=2
	s_wait_loadcnt_dscnt 0x0
	v_add_nc_u64_e32 v[66:67], 8, v[48:49]
	s_or_b32 s28, s28, exec_lo
	s_delay_alu instid0(VALU_DEP_1)
	v_cmp_ge_u64_e64 s10, v[66:67], v[64:65]
	s_or_not1_b32 s27, s10, exec_lo
.LBB6_670:                              ;   in Loop: Header=BB6_672 Depth=2
	s_or_b32 exec_lo, exec_lo, s40
	s_delay_alu instid0(SALU_CYCLE_1)
	s_and_not1_b32 s10, s24, exec_lo
	s_and_b32 s24, s28, exec_lo
	s_and_not1_b32 s23, s23, exec_lo
	s_and_b32 s27, s27, exec_lo
	s_or_b32 s24, s10, s24
	s_or_b32 s23, s23, s27
.LBB6_671:                              ;   in Loop: Header=BB6_672 Depth=2
	s_or_b32 exec_lo, exec_lo, s26
	s_delay_alu instid0(SALU_CYCLE_1) | instskip(NEXT) | instid1(SALU_CYCLE_1)
	s_and_b32 s10, exec_lo, s23
	s_or_b32 s21, s10, s21
	s_and_not1_b32 s10, s22, exec_lo
	s_and_b32 s22, s24, exec_lo
	s_delay_alu instid0(SALU_CYCLE_1)
	s_or_b32 s22, s10, s22
	s_and_not1_b32 exec_lo, exec_lo, s21
	s_cbranch_execz .LBB6_676
.LBB6_672:                              ;   Parent Loop BB6_663 Depth=1
                                        ; =>  This Inner Loop Header: Depth=2
	s_sleep 1
	s_wait_loadcnt_dscnt 0x0
	flat_load_b64 v[48:49], v[32:33] scope:SCOPE_SYS
	s_or_b32 s24, s24, exec_lo
	s_or_b32 s23, s23, exec_lo
                                        ; implicit-def: $vgpr9
	s_wait_xcnt 0x0
	s_and_saveexec_b32 s26, vcc_lo
	s_cbranch_execz .LBB6_671
; %bb.673:                              ;   in Loop: Header=BB6_672 Depth=2
	s_cmp_lt_i32 s25, 0x270f
	s_mov_b32 s27, -1
	s_cselect_b32 s29, -1, 0
	s_cmp_gt_i32 s25, 0x270e
	s_cbranch_scc0 .LBB6_675
; %bb.674:                              ;   in Loop: Header=BB6_672 Depth=2
	s_trap 2
	ds_load_b64 v[66:67], v0
	s_and_not1_b32 s25, s29, exec_lo
	s_mov_b32 s28, 0
	s_wait_storecnt 0x0
	s_wait_loadcnt_dscnt 0x0
	flat_load_b32 v9, v[66:67] scope:SCOPE_SYS
	s_wait_loadcnt_dscnt 0x0
	global_inv scope:SCOPE_SYS
	v_cmp_eq_u32_e64 s10, 0, v9
	s_and_b32 s10, s10, exec_lo
	s_delay_alu instid0(SALU_CYCLE_1)
	s_or_b32 s29, s25, s10
	s_mov_b32 s25, 0
	s_and_saveexec_b32 s40, s29
	s_cbranch_execz .LBB6_670
	s_branch .LBB6_669
.LBB6_675:                              ;   in Loop: Header=BB6_672 Depth=2
	s_add_co_i32 s25, s25, 1
	s_mov_b32 s28, -1
                                        ; implicit-def: $vgpr9
	s_and_saveexec_b32 s40, s29
	s_cbranch_execz .LBB6_670
	s_branch .LBB6_669
.LBB6_676:                              ;   in Loop: Header=BB6_663 Depth=1
	s_or_b32 exec_lo, exec_lo, s21
	s_xor_b32 s10, s22, -1
	s_delay_alu instid0(SALU_CYCLE_1) | instskip(NEXT) | instid1(SALU_CYCLE_1)
	s_and_saveexec_b32 s21, s10
	s_xor_b32 s10, exec_lo, s21
	s_cbranch_execz .LBB6_678
; %bb.677:                              ;   in Loop: Header=BB6_663 Depth=1
	v_or_b32_e32 v30, 64, v30
	s_wait_storecnt 0x0
	s_wait_loadcnt_dscnt 0x0
	ds_store_b32 v0, v9
	s_trap 2
.LBB6_678:                              ;   in Loop: Header=BB6_663 Depth=1
	s_or_b32 exec_lo, exec_lo, s10
.LBB6_679:                              ;   in Loop: Header=BB6_663 Depth=1
	s_delay_alu instid0(SALU_CYCLE_1) | instskip(SKIP_4) | instid1(VALU_DEP_2)
	s_or_b32 exec_lo, exec_lo, s20
	v_and_b32_e32 v9, 0x100, v30
	v_and_b32_e32 v10, 7, v8
	s_mov_b32 s10, -1
	;;#ASMSTART
	s_wakeup
	;;#ASMEND
	v_cmp_ne_u32_e32 vcc_lo, 0, v9
                                        ; implicit-def: $vgpr8_vgpr9
	s_and_saveexec_b32 s20, vcc_lo
	s_cbranch_execz .LBB6_683
; %bb.680:                              ;   in Loop: Header=BB6_663 Depth=1
	v_mad_nc_u64_u32 v[66:67], v10, 24, v[6:7]
	v_dual_mov_b32 v9, v11 :: v_dual_lshlrev_b32 v8, 1, v55
	s_mov_b32 s21, exec_lo
	s_clause 0x1
	flat_load_b32 v68, v[66:67]
	flat_store_b64 v[66:67], v[8:9] offset:8
                                        ; implicit-def: $vgpr8_vgpr9
	s_wait_loadcnt_dscnt 0x1
	v_cmp_ne_u32_e32 vcc_lo, 1, v68
	s_wait_xcnt 0x0
	v_cmpx_eq_u32_e32 1, v68
	s_cbranch_execz .LBB6_682
; %bb.681:                              ;   in Loop: Header=BB6_663 Depth=1
	flat_load_b32 v8, v[66:67] offset:4 scope:SCOPE_SYS
	s_wait_loadcnt_dscnt 0x0
	v_ashrrev_i32_e32 v9, 31, v8
	s_delay_alu instid0(VALU_DEP_1)
	v_lshrrev_b64 v[8:9], 1, v[8:9]
.LBB6_682:                              ;   in Loop: Header=BB6_663 Depth=1
	s_wait_xcnt 0x0
	s_or_b32 exec_lo, exec_lo, s21
	s_delay_alu instid0(SALU_CYCLE_1)
	s_or_not1_b32 s10, vcc_lo, exec_lo
.LBB6_683:                              ;   in Loop: Header=BB6_663 Depth=1
	s_or_b32 exec_lo, exec_lo, s20
	s_and_saveexec_b32 s20, s10
; %bb.684:                              ;   in Loop: Header=BB6_663 Depth=1
	v_mul_u64_e32 v[8:9], v[10:11], v[34:35]
; %bb.685:                              ;   in Loop: Header=BB6_663 Depth=1
	s_or_b32 exec_lo, exec_lo, s20
	v_and_b32_e32 v10, 0x2000, v30
	s_delay_alu instid0(VALU_DEP_2)
	v_lshl_add_u64 v[8:9], v[8:9], 1, v[36:37]
	s_mov_b32 s10, exec_lo
	ds_store_b64 v0, v[8:9] offset:784
	v_cmpx_ne_u32_e32 0, v10
	s_cbranch_execz .LBB6_687
; %bb.686:                              ;   in Loop: Header=BB6_663 Depth=1
	ds_load_b64 v[8:9], v0 offset:872
	s_wait_dscnt 0x0
	v_add_nc_u64_e32 v[8:9], 1, v[8:9]
	ds_store_b64 v0, v[8:9] offset:872
.LBB6_687:                              ;   in Loop: Header=BB6_663 Depth=1
	s_or_b32 exec_lo, exec_lo, s10
	v_mov_b64_e32 v[8:9], v[64:65]
.LBB6_688:                              ;   in Loop: Header=BB6_663 Depth=1
	s_or_b32 exec_lo, exec_lo, s19
	s_and_saveexec_b32 s10, s2
	s_cbranch_execz .LBB6_707
; %bb.689:                              ;   in Loop: Header=BB6_663 Depth=1
	s_and_saveexec_b32 s19, s3
	s_delay_alu instid0(SALU_CYCLE_1)
	s_xor_b32 s19, exec_lo, s19
	s_cbranch_execz .LBB6_704
; %bb.690:                              ;   in Loop: Header=BB6_663 Depth=1
	s_and_saveexec_b32 s20, s4
	s_cbranch_execz .LBB6_703
; %bb.691:                              ;   in Loop: Header=BB6_663 Depth=1
	s_mov_b32 s22, exec_lo
	s_mov_b32 s21, exec_lo
	v_mbcnt_lo_u32_b32 v10, s22, 0
	global_wb scope:SCOPE_DEV
	s_wait_storecnt 0x0
	s_wait_loadcnt_dscnt 0x0
	global_inv scope:SCOPE_DEV
	v_cmpx_eq_u32_e32 0, v10
	s_cbranch_execz .LBB6_693
; %bb.692:                              ;   in Loop: Header=BB6_663 Depth=1
	s_bcnt1_i32_b32 s22, s22
	s_delay_alu instid0(SALU_CYCLE_1)
	v_mov_b32_e32 v10, s22
	s_wait_loadcnt 0x0
	ds_add_u64 v0, v[10:11]
	s_trap 2
.LBB6_693:                              ;   in Loop: Header=BB6_663 Depth=1
	s_or_b32 exec_lo, exec_lo, s21
	s_trap 2
	ds_load_b64 v[64:65], v0
	s_wait_dscnt 0x0
	v_add_nc_u64_e32 v[38:39], v[38:39], v[12:13]
	s_mov_b32 s21, exec_lo
	s_delay_alu instid0(VALU_DEP_1)
	v_cmpx_lt_u64_e64 v[64:65], v[38:39]
	s_cbranch_execz .LBB6_702
; %bb.694:                              ;   in Loop: Header=BB6_663 Depth=1
	s_mov_b32 s22, 0
	s_mov_b32 s25, 0
                                        ; implicit-def: $sgpr23
                                        ; implicit-def: $sgpr24
	s_branch .LBB6_696
.LBB6_695:                              ;   in Loop: Header=BB6_696 Depth=2
	s_or_b32 exec_lo, exec_lo, s27
	s_delay_alu instid0(SALU_CYCLE_1) | instskip(NEXT) | instid1(SALU_CYCLE_1)
	s_and_b32 s26, exec_lo, s28
	s_or_b32 s22, s26, s22
	s_and_not1_b32 s23, s23, exec_lo
	s_and_b32 s26, s24, exec_lo
	s_delay_alu instid0(SALU_CYCLE_1)
	s_or_b32 s23, s23, s26
	s_and_not1_b32 exec_lo, exec_lo, s22
	s_cbranch_execz .LBB6_700
.LBB6_696:                              ;   Parent Loop BB6_663 Depth=1
                                        ; =>  This Inner Loop Header: Depth=2
	s_add_co_i32 s25, s25, 1
	s_delay_alu instid0(SALU_CYCLE_1) | instskip(SKIP_1) | instid1(SALU_CYCLE_1)
	s_cmp_lg_u32 s25, 0x2710
	s_cselect_b32 s26, -1, 0
	s_and_b32 vcc_lo, exec_lo, s26
	s_cbranch_vccz .LBB6_698
; %bb.697:                              ;   in Loop: Header=BB6_696 Depth=2
	s_mov_b32 s28, -1
	s_or_b32 s24, s24, exec_lo
	s_and_saveexec_b32 s27, s26
	s_cbranch_execz .LBB6_695
	s_branch .LBB6_699
.LBB6_698:                              ;   in Loop: Header=BB6_696 Depth=2
	s_trap 2
	ds_load_b64 v[64:65], v0
	s_and_not1_b32 s26, s26, exec_lo
	s_mov_b32 s25, 0
	s_wait_loadcnt_dscnt 0x0
	flat_load_b32 v10, v[64:65] scope:SCOPE_SYS
	s_wait_loadcnt_dscnt 0x0
	global_inv scope:SCOPE_SYS
	v_cmp_eq_u32_e32 vcc_lo, 0, v10
	s_and_b32 s27, vcc_lo, exec_lo
	s_delay_alu instid0(SALU_CYCLE_1)
	s_or_b32 s26, s26, s27
	s_mov_b32 s28, -1
	s_or_b32 s24, s24, exec_lo
	s_and_saveexec_b32 s27, s26
	s_cbranch_execz .LBB6_695
.LBB6_699:                              ;   in Loop: Header=BB6_696 Depth=2
	s_sleep 1
	s_trap 2
	ds_load_b64 v[64:65], v0
	s_wait_dscnt 0x0
	s_and_not1_b32 s24, s24, exec_lo
	v_cmp_ge_u64_e32 vcc_lo, v[64:65], v[38:39]
	s_or_not1_b32 s28, vcc_lo, exec_lo
	s_branch .LBB6_695
.LBB6_700:                              ;   in Loop: Header=BB6_663 Depth=1
	s_or_b32 exec_lo, exec_lo, s22
	s_and_saveexec_b32 s22, s23
	s_delay_alu instid0(SALU_CYCLE_1)
	s_xor_b32 s22, exec_lo, s22
	s_cbranch_execz .LBB6_702
; %bb.701:                              ;   in Loop: Header=BB6_663 Depth=1
	ds_store_b32 v0, v84
	s_trap 2
.LBB6_702:                              ;   in Loop: Header=BB6_663 Depth=1
	s_or_b32 exec_lo, exec_lo, s21
	;;#ASMSTART
	s_wakeup
	;;#ASMEND
.LBB6_703:                              ;   in Loop: Header=BB6_663 Depth=1
	s_or_b32 exec_lo, exec_lo, s20
.LBB6_704:                              ;   in Loop: Header=BB6_663 Depth=1
	s_and_not1_saveexec_b32 s19, s19
	s_cbranch_execz .LBB6_706
; %bb.705:                              ;   in Loop: Header=BB6_663 Depth=1
	global_wb scope:SCOPE_DEV
	s_wait_storecnt 0x0
	s_wait_loadcnt_dscnt 0x0
	global_inv scope:SCOPE_DEV
	s_barrier_signal -1
	s_barrier_wait -1
.LBB6_706:                              ;   in Loop: Header=BB6_663 Depth=1
	s_or_b32 exec_lo, exec_lo, s19
.LBB6_707:                              ;   in Loop: Header=BB6_663 Depth=1
	s_delay_alu instid0(SALU_CYCLE_1) | instskip(SKIP_3) | instid1(VALU_DEP_1)
	s_or_b32 exec_lo, exec_lo, s10
	s_trap 2
	ds_load_b32 v68, v0
	v_and_b32_e32 v10, 0x4000, v30
	v_cmp_ne_u32_e32 vcc_lo, 0, v10
	s_and_b32 s19, s16, vcc_lo
	s_delay_alu instid0(SALU_CYCLE_1)
	s_and_saveexec_b32 s10, s19
	s_cbranch_execz .LBB6_726
; %bb.708:                              ;   in Loop: Header=BB6_663 Depth=1
	s_and_saveexec_b32 s19, s3
	s_delay_alu instid0(SALU_CYCLE_1)
	s_xor_b32 s19, exec_lo, s19
	s_cbranch_execz .LBB6_723
; %bb.709:                              ;   in Loop: Header=BB6_663 Depth=1
	s_and_saveexec_b32 s20, s4
	s_cbranch_execz .LBB6_722
; %bb.710:                              ;   in Loop: Header=BB6_663 Depth=1
	s_mov_b32 s22, exec_lo
	s_mov_b32 s21, exec_lo
	v_mbcnt_lo_u32_b32 v10, s22, 0
	global_wb scope:SCOPE_DEV
	s_wait_storecnt 0x0
	s_wait_loadcnt_dscnt 0x0
	global_inv scope:SCOPE_DEV
	v_cmpx_eq_u32_e32 0, v10
	s_cbranch_execz .LBB6_712
; %bb.711:                              ;   in Loop: Header=BB6_663 Depth=1
	s_bcnt1_i32_b32 s22, s22
	s_delay_alu instid0(SALU_CYCLE_1)
	v_mov_b32_e32 v10, s22
	s_wait_loadcnt 0x0
	ds_add_u64 v0, v[10:11]
	s_trap 2
.LBB6_712:                              ;   in Loop: Header=BB6_663 Depth=1
	s_or_b32 exec_lo, exec_lo, s21
	s_trap 2
	ds_load_b64 v[64:65], v0
	s_wait_dscnt 0x0
	v_add_nc_u64_e32 v[38:39], v[38:39], v[12:13]
	s_mov_b32 s21, exec_lo
	s_delay_alu instid0(VALU_DEP_1)
	v_cmpx_lt_u64_e64 v[64:65], v[38:39]
	s_cbranch_execz .LBB6_721
; %bb.713:                              ;   in Loop: Header=BB6_663 Depth=1
	s_mov_b32 s22, 0
	s_mov_b32 s25, 0
                                        ; implicit-def: $sgpr23
                                        ; implicit-def: $sgpr24
	s_branch .LBB6_715
.LBB6_714:                              ;   in Loop: Header=BB6_715 Depth=2
	s_or_b32 exec_lo, exec_lo, s27
	s_delay_alu instid0(SALU_CYCLE_1) | instskip(NEXT) | instid1(SALU_CYCLE_1)
	s_and_b32 s26, exec_lo, s28
	s_or_b32 s22, s26, s22
	s_and_not1_b32 s23, s23, exec_lo
	s_and_b32 s26, s24, exec_lo
	s_delay_alu instid0(SALU_CYCLE_1)
	s_or_b32 s23, s23, s26
	s_and_not1_b32 exec_lo, exec_lo, s22
	s_cbranch_execz .LBB6_719
.LBB6_715:                              ;   Parent Loop BB6_663 Depth=1
                                        ; =>  This Inner Loop Header: Depth=2
	s_add_co_i32 s25, s25, 1
	s_delay_alu instid0(SALU_CYCLE_1) | instskip(SKIP_1) | instid1(SALU_CYCLE_1)
	s_cmp_lg_u32 s25, 0x2710
	s_cselect_b32 s26, -1, 0
	s_and_b32 vcc_lo, exec_lo, s26
	s_cbranch_vccz .LBB6_717
; %bb.716:                              ;   in Loop: Header=BB6_715 Depth=2
	s_mov_b32 s28, -1
	s_or_b32 s24, s24, exec_lo
	s_and_saveexec_b32 s27, s26
	s_cbranch_execz .LBB6_714
	s_branch .LBB6_718
.LBB6_717:                              ;   in Loop: Header=BB6_715 Depth=2
	s_trap 2
	ds_load_b64 v[64:65], v0
	s_and_not1_b32 s26, s26, exec_lo
	s_mov_b32 s25, 0
	s_wait_loadcnt_dscnt 0x0
	flat_load_b32 v10, v[64:65] scope:SCOPE_SYS
	s_wait_loadcnt_dscnt 0x0
	global_inv scope:SCOPE_SYS
	v_cmp_eq_u32_e32 vcc_lo, 0, v10
	s_and_b32 s27, vcc_lo, exec_lo
	s_delay_alu instid0(SALU_CYCLE_1)
	s_or_b32 s26, s26, s27
	s_mov_b32 s28, -1
	s_or_b32 s24, s24, exec_lo
	s_and_saveexec_b32 s27, s26
	s_cbranch_execz .LBB6_714
.LBB6_718:                              ;   in Loop: Header=BB6_715 Depth=2
	s_sleep 1
	s_trap 2
	ds_load_b64 v[64:65], v0
	s_wait_dscnt 0x0
	s_and_not1_b32 s24, s24, exec_lo
	v_cmp_ge_u64_e32 vcc_lo, v[64:65], v[38:39]
	s_or_not1_b32 s28, vcc_lo, exec_lo
	s_branch .LBB6_714
.LBB6_719:                              ;   in Loop: Header=BB6_663 Depth=1
	s_or_b32 exec_lo, exec_lo, s22
	s_and_saveexec_b32 s22, s23
	s_delay_alu instid0(SALU_CYCLE_1)
	s_xor_b32 s22, exec_lo, s22
	s_cbranch_execz .LBB6_721
; %bb.720:                              ;   in Loop: Header=BB6_663 Depth=1
	ds_store_b32 v0, v84
	s_trap 2
.LBB6_721:                              ;   in Loop: Header=BB6_663 Depth=1
	s_or_b32 exec_lo, exec_lo, s21
	;;#ASMSTART
	s_wakeup
	;;#ASMEND
.LBB6_722:                              ;   in Loop: Header=BB6_663 Depth=1
	s_or_b32 exec_lo, exec_lo, s20
.LBB6_723:                              ;   in Loop: Header=BB6_663 Depth=1
	s_and_not1_saveexec_b32 s19, s19
	s_cbranch_execz .LBB6_725
; %bb.724:                              ;   in Loop: Header=BB6_663 Depth=1
	global_wb scope:SCOPE_DEV
	s_wait_storecnt 0x0
	s_wait_loadcnt_dscnt 0x0
	global_inv scope:SCOPE_DEV
	s_barrier_signal -1
	s_barrier_wait -1
.LBB6_725:                              ;   in Loop: Header=BB6_663 Depth=1
	s_or_b32 exec_lo, exec_lo, s19
.LBB6_726:                              ;   in Loop: Header=BB6_663 Depth=1
	s_delay_alu instid0(SALU_CYCLE_1)
	s_or_b32 exec_lo, exec_lo, s10
	s_trap 2
	ds_load_b64 v[64:65], v0
	s_wait_dscnt 0x0
	v_cmp_eq_u64_e32 vcc_lo, 0, v[64:65]
	s_cbranch_vccnz .LBB6_734
; %bb.727:                              ;   in Loop: Header=BB6_663 Depth=1
	s_trap 2
	ds_load_b64 v[66:67], v0
	s_wait_dscnt 0x0
	v_cmp_eq_u64_e32 vcc_lo, 0, v[66:67]
	s_cbranch_vccnz .LBB6_734
; %bb.728:                              ;   in Loop: Header=BB6_663 Depth=1
	s_mov_b32 s10, -1
	s_and_saveexec_b32 s19, s5
	s_cbranch_execz .LBB6_730
; %bb.729:                              ;   in Loop: Header=BB6_663 Depth=1
	ds_load_b32 v10, v0 offset:720
	s_wait_dscnt 0x0
	v_and_b32_e32 v10, 15, v10
	s_delay_alu instid0(VALU_DEP_1)
	v_cmp_eq_u32_e32 vcc_lo, 0, v10
	s_or_not1_b32 s10, vcc_lo, exec_lo
.LBB6_730:                              ;   in Loop: Header=BB6_663 Depth=1
	s_or_b32 exec_lo, exec_lo, s19
	s_and_saveexec_b32 s19, s6
	s_cbranch_execz .LBB6_732
; %bb.731:                              ;   in Loop: Header=BB6_663 Depth=1
	ds_load_b32 v10, v0 offset:784
	s_wait_dscnt 0x0
	v_and_b32_e32 v10, 15, v10
	s_delay_alu instid0(VALU_DEP_1) | instskip(SKIP_3) | instid1(SALU_CYCLE_1)
	v_cmp_eq_u32_e32 vcc_lo, 0, v10
	s_and_b32 s20, s10, vcc_lo
	s_and_not1_b32 s10, s10, exec_lo
	s_and_b32 s20, s20, exec_lo
	s_or_b32 s10, s10, s20
.LBB6_732:                              ;   in Loop: Header=BB6_663 Depth=1
	s_or_b32 exec_lo, exec_lo, s19
	v_cmp_eq_u32_e32 vcc_lo, 0, v68
	s_xor_b32 s10, s10, -1
	s_mov_b32 s20, -1
	v_cndmask_b32_e64 v69, 0, 1, s10
	v_dual_mov_b32 v86, 0 :: v_dual_cndmask_b32 v10, 0, v55, vcc_lo
	s_delay_alu instid0(VALU_DEP_2) | instskip(NEXT) | instid1(VALU_DEP_2)
	v_cmp_ne_u32_e32 vcc_lo, 0, v69
	v_lshlrev_b32_e32 v85, 1, v10
	s_cbranch_vccz .LBB6_735
; %bb.733:                              ;   in Loop: Header=BB6_663 Depth=1
	v_mov_b32_e32 v87, v0
	s_and_saveexec_b32 s10, s20
	s_cbranch_execnz .LBB6_746
	s_branch .LBB6_754
.LBB6_734:                              ;   in Loop: Header=BB6_663 Depth=1
	s_mov_b32 s10, 0
	s_and_saveexec_b32 s19, s2
	s_cbranch_execnz .LBB6_755
	s_branch .LBB6_773
.LBB6_735:                              ;   in Loop: Header=BB6_663 Depth=1
	v_lshrrev_b32_e32 v81, 10, v10
	s_mov_b32 s10, exec_lo
	s_delay_alu instid0(VALU_DEP_1) | instskip(NEXT) | instid1(VALU_DEP_1)
	v_sub_nc_u32_e32 v80, v81, v83
	v_cmpx_lt_i32_e32 0, v80
	s_cbranch_execz .LBB6_739
; %bb.736:                              ;   in Loop: Header=BB6_663 Depth=1
	v_mov_b64_e32 v[68:69], v[66:67]
	v_mov_b64_e32 v[70:71], v[64:65]
	s_mov_b32 s19, 0
.LBB6_737:                              ;   Parent Loop BB6_663 Depth=1
                                        ; =>  This Inner Loop Header: Depth=2
	s_delay_alu instid0(VALU_DEP_1)
	v_add_nc_u64_e32 v[86:87], v[22:23], v[70:71]
	v_sub_nc_u32_e32 v80, v80, v12
	v_add_nc_u64_e32 v[70:71], v[70:71], v[14:15]
	s_clause 0x3
	global_load_b128 v[96:99], v[86:87], off th:TH_LOAD_NT
	global_load_b128 v[100:103], v[86:87], off offset:512 th:TH_LOAD_NT
	global_load_b128 v[116:119], v[86:87], off offset:1024 th:TH_LOAD_NT
	;; [unrolled: 1-line block ×3, first 2 shown]
	s_wait_xcnt 0x0
	v_add_nc_u64_e32 v[86:87], v[22:23], v[68:69]
	v_cmp_gt_i32_e32 vcc_lo, 1, v80
	v_add_nc_u64_e32 v[68:69], v[68:69], v[14:15]
	s_wait_loadcnt 0x3
	global_store_b128 v[86:87], v[96:99], off th:TH_STORE_NT
	s_wait_loadcnt 0x2
	global_store_b128 v[86:87], v[100:103], off offset:512 th:TH_STORE_NT
	s_wait_loadcnt 0x1
	global_store_b128 v[86:87], v[116:119], off offset:1024 th:TH_STORE_NT
	;; [unrolled: 2-line block ×3, first 2 shown]
	s_or_b32 s19, vcc_lo, s19
	s_wait_xcnt 0x0
	s_and_not1_b32 exec_lo, exec_lo, s19
	s_cbranch_execnz .LBB6_737
; %bb.738:                              ;   in Loop: Header=BB6_663 Depth=1
	s_or_b32 exec_lo, exec_lo, s19
.LBB6_739:                              ;   in Loop: Header=BB6_663 Depth=1
	s_delay_alu instid0(SALU_CYCLE_1) | instskip(SKIP_3) | instid1(VALU_DEP_1)
	s_or_b32 exec_lo, exec_lo, s10
	v_dual_lshlrev_b32 v70, 11, v81 :: v_dual_mov_b32 v86, 0
	s_mov_b32 s20, 0
	s_mov_b32 s19, exec_lo
                                        ; implicit-def: $vgpr87
	v_cmpx_ne_u32_e64 v85, v70
	s_cbranch_execz .LBB6_745
; %bb.740:                              ;   in Loop: Header=BB6_663 Depth=1
	v_dual_lshlrev_b32 v68, 5, v80 :: v_dual_sub_nc_u32 v86, v85, v70
	s_mov_b32 s20, exec_lo
	s_delay_alu instid0(VALU_DEP_1) | instskip(NEXT) | instid1(VALU_DEP_1)
	v_dual_sub_nc_u32 v68, v82, v68 :: v_dual_ashrrev_i32 v71, 31, v86
	v_dual_ashrrev_i32 v69, 31, v68 :: v_dual_lshrrev_b32 v71, 23, v71
	s_delay_alu instid0(VALU_DEP_1) | instskip(NEXT) | instid1(VALU_DEP_1)
	v_lshrrev_b32_e32 v69, 27, v69
	v_add_nc_u32_e32 v69, v68, v69
	s_delay_alu instid0(VALU_DEP_1) | instskip(NEXT) | instid1(VALU_DEP_1)
	v_and_b32_e32 v80, 0xffffffe0, v69
	v_dual_add_nc_u32 v87, v86, v71 :: v_dual_sub_nc_u32 v71, v68, v80
	s_delay_alu instid0(VALU_DEP_1) | instskip(SKIP_1) | instid1(VALU_DEP_2)
	v_and_b32_e32 v80, 0xfffffe00, v87
	v_dual_ashrrev_i32 v69, 5, v69 :: v_dual_ashrrev_i32 v87, 9, v87
	v_dual_lshlrev_b32 v68, 4, v71 :: v_dual_sub_nc_u32 v81, v86, v80
	s_delay_alu instid0(VALU_DEP_1) | instskip(NEXT) | instid1(VALU_DEP_2)
	v_lshl_add_u32 v68, v69, 9, v68
	v_cmp_lt_i32_e32 vcc_lo, 15, v81
	s_delay_alu instid0(VALU_DEP_4) | instskip(NEXT) | instid1(VALU_DEP_1)
	v_add_co_ci_u32_e64 v96, null, 0, v87, vcc_lo
	v_dual_sub_nc_u32 v87, v86, v68 :: v_dual_sub_nc_u32 v86, v96, v69
	s_delay_alu instid0(VALU_DEP_1)
	v_cmpx_lt_i32_e32 15, v87
	s_cbranch_execz .LBB6_744
; %bb.741:                              ;   in Loop: Header=BB6_663 Depth=1
	v_add_nc_u32_e32 v68, v68, v70
	s_mov_b32 s21, 0
	s_delay_alu instid0(VALU_DEP_1)
	v_ashrrev_i32_e32 v69, 31, v68
.LBB6_742:                              ;   Parent Loop BB6_663 Depth=1
                                        ; =>  This Inner Loop Header: Depth=2
	s_delay_alu instid0(VALU_DEP_1) | instskip(SKIP_4) | instid1(VALU_DEP_4)
	v_add_nc_u64_e32 v[96:97], v[64:65], v[68:69]
	v_sub_nc_u32_e32 v87, v87, v16
	v_add_nc_u64_e32 v[100:101], v[66:67], v[68:69]
	v_add_nc_u64_e32 v[68:69], v[68:69], v[16:17]
	v_sub_nc_u32_e32 v86, v86, v12
	v_cmp_gt_i32_e64 s10, 16, v87
	global_load_b128 v[96:99], v[96:97], off th:TH_LOAD_NT
	s_or_b32 s21, s10, s21
	s_wait_loadcnt 0x0
	global_store_b128 v[100:101], v[96:99], off th:TH_STORE_NT
	s_wait_xcnt 0x0
	s_and_not1_b32 exec_lo, exec_lo, s21
	s_cbranch_execnz .LBB6_742
; %bb.743:                              ;   in Loop: Header=BB6_663 Depth=1
	s_or_b32 exec_lo, exec_lo, s21
.LBB6_744:                              ;   in Loop: Header=BB6_663 Depth=1
	s_delay_alu instid0(SALU_CYCLE_1) | instskip(NEXT) | instid1(VALU_DEP_2)
	s_or_b32 exec_lo, exec_lo, s20
	v_cmp_lt_i32_e64 s10, 0, v86
	s_delay_alu instid0(VALU_DEP_1) | instskip(NEXT) | instid1(VALU_DEP_1)
	v_dual_cndmask_b32 v87, 0, v12, s10 :: v_dual_bitop2_b32 v68, 14, v85 bitop3:0x40
	v_dual_sub_nc_u32 v69, v81, v68 :: v_dual_cndmask_b32 v85, v81, v68, vcc_lo
	s_delay_alu instid0(VALU_DEP_1) | instskip(NEXT) | instid1(VALU_DEP_2)
	v_dual_cndmask_b32 v68, 0, v69 :: v_dual_sub_nc_u32 v69, v87, v86
	v_cmp_ne_u32_e32 vcc_lo, 0, v85
	s_delay_alu instid0(VALU_DEP_2) | instskip(NEXT) | instid1(VALU_DEP_3)
	v_add3_u32 v86, v80, v70, v68
	v_lshl_add_u32 v87, v69, 5, v71
	s_and_b32 s20, vcc_lo, exec_lo
.LBB6_745:                              ;   in Loop: Header=BB6_663 Depth=1
	s_or_b32 exec_lo, exec_lo, s19
	s_and_saveexec_b32 s10, s20
	s_cbranch_execz .LBB6_754
.LBB6_746:                              ;   in Loop: Header=BB6_663 Depth=1
	s_delay_alu instid0(VALU_DEP_1) | instskip(SKIP_1) | instid1(VALU_DEP_1)
	v_dual_ashrrev_i32 v68, 31, v87 :: v_dual_ashrrev_i32 v69, 31, v85
	s_mov_b32 s19, exec_lo
	v_dual_lshrrev_b32 v68, 27, v68 :: v_dual_lshrrev_b32 v69, 23, v69
	s_delay_alu instid0(VALU_DEP_1) | instskip(NEXT) | instid1(VALU_DEP_1)
	v_dual_add_nc_u32 v68, v87, v68 :: v_dual_add_nc_u32 v69, v85, v69
	v_dual_ashrrev_i32 v96, 5, v68 :: v_dual_ashrrev_i32 v98, 9, v69
	s_delay_alu instid0(VALU_DEP_1) | instskip(NEXT) | instid1(VALU_DEP_1)
	v_sub_nc_u32_e32 v97, v98, v96
	v_cmpx_lt_i32_e32 0, v97
	s_cbranch_execz .LBB6_750
; %bb.747:                              ;   in Loop: Header=BB6_663 Depth=1
	v_and_b32_e32 v68, 0x7fffffe0, v68
	v_lshlrev_b32_e32 v69, 9, v96
	v_mov_b64_e32 v[70:71], v[66:67]
	v_mov_b64_e32 v[80:81], v[64:65]
	s_mov_b32 s20, 0
	v_sub_nc_u32_e32 v68, v87, v68
	s_delay_alu instid0(VALU_DEP_1) | instskip(NEXT) | instid1(VALU_DEP_1)
	v_lshlrev_b32_e32 v68, 1, v68
	v_add3_u32 v68, v68, v86, v69
	s_delay_alu instid0(VALU_DEP_1)
	v_ashrrev_i32_e32 v69, 31, v68
.LBB6_748:                              ;   Parent Loop BB6_663 Depth=1
                                        ; =>  This Inner Loop Header: Depth=2
	s_delay_alu instid0(VALU_DEP_1)
	v_add_nc_u64_e32 v[100:101], v[68:69], v[80:81]
	v_sub_nc_u32_e32 v97, v97, v12
	v_add_nc_u64_e32 v[80:81], v[80:81], v[16:17]
	s_clause 0x7
	flat_load_u16 v99, v[100:101] th:TH_LOAD_NT
	flat_load_u16 v102, v[100:101] offset:64 th:TH_LOAD_NT
	flat_load_u16 v103, v[100:101] offset:128 th:TH_LOAD_NT
	;; [unrolled: 1-line block ×7, first 2 shown]
	s_wait_xcnt 0x0
	v_add_nc_u64_e32 v[100:101], v[68:69], v[70:71]
	v_add_nc_u64_e32 v[70:71], v[70:71], v[16:17]
	v_cmp_gt_i32_e32 vcc_lo, 1, v97
	s_wait_loadcnt_dscnt 0x707
	flat_store_b16 v[100:101], v99 th:TH_STORE_NT
	s_wait_loadcnt_dscnt 0x607
	flat_store_b16 v[100:101], v102 offset:64 th:TH_STORE_NT
	s_wait_loadcnt_dscnt 0x507
	flat_store_b16 v[100:101], v103 offset:128 th:TH_STORE_NT
	;; [unrolled: 2-line block ×7, first 2 shown]
	s_or_b32 s20, vcc_lo, s20
	s_wait_xcnt 0x0
	s_and_not1_b32 exec_lo, exec_lo, s20
	s_cbranch_execnz .LBB6_748
; %bb.749:                              ;   in Loop: Header=BB6_663 Depth=1
	s_or_b32 exec_lo, exec_lo, s20
.LBB6_750:                              ;   in Loop: Header=BB6_663 Depth=1
	s_delay_alu instid0(SALU_CYCLE_1) | instskip(SKIP_1) | instid1(VALU_DEP_1)
	s_or_b32 exec_lo, exec_lo, s19
	v_lshlrev_b32_e32 v68, 9, v98
	v_cmp_ne_u32_e32 vcc_lo, v85, v68
	s_and_b32 exec_lo, exec_lo, vcc_lo
	s_cbranch_execz .LBB6_754
; %bb.751:                              ;   in Loop: Header=BB6_663 Depth=1
	v_dual_lshlrev_b32 v69, 5, v96 :: v_dual_lshlrev_b32 v70, 5, v97
	s_delay_alu instid0(VALU_DEP_1) | instskip(NEXT) | instid1(VALU_DEP_1)
	v_sub_nc_u32_e32 v69, v87, v69
	v_sub_nc_u32_e32 v69, v69, v70
	s_delay_alu instid0(VALU_DEP_1) | instskip(NEXT) | instid1(VALU_DEP_1)
	v_ashrrev_i32_e32 v70, 31, v69
	v_lshrrev_b32_e32 v70, 27, v70
	s_delay_alu instid0(VALU_DEP_1) | instskip(NEXT) | instid1(VALU_DEP_1)
	v_add_nc_u32_e32 v70, v69, v70
	v_and_b32_e32 v71, 0x7fffffe0, v70
	s_delay_alu instid0(VALU_DEP_1) | instskip(NEXT) | instid1(VALU_DEP_1)
	v_dual_lshlrev_b32 v70, 1, v70 :: v_dual_sub_nc_u32 v69, v69, v71
	v_and_b32_e32 v70, 0xffffffc0, v70
	s_delay_alu instid0(VALU_DEP_2) | instskip(NEXT) | instid1(VALU_DEP_1)
	v_lshlrev_b32_e32 v69, 1, v69
	v_add3_u32 v68, v70, v69, v68
	s_delay_alu instid0(VALU_DEP_1) | instskip(NEXT) | instid1(VALU_DEP_1)
	v_sub_nc_u32_e32 v70, v85, v68
	v_cmp_lt_i32_e32 vcc_lo, 1, v70
	s_and_b32 exec_lo, exec_lo, vcc_lo
	s_cbranch_execz .LBB6_754
; %bb.752:                              ;   in Loop: Header=BB6_663 Depth=1
	v_add_nc_u32_e32 v68, v68, v86
	s_mov_b32 s19, 0
	s_delay_alu instid0(VALU_DEP_1)
	v_ashrrev_i32_e32 v69, 31, v68
.LBB6_753:                              ;   Parent Loop BB6_663 Depth=1
                                        ; =>  This Inner Loop Header: Depth=2
	s_delay_alu instid0(VALU_DEP_1) | instskip(SKIP_1) | instid1(VALU_DEP_1)
	v_add_nc_u64_e32 v[80:81], v[64:65], v[68:69]
	v_sub_nc_u32_e32 v70, v70, v18
	v_cmp_gt_i32_e32 vcc_lo, 2, v70
	flat_load_u16 v71, v[80:81] th:TH_LOAD_NT
	s_wait_xcnt 0x0
	v_add_nc_u64_e32 v[80:81], v[66:67], v[68:69]
	v_add_nc_u64_e32 v[68:69], v[68:69], v[18:19]
	s_or_b32 s19, vcc_lo, s19
	s_wait_loadcnt_dscnt 0x0
	flat_store_b16 v[80:81], v71 th:TH_STORE_NT
	s_wait_xcnt 0x0
	s_and_not1_b32 exec_lo, exec_lo, s19
	s_cbranch_execnz .LBB6_753
.LBB6_754:                              ;   in Loop: Header=BB6_663 Depth=1
	s_or_b32 exec_lo, exec_lo, s10
	v_cmp_ne_u32_e64 s10, 0, v10
	s_and_saveexec_b32 s19, s2
	s_cbranch_execz .LBB6_773
.LBB6_755:                              ;   in Loop: Header=BB6_663 Depth=1
	s_and_saveexec_b32 s20, s3
	s_delay_alu instid0(SALU_CYCLE_1)
	s_xor_b32 s20, exec_lo, s20
	s_cbranch_execz .LBB6_770
; %bb.756:                              ;   in Loop: Header=BB6_663 Depth=1
	s_and_saveexec_b32 s21, s4
	s_cbranch_execz .LBB6_769
; %bb.757:                              ;   in Loop: Header=BB6_663 Depth=1
	s_mov_b32 s23, exec_lo
	s_mov_b32 s22, exec_lo
	v_mbcnt_lo_u32_b32 v10, s23, 0
	global_wb scope:SCOPE_DEV
	s_wait_storecnt 0x0
	s_wait_loadcnt_dscnt 0x0
	global_inv scope:SCOPE_DEV
	v_cmpx_eq_u32_e32 0, v10
	s_cbranch_execz .LBB6_759
; %bb.758:                              ;   in Loop: Header=BB6_663 Depth=1
	s_bcnt1_i32_b32 s23, s23
	s_delay_alu instid0(SALU_CYCLE_1)
	v_mov_b32_e32 v10, s23
	s_wait_loadcnt 0x0
	ds_add_u64 v0, v[10:11]
	s_trap 2
.LBB6_759:                              ;   in Loop: Header=BB6_663 Depth=1
	s_or_b32 exec_lo, exec_lo, s22
	s_trap 2
	ds_load_b64 v[64:65], v0
	s_wait_dscnt 0x0
	v_add_nc_u64_e32 v[38:39], v[38:39], v[12:13]
	s_mov_b32 s22, exec_lo
	s_delay_alu instid0(VALU_DEP_1)
	v_cmpx_lt_u64_e64 v[64:65], v[38:39]
	s_cbranch_execz .LBB6_768
; %bb.760:                              ;   in Loop: Header=BB6_663 Depth=1
	s_mov_b32 s23, 0
	s_mov_b32 s26, 0
                                        ; implicit-def: $sgpr24
                                        ; implicit-def: $sgpr25
	s_branch .LBB6_762
.LBB6_761:                              ;   in Loop: Header=BB6_762 Depth=2
	s_or_b32 exec_lo, exec_lo, s28
	s_delay_alu instid0(SALU_CYCLE_1) | instskip(NEXT) | instid1(SALU_CYCLE_1)
	s_and_b32 s27, exec_lo, s29
	s_or_b32 s23, s27, s23
	s_and_not1_b32 s24, s24, exec_lo
	s_and_b32 s27, s25, exec_lo
	s_delay_alu instid0(SALU_CYCLE_1)
	s_or_b32 s24, s24, s27
	s_and_not1_b32 exec_lo, exec_lo, s23
	s_cbranch_execz .LBB6_766
.LBB6_762:                              ;   Parent Loop BB6_663 Depth=1
                                        ; =>  This Inner Loop Header: Depth=2
	s_add_co_i32 s26, s26, 1
	s_delay_alu instid0(SALU_CYCLE_1) | instskip(SKIP_1) | instid1(SALU_CYCLE_1)
	s_cmp_lg_u32 s26, 0x2710
	s_cselect_b32 s27, -1, 0
	s_and_b32 vcc_lo, exec_lo, s27
	s_cbranch_vccz .LBB6_764
; %bb.763:                              ;   in Loop: Header=BB6_762 Depth=2
	s_mov_b32 s29, -1
	s_or_b32 s25, s25, exec_lo
	s_and_saveexec_b32 s28, s27
	s_cbranch_execz .LBB6_761
	s_branch .LBB6_765
.LBB6_764:                              ;   in Loop: Header=BB6_762 Depth=2
	s_trap 2
	ds_load_b64 v[64:65], v0
	s_and_not1_b32 s27, s27, exec_lo
	s_mov_b32 s26, 0
	s_wait_loadcnt_dscnt 0x0
	flat_load_b32 v10, v[64:65] scope:SCOPE_SYS
	s_wait_loadcnt_dscnt 0x0
	global_inv scope:SCOPE_SYS
	v_cmp_eq_u32_e32 vcc_lo, 0, v10
	s_and_b32 s28, vcc_lo, exec_lo
	s_delay_alu instid0(SALU_CYCLE_1)
	s_or_b32 s27, s27, s28
	s_mov_b32 s29, -1
	s_or_b32 s25, s25, exec_lo
	s_and_saveexec_b32 s28, s27
	s_cbranch_execz .LBB6_761
.LBB6_765:                              ;   in Loop: Header=BB6_762 Depth=2
	s_sleep 1
	s_trap 2
	ds_load_b64 v[64:65], v0
	s_wait_dscnt 0x0
	s_and_not1_b32 s25, s25, exec_lo
	v_cmp_ge_u64_e32 vcc_lo, v[64:65], v[38:39]
	s_or_not1_b32 s29, vcc_lo, exec_lo
	s_branch .LBB6_761
.LBB6_766:                              ;   in Loop: Header=BB6_663 Depth=1
	s_or_b32 exec_lo, exec_lo, s23
	s_and_saveexec_b32 s23, s24
	s_delay_alu instid0(SALU_CYCLE_1)
	s_xor_b32 s23, exec_lo, s23
	s_cbranch_execz .LBB6_768
; %bb.767:                              ;   in Loop: Header=BB6_663 Depth=1
	ds_store_b32 v0, v84
	s_trap 2
.LBB6_768:                              ;   in Loop: Header=BB6_663 Depth=1
	s_or_b32 exec_lo, exec_lo, s22
	;;#ASMSTART
	s_wakeup
	;;#ASMEND
.LBB6_769:                              ;   in Loop: Header=BB6_663 Depth=1
	s_or_b32 exec_lo, exec_lo, s21
.LBB6_770:                              ;   in Loop: Header=BB6_663 Depth=1
	s_and_not1_saveexec_b32 s20, s20
	s_cbranch_execz .LBB6_772
; %bb.771:                              ;   in Loop: Header=BB6_663 Depth=1
	global_wb scope:SCOPE_DEV
	s_wait_storecnt 0x0
	s_wait_loadcnt_dscnt 0x0
	global_inv scope:SCOPE_DEV
	s_barrier_signal -1
	s_barrier_wait -1
.LBB6_772:                              ;   in Loop: Header=BB6_663 Depth=1
	s_or_b32 exec_lo, exec_lo, s20
.LBB6_773:                              ;   in Loop: Header=BB6_663 Depth=1
	s_delay_alu instid0(SALU_CYCLE_1) | instskip(SKIP_1) | instid1(VALU_DEP_1)
	s_or_b32 exec_lo, exec_lo, s19
	v_and_b32_e32 v10, 16, v30
	v_cmp_ne_u32_e32 vcc_lo, 0, v10
	s_and_b32 s19, vcc_lo, s10
	s_delay_alu instid0(SALU_CYCLE_1)
	s_and_saveexec_b32 s10, s19
	s_cbranch_execz .LBB6_775
; %bb.774:                              ;   in Loop: Header=BB6_663 Depth=1
	global_wb scope:SCOPE_SYS
	s_wait_storecnt 0x0
	s_wait_loadcnt_dscnt 0x0
	global_inv scope:SCOPE_SYS
.LBB6_775:                              ;   in Loop: Header=BB6_663 Depth=1
	s_or_b32 exec_lo, exec_lo, s10
	s_delay_alu instid0(SALU_CYCLE_1)
	s_mov_b32 s10, exec_lo
	v_cmpx_ne_u32_e32 0, v10
	s_cbranch_execz .LBB6_779
; %bb.776:                              ;   in Loop: Header=BB6_663 Depth=1
	s_and_saveexec_b32 s19, s7
	s_cbranch_execz .LBB6_778
; %bb.777:                              ;   in Loop: Header=BB6_663 Depth=1
	global_wb scope:SCOPE_SYS
	s_wait_storecnt 0x0
	s_wait_loadcnt_dscnt 0x0
	flat_store_b32 v[52:53], v84 scope:SCOPE_SYS
.LBB6_778:                              ;   in Loop: Header=BB6_663 Depth=1
	s_wait_xcnt 0x0
	s_or_b32 exec_lo, exec_lo, s19
	v_add_nc_u64_e32 v[8:9], 1, v[8:9]
	global_wb scope:SCOPE_SYS
	s_wait_storecnt 0x0
	s_wait_loadcnt_dscnt 0x0
	flat_store_b64 v[32:33], v[8:9] scope:SCOPE_SYS
.LBB6_779:                              ;   in Loop: Header=BB6_663 Depth=1
	s_wait_xcnt 0x0
	s_or_b32 exec_lo, exec_lo, s10
	v_mov_b32_e32 v10, v55
.LBB6_780:                              ;   in Loop: Header=BB6_663 Depth=1
	s_or_b32 exec_lo, exec_lo, s18
	s_and_saveexec_b32 s18, s17
	s_cbranch_execz .LBB6_662
; %bb.781:                              ;   in Loop: Header=BB6_663 Depth=1
	s_delay_alu instid0(VALU_DEP_1) | instskip(SKIP_2) | instid1(VALU_DEP_2)
	v_sub_nc_u32_e32 v10, v54, v10
	v_and_b32_e32 v64, 8, v30
	s_mov_b32 s17, exec_lo
	v_min_i32_e32 v54, v55, v10
	s_delay_alu instid0(VALU_DEP_2)
	v_cmpx_ne_u32_e32 0, v64
	s_cbranch_execz .LBB6_803
; %bb.782:                              ;   in Loop: Header=BB6_663 Depth=1
	s_wait_loadcnt 0x0
	v_add_nc_u64_e32 v[66:67], 8, v[48:49]
	v_add_nc_u64_e32 v[64:65], 1, v[8:9]
	s_mov_b32 s19, exec_lo
	s_delay_alu instid0(VALU_DEP_1)
	v_cmpx_lt_u64_e64 v[66:67], v[64:65]
	s_cbranch_execz .LBB6_794
; %bb.783:                              ;   in Loop: Header=BB6_663 Depth=1
	v_and_b32_e32 v9, 64, v30
	s_mov_b32 s20, 0
	s_mov_b32 s24, 0
                                        ; implicit-def: $sgpr21
                                        ; implicit-def: $sgpr22
                                        ; implicit-def: $sgpr23
	s_delay_alu instid0(VALU_DEP_1)
	v_cmp_eq_u32_e32 vcc_lo, 0, v9
	s_branch .LBB6_787
.LBB6_784:                              ;   in Loop: Header=BB6_787 Depth=2
	s_wait_loadcnt_dscnt 0x0
	v_add_nc_u64_e32 v[66:67], 8, v[48:49]
	s_or_b32 s27, s27, exec_lo
	s_delay_alu instid0(VALU_DEP_1)
	v_cmp_ge_u64_e64 s10, v[66:67], v[64:65]
	s_or_not1_b32 s26, s10, exec_lo
.LBB6_785:                              ;   in Loop: Header=BB6_787 Depth=2
	s_or_b32 exec_lo, exec_lo, s29
	s_delay_alu instid0(SALU_CYCLE_1)
	s_and_not1_b32 s10, s23, exec_lo
	s_and_b32 s23, s27, exec_lo
	s_and_not1_b32 s22, s22, exec_lo
	s_and_b32 s26, s26, exec_lo
	s_or_b32 s23, s10, s23
	s_or_b32 s22, s22, s26
.LBB6_786:                              ;   in Loop: Header=BB6_787 Depth=2
	s_or_b32 exec_lo, exec_lo, s25
	s_delay_alu instid0(SALU_CYCLE_1) | instskip(NEXT) | instid1(SALU_CYCLE_1)
	s_and_b32 s10, exec_lo, s22
	s_or_b32 s20, s10, s20
	s_and_not1_b32 s10, s21, exec_lo
	s_and_b32 s21, s23, exec_lo
	s_delay_alu instid0(SALU_CYCLE_1)
	s_or_b32 s21, s10, s21
	s_and_not1_b32 exec_lo, exec_lo, s20
	s_cbranch_execz .LBB6_791
.LBB6_787:                              ;   Parent Loop BB6_663 Depth=1
                                        ; =>  This Inner Loop Header: Depth=2
	s_sleep 1
	s_wait_loadcnt_dscnt 0x0
	flat_load_b64 v[48:49], v[32:33] scope:SCOPE_SYS
	s_or_b32 s23, s23, exec_lo
	s_or_b32 s22, s22, exec_lo
                                        ; implicit-def: $vgpr9
	s_wait_xcnt 0x0
	s_and_saveexec_b32 s25, vcc_lo
	s_cbranch_execz .LBB6_786
; %bb.788:                              ;   in Loop: Header=BB6_787 Depth=2
	s_cmp_lt_i32 s24, 0x270f
	s_mov_b32 s26, -1
	s_cselect_b32 s28, -1, 0
	s_cmp_gt_i32 s24, 0x270e
	s_cbranch_scc0 .LBB6_790
; %bb.789:                              ;   in Loop: Header=BB6_787 Depth=2
	s_trap 2
	ds_load_b64 v[66:67], v0
	s_and_not1_b32 s24, s28, exec_lo
	s_mov_b32 s27, 0
	s_wait_storecnt 0x0
	s_wait_loadcnt_dscnt 0x0
	flat_load_b32 v9, v[66:67] scope:SCOPE_SYS
	s_wait_loadcnt_dscnt 0x0
	global_inv scope:SCOPE_SYS
	v_cmp_eq_u32_e64 s10, 0, v9
	s_and_b32 s10, s10, exec_lo
	s_delay_alu instid0(SALU_CYCLE_1)
	s_or_b32 s28, s24, s10
	s_mov_b32 s24, 0
	s_and_saveexec_b32 s29, s28
	s_cbranch_execz .LBB6_785
	s_branch .LBB6_784
.LBB6_790:                              ;   in Loop: Header=BB6_787 Depth=2
	s_add_co_i32 s24, s24, 1
	s_mov_b32 s27, -1
                                        ; implicit-def: $vgpr9
	s_and_saveexec_b32 s29, s28
	s_cbranch_execz .LBB6_785
	s_branch .LBB6_784
.LBB6_791:                              ;   in Loop: Header=BB6_663 Depth=1
	s_or_b32 exec_lo, exec_lo, s20
	s_xor_b32 s10, s21, -1
	s_delay_alu instid0(SALU_CYCLE_1) | instskip(NEXT) | instid1(SALU_CYCLE_1)
	s_and_saveexec_b32 s20, s10
	s_xor_b32 s10, exec_lo, s20
	s_cbranch_execz .LBB6_793
; %bb.792:                              ;   in Loop: Header=BB6_663 Depth=1
	v_or_b32_e32 v30, 64, v30
	s_wait_storecnt 0x0
	s_wait_loadcnt_dscnt 0x0
	ds_store_b32 v0, v9
	s_trap 2
.LBB6_793:                              ;   in Loop: Header=BB6_663 Depth=1
	s_or_b32 exec_lo, exec_lo, s10
.LBB6_794:                              ;   in Loop: Header=BB6_663 Depth=1
	s_delay_alu instid0(SALU_CYCLE_1) | instskip(SKIP_4) | instid1(VALU_DEP_2)
	s_or_b32 exec_lo, exec_lo, s19
	v_and_b32_e32 v9, 0x100, v30
	v_and_b32_e32 v10, 7, v8
	s_mov_b32 s19, 0
	;;#ASMSTART
	s_wakeup
	;;#ASMEND
	v_cmp_ne_u32_e32 vcc_lo, 0, v9
                                        ; implicit-def: $vgpr8_vgpr9
	s_and_saveexec_b32 s10, vcc_lo
	s_delay_alu instid0(SALU_CYCLE_1)
	s_xor_b32 s10, exec_lo, s10
	s_cbranch_execz .LBB6_815
; %bb.795:                              ;   in Loop: Header=BB6_663 Depth=1
	v_mad_nc_u64_u32 v[66:67], v10, 24, v[6:7]
	v_ashrrev_i32_e32 v55, 31, v54
	s_mov_b32 s19, -1
	s_mov_b32 s20, exec_lo
	s_delay_alu instid0(VALU_DEP_1)
	v_lshlrev_b64_e32 v[8:9], 1, v[54:55]
	s_clause 0x1
	flat_load_b32 v68, v[66:67]
	flat_store_b64 v[66:67], v[8:9] offset:8
                                        ; implicit-def: $vgpr8_vgpr9
	s_wait_loadcnt_dscnt 0x1
	v_cmpx_eq_u32_e32 1, v68
	s_cbranch_execz .LBB6_797
; %bb.796:                              ;   in Loop: Header=BB6_663 Depth=1
	flat_load_b32 v8, v[66:67] offset:4 scope:SCOPE_SYS
	s_xor_b32 s19, exec_lo, -1
	s_wait_loadcnt_dscnt 0x0
	v_ashrrev_i32_e32 v9, 31, v8
	s_delay_alu instid0(VALU_DEP_1)
	v_lshrrev_b64 v[8:9], 1, v[8:9]
.LBB6_797:                              ;   in Loop: Header=BB6_663 Depth=1
	s_wait_xcnt 0x0
	s_or_b32 exec_lo, exec_lo, s20
	s_delay_alu instid0(SALU_CYCLE_1)
	s_and_b32 s19, s19, exec_lo
	s_and_not1_saveexec_b32 s10, s10
	s_cbranch_execnz .LBB6_816
.LBB6_798:                              ;   in Loop: Header=BB6_663 Depth=1
	s_or_b32 exec_lo, exec_lo, s10
	s_and_saveexec_b32 s10, s19
.LBB6_799:                              ;   in Loop: Header=BB6_663 Depth=1
	v_mul_u64_e32 v[8:9], v[10:11], v[34:35]
.LBB6_800:                              ;   in Loop: Header=BB6_663 Depth=1
	s_or_b32 exec_lo, exec_lo, s10
	v_and_b32_e32 v10, 0x2000, v30
	s_delay_alu instid0(VALU_DEP_2)
	v_lshl_add_u64 v[8:9], v[8:9], 1, v[36:37]
	s_mov_b32 s10, exec_lo
	ds_store_b64 v0, v[8:9] offset:784
	v_cmpx_ne_u32_e32 0, v10
	s_cbranch_execz .LBB6_802
; %bb.801:                              ;   in Loop: Header=BB6_663 Depth=1
	ds_load_b64 v[8:9], v0 offset:872
	s_wait_dscnt 0x0
	v_add_nc_u64_e32 v[8:9], 1, v[8:9]
	ds_store_b64 v0, v[8:9] offset:872
.LBB6_802:                              ;   in Loop: Header=BB6_663 Depth=1
	s_or_b32 exec_lo, exec_lo, s10
	v_mov_b64_e32 v[8:9], v[64:65]
.LBB6_803:                              ;   in Loop: Header=BB6_663 Depth=1
	s_or_b32 exec_lo, exec_lo, s17
	s_and_saveexec_b32 s10, s2
	s_cbranch_execz .LBB6_824
; %bb.804:                              ;   in Loop: Header=BB6_663 Depth=1
	s_and_saveexec_b32 s17, s3
	s_delay_alu instid0(SALU_CYCLE_1)
	s_xor_b32 s17, exec_lo, s17
	s_cbranch_execz .LBB6_821
; %bb.805:                              ;   in Loop: Header=BB6_663 Depth=1
	s_and_saveexec_b32 s19, s4
	s_cbranch_execz .LBB6_820
; %bb.806:                              ;   in Loop: Header=BB6_663 Depth=1
	s_mov_b32 s21, exec_lo
	s_mov_b32 s20, exec_lo
	v_mbcnt_lo_u32_b32 v10, s21, 0
	global_wb scope:SCOPE_DEV
	s_wait_storecnt 0x0
	s_wait_loadcnt_dscnt 0x0
	global_inv scope:SCOPE_DEV
	v_cmpx_eq_u32_e32 0, v10
	s_cbranch_execz .LBB6_808
; %bb.807:                              ;   in Loop: Header=BB6_663 Depth=1
	s_bcnt1_i32_b32 s21, s21
	s_delay_alu instid0(SALU_CYCLE_1)
	v_mov_b32_e32 v10, s21
	s_wait_loadcnt 0x0
	ds_add_u64 v0, v[10:11]
	s_trap 2
.LBB6_808:                              ;   in Loop: Header=BB6_663 Depth=1
	s_or_b32 exec_lo, exec_lo, s20
	s_trap 2
	ds_load_b64 v[64:65], v0
	s_wait_dscnt 0x0
	v_add_nc_u64_e32 v[38:39], v[38:39], v[12:13]
	s_mov_b32 s20, exec_lo
	s_delay_alu instid0(VALU_DEP_1)
	v_cmpx_lt_u64_e64 v[64:65], v[38:39]
	s_cbranch_execz .LBB6_819
; %bb.809:                              ;   in Loop: Header=BB6_663 Depth=1
	s_mov_b32 s21, 0
	s_mov_b32 s24, 0
                                        ; implicit-def: $sgpr22
                                        ; implicit-def: $sgpr23
	s_branch .LBB6_811
.LBB6_810:                              ;   in Loop: Header=BB6_811 Depth=2
	s_or_b32 exec_lo, exec_lo, s26
	s_delay_alu instid0(SALU_CYCLE_1) | instskip(NEXT) | instid1(SALU_CYCLE_1)
	s_and_b32 s25, exec_lo, s27
	s_or_b32 s21, s25, s21
	s_and_not1_b32 s22, s22, exec_lo
	s_and_b32 s25, s23, exec_lo
	s_delay_alu instid0(SALU_CYCLE_1)
	s_or_b32 s22, s22, s25
	s_and_not1_b32 exec_lo, exec_lo, s21
	s_cbranch_execz .LBB6_817
.LBB6_811:                              ;   Parent Loop BB6_663 Depth=1
                                        ; =>  This Inner Loop Header: Depth=2
	s_add_co_i32 s24, s24, 1
	s_delay_alu instid0(SALU_CYCLE_1) | instskip(SKIP_1) | instid1(SALU_CYCLE_1)
	s_cmp_lg_u32 s24, 0x2710
	s_cselect_b32 s25, -1, 0
	s_and_b32 vcc_lo, exec_lo, s25
	s_cbranch_vccz .LBB6_813
; %bb.812:                              ;   in Loop: Header=BB6_811 Depth=2
	s_mov_b32 s27, -1
	s_or_b32 s23, s23, exec_lo
	s_and_saveexec_b32 s26, s25
	s_cbranch_execz .LBB6_810
	s_branch .LBB6_814
.LBB6_813:                              ;   in Loop: Header=BB6_811 Depth=2
	s_trap 2
	ds_load_b64 v[64:65], v0
	s_and_not1_b32 s25, s25, exec_lo
	s_mov_b32 s24, 0
	s_wait_loadcnt_dscnt 0x0
	flat_load_b32 v10, v[64:65] scope:SCOPE_SYS
	s_wait_loadcnt_dscnt 0x0
	global_inv scope:SCOPE_SYS
	v_cmp_eq_u32_e32 vcc_lo, 0, v10
	s_and_b32 s26, vcc_lo, exec_lo
	s_delay_alu instid0(SALU_CYCLE_1)
	s_or_b32 s25, s25, s26
	s_mov_b32 s27, -1
	s_or_b32 s23, s23, exec_lo
	s_and_saveexec_b32 s26, s25
	s_cbranch_execz .LBB6_810
.LBB6_814:                              ;   in Loop: Header=BB6_811 Depth=2
	s_sleep 1
	s_trap 2
	ds_load_b64 v[64:65], v0
	s_wait_dscnt 0x0
	s_and_not1_b32 s23, s23, exec_lo
	v_cmp_ge_u64_e32 vcc_lo, v[64:65], v[38:39]
	s_or_not1_b32 s27, vcc_lo, exec_lo
	s_branch .LBB6_810
.LBB6_815:                              ;   in Loop: Header=BB6_663 Depth=1
	s_and_not1_saveexec_b32 s10, s10
	s_cbranch_execz .LBB6_798
.LBB6_816:                              ;   in Loop: Header=BB6_663 Depth=1
	s_or_b32 s19, s19, exec_lo
	s_or_b32 exec_lo, exec_lo, s10
	s_and_saveexec_b32 s10, s19
	s_cbranch_execnz .LBB6_799
	s_branch .LBB6_800
.LBB6_817:                              ;   in Loop: Header=BB6_663 Depth=1
	s_or_b32 exec_lo, exec_lo, s21
	s_and_saveexec_b32 s21, s22
	s_delay_alu instid0(SALU_CYCLE_1)
	s_xor_b32 s21, exec_lo, s21
	s_cbranch_execz .LBB6_819
; %bb.818:                              ;   in Loop: Header=BB6_663 Depth=1
	ds_store_b32 v0, v84
	s_trap 2
.LBB6_819:                              ;   in Loop: Header=BB6_663 Depth=1
	s_or_b32 exec_lo, exec_lo, s20
	;;#ASMSTART
	s_wakeup
	;;#ASMEND
.LBB6_820:                              ;   in Loop: Header=BB6_663 Depth=1
	s_or_b32 exec_lo, exec_lo, s19
.LBB6_821:                              ;   in Loop: Header=BB6_663 Depth=1
	s_and_not1_saveexec_b32 s17, s17
	s_cbranch_execz .LBB6_823
; %bb.822:                              ;   in Loop: Header=BB6_663 Depth=1
	global_wb scope:SCOPE_DEV
	s_wait_storecnt 0x0
	s_wait_loadcnt_dscnt 0x0
	global_inv scope:SCOPE_DEV
	s_barrier_signal -1
	s_barrier_wait -1
.LBB6_823:                              ;   in Loop: Header=BB6_663 Depth=1
	s_or_b32 exec_lo, exec_lo, s17
.LBB6_824:                              ;   in Loop: Header=BB6_663 Depth=1
	s_delay_alu instid0(SALU_CYCLE_1)
	s_or_b32 exec_lo, exec_lo, s10
	s_trap 2
	ds_load_b32 v10, v0
	v_cmp_lt_i32_e32 vcc_lo, 0, v54
	s_wait_dscnt 0x0
	v_readfirstlane_b32 s10, v10
	v_and_b32_e32 v10, 16, v30
	s_cmp_eq_u32 s10, 0
	s_delay_alu instid0(VALU_DEP_1) | instskip(SKIP_1) | instid1(SALU_CYCLE_1)
	v_cmp_ne_u32_e64 s10, 0, v10
	s_cselect_b32 s17, -1, 0
	s_and_b32 s17, vcc_lo, s17
	s_delay_alu instid0(SALU_CYCLE_1) | instskip(NEXT) | instid1(SALU_CYCLE_1)
	s_and_b32 s17, s10, s17
	s_and_saveexec_b32 s10, s17
	s_cbranch_execz .LBB6_826
; %bb.825:                              ;   in Loop: Header=BB6_663 Depth=1
	global_wb scope:SCOPE_SYS
	s_wait_loadcnt 0x0
	s_wait_storecnt 0x0
	global_inv scope:SCOPE_SYS
.LBB6_826:                              ;   in Loop: Header=BB6_663 Depth=1
	s_or_b32 exec_lo, exec_lo, s10
	s_delay_alu instid0(SALU_CYCLE_1)
	s_mov_b32 s10, exec_lo
	v_cmpx_ne_u32_e32 0, v10
	s_cbranch_execz .LBB6_661
; %bb.827:                              ;   in Loop: Header=BB6_663 Depth=1
	s_and_saveexec_b32 s17, s7
	s_cbranch_execz .LBB6_660
; %bb.828:                              ;   in Loop: Header=BB6_663 Depth=1
	global_wb scope:SCOPE_SYS
	s_wait_loadcnt 0x0
	s_wait_storecnt 0x0
	flat_store_b32 v[52:53], v84 scope:SCOPE_SYS
	s_branch .LBB6_660
.LBB6_829:
	s_or_b32 exec_lo, exec_lo, s13
.LBB6_830:
	s_delay_alu instid0(SALU_CYCLE_1)
	s_or_b32 exec_lo, exec_lo, s12
.LBB6_831:
	s_delay_alu instid0(SALU_CYCLE_1) | instskip(SKIP_2) | instid1(VALU_DEP_1)
	s_or_b32 exec_lo, exec_lo, s11
	v_and_b32_e32 v0, 0x800, v30
	s_mov_b32 s1, exec_lo
	v_cmpx_eq_u32_e32 0, v0
	s_cbranch_execz .LBB6_864
; %bb.832:
	v_and_b32_e32 v0, 48, v30
	s_mov_b32 s0, exec_lo
	s_delay_alu instid0(VALU_DEP_1)
	v_cmpx_ne_u32_e32 0, v0
	s_cbranch_execz .LBB6_834
; %bb.833:
	s_wait_dscnt 0x0
	flat_store_b64 v[28:29], v[8:9] offset:104
.LBB6_834:
	s_wait_xcnt 0x0
	s_or_b32 exec_lo, exec_lo, s0
	v_and_b32_e32 v0, 0x88, v30
	s_mov_b32 s2, exec_lo
	s_delay_alu instid0(VALU_DEP_1)
	v_cmpx_eq_u32_e32 0x88, v0
	s_cbranch_execz .LBB6_844
; %bb.835:
	s_wait_dscnt 0x0
	v_add_nc_u32_e32 v0, -1, v8
	s_mov_b32 s3, 0
	s_delay_alu instid0(VALU_DEP_1) | instskip(NEXT) | instid1(VALU_DEP_1)
	v_and_b32_e32 v0, 7, v0
	v_mad_nc_u64_u32 v[4:5], v0, 24, v[6:7]
	v_and_b32_e32 v0, 64, v30
	s_delay_alu instid0(VALU_DEP_1)
	v_cmp_eq_u32_e64 s0, 0, v0
	flat_load_b64 v[6:7], v[4:5] offset:8 scope:SCOPE_SYS
	s_wait_loadcnt_dscnt 0x0
	v_cmp_ne_u64_e32 vcc_lo, -1, v[6:7]
	s_and_b32 s0, vcc_lo, s0
	s_wait_xcnt 0x0
	s_and_b32 exec_lo, exec_lo, s0
	s_cbranch_execz .LBB6_844
; %bb.836:
	s_mov_b32 s5, 0
                                        ; implicit-def: $sgpr0
                                        ; implicit-def: $sgpr4
	s_branch .LBB6_839
.LBB6_837:                              ;   in Loop: Header=BB6_839 Depth=1
	flat_load_b64 v[6:7], v[4:5] offset:8 scope:SCOPE_SYS
	s_wait_loadcnt 0x0
	s_and_not1_b32 s4, s4, exec_lo
	s_wait_dscnt 0x0
	v_cmp_eq_u64_e32 vcc_lo, -1, v[6:7]
	s_or_not1_b32 s7, vcc_lo, exec_lo
.LBB6_838:                              ;   in Loop: Header=BB6_839 Depth=1
	s_wait_xcnt 0x0
	s_or_b32 exec_lo, exec_lo, s10
	s_delay_alu instid0(SALU_CYCLE_1) | instskip(NEXT) | instid1(SALU_CYCLE_1)
	s_and_b32 s6, exec_lo, s7
	s_or_b32 s3, s6, s3
	s_and_not1_b32 s0, s0, exec_lo
	s_and_b32 s6, s4, exec_lo
	s_delay_alu instid0(SALU_CYCLE_1)
	s_or_b32 s0, s0, s6
	s_and_not1_b32 exec_lo, exec_lo, s3
	s_cbranch_execz .LBB6_842
.LBB6_839:                              ; =>This Inner Loop Header: Depth=1
	s_cmp_lt_i32 s5, 0x270f
	s_cselect_b32 s6, -1, 0
	s_delay_alu instid0(SALU_CYCLE_1)
	s_and_b32 vcc_lo, exec_lo, s6
	s_cbranch_vccnz .LBB6_841
; %bb.840:                              ;   in Loop: Header=BB6_839 Depth=1
	s_trap 2
	ds_load_b64 v[6:7], v0
	s_and_not1_b32 s6, s6, exec_lo
	s_mov_b32 s5, 0
	s_wait_storecnt_dscnt 0x0
	flat_load_b32 v0, v[6:7] scope:SCOPE_SYS
	s_wait_loadcnt_dscnt 0x0
	global_inv scope:SCOPE_SYS
	v_cmp_eq_u32_e32 vcc_lo, 0, v0
	s_and_b32 s7, vcc_lo, exec_lo
	s_delay_alu instid0(SALU_CYCLE_1)
	s_or_b32 s6, s6, s7
	s_mov_b32 s7, -1
	s_or_b32 s4, s4, exec_lo
	s_wait_xcnt 0x0
	s_and_saveexec_b32 s10, s6
	s_cbranch_execz .LBB6_838
	s_branch .LBB6_837
.LBB6_841:                              ;   in Loop: Header=BB6_839 Depth=1
	s_add_co_i32 s5, s5, 1
                                        ; implicit-def: $vgpr0
	s_mov_b32 s7, -1
	s_or_b32 s4, s4, exec_lo
	s_and_saveexec_b32 s10, s6
	s_cbranch_execz .LBB6_838
	s_branch .LBB6_837
.LBB6_842:
	s_or_b32 exec_lo, exec_lo, s3
	s_and_saveexec_b32 s3, s0
	s_delay_alu instid0(SALU_CYCLE_1)
	s_xor_b32 s3, exec_lo, s3
	s_cbranch_execz .LBB6_844
; %bb.843:
	s_wait_loadcnt 0x0
	s_wait_storecnt 0x0
	ds_store_b32 v0, v0
	s_trap 2
.LBB6_844:
	s_or_b32 exec_lo, exec_lo, s2
	v_and_b32_e32 v0, 0x2000, v30
	s_mov_b32 s0, exec_lo
	s_delay_alu instid0(VALU_DEP_1)
	v_cmpx_ne_u32_e32 0, v0
	s_cbranch_execz .LBB6_846
; %bb.845:
	s_trap 2
	ds_load_b64 v[4:5], v0
	s_wait_dscnt 0x0
	flat_store_b64 v[2:3], v[4:5] offset:16
.LBB6_846:
	s_wait_xcnt 0x0
	s_or_b32 exec_lo, exec_lo, s0
	v_cmp_ne_u32_e32 vcc_lo, 32, v1
	s_and_b32 exec_lo, exec_lo, vcc_lo
	s_cbranch_execz .LBB6_864
; %bb.847:
	s_mov_b32 s0, exec_lo
	v_cmpx_ne_u32_e64 v1, v114
	s_xor_b32 s0, exec_lo, s0
	s_cbranch_execz .LBB6_862
; %bb.848:
	v_and_b32_e32 v0, 31, v31
	s_mov_b32 s2, exec_lo
	s_delay_alu instid0(VALU_DEP_1)
	v_cmpx_eq_u32_e32 0, v0
	s_cbranch_execz .LBB6_861
; %bb.849:
	s_mov_b32 s4, exec_lo
	s_mov_b32 s3, exec_lo
	v_mbcnt_lo_u32_b32 v0, s4, 0
	global_wb scope:SCOPE_DEV
	s_wait_storecnt 0x0
	s_wait_loadcnt_dscnt 0x0
	global_inv scope:SCOPE_DEV
	v_cmpx_eq_u32_e32 0, v0
	s_cbranch_execz .LBB6_851
; %bb.850:
	s_bcnt1_i32_b32 s4, s4
	s_delay_alu instid0(SALU_CYCLE_1)
	v_dual_mov_b32 v3, 0 :: v_dual_mov_b32 v2, s4
	s_wait_loadcnt 0x0
	ds_add_u64 v0, v[2:3]
	s_trap 2
.LBB6_851:
	s_or_b32 exec_lo, exec_lo, s3
	s_trap 2
	ds_load_b64 v[2:3], v0
	s_wait_dscnt 0x0
	v_dual_mov_b32 v1, 0 :: v_dual_lshrrev_b32 v0, 5, v1
	s_mov_b32 s3, exec_lo
	s_delay_alu instid0(VALU_DEP_1) | instskip(NEXT) | instid1(VALU_DEP_1)
	v_add_nc_u64_e32 v[0:1], v[38:39], v[0:1]
	v_cmpx_lt_u64_e64 v[2:3], v[0:1]
	s_cbranch_execz .LBB6_860
; %bb.852:
	s_mov_b32 s4, 0
	s_mov_b32 s7, 0
                                        ; implicit-def: $sgpr5
                                        ; implicit-def: $sgpr6
	s_branch .LBB6_854
.LBB6_853:                              ;   in Loop: Header=BB6_854 Depth=1
	s_or_b32 exec_lo, exec_lo, s11
	s_delay_alu instid0(SALU_CYCLE_1) | instskip(NEXT) | instid1(SALU_CYCLE_1)
	s_and_b32 s10, exec_lo, s12
	s_or_b32 s4, s10, s4
	s_and_not1_b32 s5, s5, exec_lo
	s_and_b32 s10, s6, exec_lo
	s_delay_alu instid0(SALU_CYCLE_1)
	s_or_b32 s5, s5, s10
	s_and_not1_b32 exec_lo, exec_lo, s4
	s_cbranch_execz .LBB6_858
.LBB6_854:                              ; =>This Inner Loop Header: Depth=1
	s_add_co_i32 s7, s7, 1
	s_delay_alu instid0(SALU_CYCLE_1) | instskip(SKIP_1) | instid1(SALU_CYCLE_1)
	s_cmp_lg_u32 s7, 0x2710
	s_cselect_b32 s10, -1, 0
	s_and_b32 vcc_lo, exec_lo, s10
	s_cbranch_vccz .LBB6_856
; %bb.855:                              ;   in Loop: Header=BB6_854 Depth=1
	s_mov_b32 s12, -1
	s_or_b32 s6, s6, exec_lo
	s_and_saveexec_b32 s11, s10
	s_cbranch_execz .LBB6_853
	s_branch .LBB6_857
.LBB6_856:                              ;   in Loop: Header=BB6_854 Depth=1
	s_trap 2
	ds_load_b64 v[2:3], v0
	s_and_not1_b32 s10, s10, exec_lo
	s_mov_b32 s7, 0
	s_wait_loadcnt_dscnt 0x0
	flat_load_b32 v2, v[2:3] scope:SCOPE_SYS
	s_wait_loadcnt_dscnt 0x0
	global_inv scope:SCOPE_SYS
	v_cmp_eq_u32_e32 vcc_lo, 0, v2
	s_and_b32 s11, vcc_lo, exec_lo
	s_delay_alu instid0(SALU_CYCLE_1)
	s_or_b32 s10, s10, s11
	s_mov_b32 s12, -1
	s_or_b32 s6, s6, exec_lo
	s_and_saveexec_b32 s11, s10
	s_cbranch_execz .LBB6_853
.LBB6_857:                              ;   in Loop: Header=BB6_854 Depth=1
	s_sleep 1
	s_trap 2
	ds_load_b64 v[2:3], v0
	s_wait_dscnt 0x0
	s_and_not1_b32 s6, s6, exec_lo
	v_cmp_ge_u64_e32 vcc_lo, v[2:3], v[0:1]
	s_or_not1_b32 s12, vcc_lo, exec_lo
	s_branch .LBB6_853
.LBB6_858:
	s_or_b32 exec_lo, exec_lo, s4
	s_and_saveexec_b32 s4, s5
	s_delay_alu instid0(SALU_CYCLE_1)
	s_xor_b32 s4, exec_lo, s4
	s_cbranch_execz .LBB6_860
; %bb.859:
	v_mov_b32_e32 v0, 1
	ds_store_b32 v0, v0
	s_trap 2
.LBB6_860:
	s_or_b32 exec_lo, exec_lo, s3
	;;#ASMSTART
	s_wakeup
	;;#ASMEND
.LBB6_861:
	s_or_b32 exec_lo, exec_lo, s2
.LBB6_862:
	s_and_not1_saveexec_b32 s0, s0
	s_cbranch_execz .LBB6_864
; %bb.863:
	global_wb scope:SCOPE_DEV
	s_wait_storecnt 0x0
	s_wait_loadcnt_dscnt 0x0
	global_inv scope:SCOPE_DEV
	s_barrier_signal -1
	s_barrier_wait -1
.LBB6_864:
	s_or_b32 exec_lo, exec_lo, s1
.LBB6_865:
	s_and_not1_saveexec_b32 s21, s14
	s_cbranch_execz .LBB6_867
; %bb.866:
	s_get_pc_i64 s[0:1]
	s_add_nc_u64 s[0:1], s[0:1], __PRETTY_FUNCTION__._ZN10PrimitivesI12hip_bfloat1610FuncMinMaxIS0_E12FanSymmetricILi1EELi0E11ProtoSimpleILi1ELi1ELi0ELi2ELi0ELi0EELi0ELb0ELi0ELi0ELi0EEC2EiiPKiS9_PKvPvmhhhP15ncclDevWorkCollP14ncclDevWorkP2pii@rel64+4
	s_get_pc_i64 s[2:3]
	s_add_nc_u64 s[2:3], s[2:3], __assert_fail@rel64+4
	v_dual_mov_b32 v0, s0 :: v_dual_mov_b32 v1, s1
	s_swap_pc_i64 s[30:31], s[2:3]
	; divergent unreachable
.LBB6_867:
	s_or_b32 exec_lo, exec_lo, s21
	s_clause 0x5
	scratch_load_b32 v45, off, s33
	scratch_load_b32 v44, off, s33 offset:4
	scratch_load_b32 v43, off, s33 offset:8
	scratch_load_b32 v42, off, s33 offset:12
	scratch_load_b32 v41, off, s33 offset:16
	scratch_load_b32 v40, off, s33 offset:20
	v_readlane_b32 s30, v46, 0
	v_readlane_b32 s31, v46, 1
	s_mov_b32 s32, s33
	s_wait_xcnt 0x0
	s_or_saveexec_b32 s0, -1
	scratch_load_b32 v46, off, s33 offset:24 ; 4-byte Folded Reload
	s_wait_xcnt 0x0
	s_mov_b32 exec_lo, s0
	s_mov_b32 s33, s43
	s_wait_loadcnt_dscnt 0x0
	s_set_pc_i64 s[30:31]
.Lfunc_end6:
	.size	_ZN12_GLOBAL__N_17runRingI12hip_bfloat1610FuncMinMaxIS1_E11ProtoSimpleILi1ELi1ELi0ELi2ELi0ELi0EELi0ELi2ELi0EEEviiP15ncclDevWorkColl, .Lfunc_end6-_ZN12_GLOBAL__N_17runRingI12hip_bfloat1610FuncMinMaxIS1_E11ProtoSimpleILi1ELi1ELi0ELi2ELi0ELi0EELi0ELi2ELi0EEEviiP15ncclDevWorkColl
                                        ; -- End function
	.set .L_ZN12_GLOBAL__N_17runRingI12hip_bfloat1610FuncMinMaxIS1_E11ProtoSimpleILi1ELi1ELi0ELi2ELi0ELi0EELi0ELi2ELi0EEEviiP15ncclDevWorkColl.num_vgpr, max(120, .L__assert_fail.num_vgpr)
	.set .L_ZN12_GLOBAL__N_17runRingI12hip_bfloat1610FuncMinMaxIS1_E11ProtoSimpleILi1ELi1ELi0ELi2ELi0ELi0EELi0ELi2ELi0EEEviiP15ncclDevWorkColl.num_agpr, max(0, .L__assert_fail.num_agpr)
	.set .L_ZN12_GLOBAL__N_17runRingI12hip_bfloat1610FuncMinMaxIS1_E11ProtoSimpleILi1ELi1ELi0ELi2ELi0ELi0EELi0ELi2ELi0EEEviiP15ncclDevWorkColl.numbered_sgpr, max(44, .L__assert_fail.numbered_sgpr)
	.set .L_ZN12_GLOBAL__N_17runRingI12hip_bfloat1610FuncMinMaxIS1_E11ProtoSimpleILi1ELi1ELi0ELi2ELi0ELi0EELi0ELi2ELi0EEEviiP15ncclDevWorkColl.num_named_barrier, max(0, .L__assert_fail.num_named_barrier)
	.set .L_ZN12_GLOBAL__N_17runRingI12hip_bfloat1610FuncMinMaxIS1_E11ProtoSimpleILi1ELi1ELi0ELi2ELi0ELi0EELi0ELi2ELi0EEEviiP15ncclDevWorkColl.private_seg_size, 32+max(.L__assert_fail.private_seg_size)
	.set .L_ZN12_GLOBAL__N_17runRingI12hip_bfloat1610FuncMinMaxIS1_E11ProtoSimpleILi1ELi1ELi0ELi2ELi0ELi0EELi0ELi2ELi0EEEviiP15ncclDevWorkColl.uses_vcc, or(1, .L__assert_fail.uses_vcc)
	.set .L_ZN12_GLOBAL__N_17runRingI12hip_bfloat1610FuncMinMaxIS1_E11ProtoSimpleILi1ELi1ELi0ELi2ELi0ELi0EELi0ELi2ELi0EEEviiP15ncclDevWorkColl.uses_flat_scratch, or(1, .L__assert_fail.uses_flat_scratch)
	.set .L_ZN12_GLOBAL__N_17runRingI12hip_bfloat1610FuncMinMaxIS1_E11ProtoSimpleILi1ELi1ELi0ELi2ELi0ELi0EELi0ELi2ELi0EEEviiP15ncclDevWorkColl.has_dyn_sized_stack, or(0, .L__assert_fail.has_dyn_sized_stack)
	.set .L_ZN12_GLOBAL__N_17runRingI12hip_bfloat1610FuncMinMaxIS1_E11ProtoSimpleILi1ELi1ELi0ELi2ELi0ELi0EELi0ELi2ELi0EEEviiP15ncclDevWorkColl.has_recursion, or(1, .L__assert_fail.has_recursion)
	.set .L_ZN12_GLOBAL__N_17runRingI12hip_bfloat1610FuncMinMaxIS1_E11ProtoSimpleILi1ELi1ELi0ELi2ELi0ELi0EELi0ELi2ELi0EEEviiP15ncclDevWorkColl.has_indirect_call, or(0, .L__assert_fail.has_indirect_call)
	.section	.AMDGPU.csdata,"",@progbits
; Function info:
; codeLenInByte = 31008
; TotalNumSgprs: 46
; NumVgprs: 120
; ScratchSize: 96
; MemoryBound: 1
	.text
	.p2align	2                               ; -- Begin function _Z48ncclDevFunc_Reduce_RING_SIMPLE_MinMax_bf16_0_0_2v
	.type	_Z48ncclDevFunc_Reduce_RING_SIMPLE_MinMax_bf16_0_0_2v,@function
_Z48ncclDevFunc_Reduce_RING_SIMPLE_MinMax_bf16_0_0_2v: ; @_Z48ncclDevFunc_Reduce_RING_SIMPLE_MinMax_bf16_0_0_2v
; %bb.0:
	s_wait_loadcnt_dscnt 0x0
	s_wait_kmcnt 0x0
	s_mov_b32 s59, s33
	s_mov_b32 s33, s32
	s_or_saveexec_b32 s0, -1
	scratch_store_b32 off, v42, s33 offset:12 ; 4-byte Folded Spill
	s_wait_xcnt 0x0
	s_mov_b32 exec_lo, s0
	s_add_co_i32 s32, s32, 32
	s_clause 0x2
	scratch_store_b32 off, v40, s33 offset:8
	; meta instruction
	scratch_store_b32 off, v41, s33 offset:4
	; meta instruction
	scratch_store_b32 off, v46, s33
	v_writelane_b32 v42, s30, 0
	v_writelane_b32 v42, s31, 1
	s_trap 2
	ds_load_b32 v0, v0
	s_wait_xcnt 0x2
	v_mov_b32_e32 v40, v31
	s_mov_b32 s46, s12
	s_mov_b64 s[44:45], s[8:9]
	s_mov_b32 s2, exec_lo
	s_wait_xcnt 0x1
	v_and_b32_e32 v41, 0x3ff, v40
	s_wait_dscnt 0x0
	s_wait_xcnt 0x0
	s_delay_alu instid0(VALU_DEP_1)
	v_cmpx_lt_i32_e64 v41, v0
	s_cbranch_execz .LBB7_5
; %bb.1:
	s_load_b32 s0, s[44:45], 0x0
	s_bfe_u32 s1, ttmp6, 0x4000c
	s_and_b32 s3, ttmp6, 15
	s_add_co_i32 s1, s1, 1
	s_getreg_b32 s4, hwreg(HW_REG_IB_STS2, 6, 4)
	s_mul_i32 s1, ttmp9, s1
	v_mov_b32_e32 v2, v41
	s_add_co_i32 s3, s3, s1
	s_cmp_eq_u32 s4, 0
                                        ; implicit-def: $vgpr3
	s_cselect_b32 s1, ttmp9, s3
	s_mov_b32 s3, 0
	s_wait_kmcnt 0x0
	s_cmp_lt_u32 s1, s0
	s_mov_b32 s1, 0
	s_cselect_b32 s0, 12, 18
	s_delay_alu instid0(SALU_CYCLE_1)
	s_add_nc_u64 s[4:5], s[44:45], s[0:1]
	s_load_u16 s0, s[4:5], 0x0
	s_trap 2
	ds_load_b32 v1, v0
	s_wait_dscnt 0x0
	s_wait_kmcnt 0x0
	v_mul_lo_u32 v1, v1, s0
	s_branch .LBB7_3
.LBB7_2:                                ;   in Loop: Header=BB7_3 Depth=1
	s_or_b32 exec_lo, exec_lo, s4
	v_dual_add_nc_u32 v2, s0, v2 :: v_dual_add_nc_u32 v3, v3, v1
	s_delay_alu instid0(VALU_DEP_1) | instskip(SKIP_1) | instid1(SALU_CYCLE_1)
	v_cmp_ge_i32_e32 vcc_lo, v2, v0
	s_or_b32 s3, vcc_lo, s3
	s_and_not1_b32 exec_lo, exec_lo, s3
	s_cbranch_execz .LBB7_5
.LBB7_3:                                ; =>This Inner Loop Header: Depth=1
	ds_load_b32 v4, v3
	s_mov_b32 s4, exec_lo
	s_wait_dscnt 0x0
	v_and_b32_e32 v4, 0x1000000, v4
	s_delay_alu instid0(VALU_DEP_1)
	v_cmpx_ne_u32_e32 0, v4
	s_cbranch_execz .LBB7_2
; %bb.4:                                ;   in Loop: Header=BB7_3 Depth=1
	ds_load_b64 v[4:5], v3 offset:104
	s_wait_dscnt 0x0
	flat_load_u16 v4, v[4:5]
	s_wait_xcnt 0x0
	v_mov_b32_e32 v5, s1
	s_wait_loadcnt_dscnt 0x0
	v_and_b32_e32 v4, 0xffff, v4
	ds_store_b64 v3, v[4:5] offset:104
	s_branch .LBB7_2
.LBB7_5:
	s_or_b32 exec_lo, exec_lo, s2
	s_wait_storecnt_dscnt 0x0
	s_barrier_signal -1
	s_barrier_wait -1
	s_trap 2
	ds_load_b32 v0, v0
	s_wait_dscnt 0x0
	v_cmp_gt_i32_e32 vcc_lo, 1, v0
	s_cbranch_vccnz .LBB7_13
; %bb.6:
	s_mov_b32 s47, 0
	s_get_pc_i64 s[56:57]
	s_add_nc_u64 s[56:57], s[56:57], _ZN12_GLOBAL__N_17runRingI12hip_bfloat1610FuncMinMaxIS1_E11ProtoSimpleILi1ELi1ELi0ELi2ELi0ELi0EELi0ELi2ELi0EEEviiP15ncclDevWorkColl@rel64+4
	s_branch .LBB7_8
.LBB7_7:                                ;   in Loop: Header=BB7_8 Depth=1
	s_or_b32 exec_lo, exec_lo, s58
	s_trap 2
	ds_load_b32 v0, v0
	s_add_co_i32 s47, s47, 1
	s_wait_dscnt 0x0
	v_cmp_lt_i32_e32 vcc_lo, s47, v0
	s_cbranch_vccz .LBB7_13
.LBB7_8:                                ; =>This Inner Loop Header: Depth=1
	s_trap 2
	ds_load_b32 v0, v0
	s_cmp_eq_u32 s47, 0
	s_cbranch_scc1 .LBB7_11
; %bb.9:                                ;   in Loop: Header=BB7_8 Depth=1
	s_trap 2
	s_wait_dscnt 0x0
	ds_load_b32 v1, v0
	s_wait_dscnt 0x0
	v_xor_b32_e32 v1, v1, v0
	s_delay_alu instid0(VALU_DEP_1) | instskip(NEXT) | instid1(VALU_DEP_1)
	v_and_b32_e32 v1, 0xff0000, v1
	v_cmp_eq_u32_e32 vcc_lo, 0, v1
	s_cbranch_vccnz .LBB7_11
; %bb.10:                               ;   in Loop: Header=BB7_8 Depth=1
	s_barrier_signal -1
	s_barrier_wait -1
	ds_load_b32 v0, v0
.LBB7_11:                               ;   in Loop: Header=BB7_8 Depth=1
	s_wait_dscnt 0x0
	v_lshrrev_b32_e32 v0, 11, v0
	s_mov_b32 s58, exec_lo
	s_delay_alu instid0(VALU_DEP_1) | instskip(NEXT) | instid1(VALU_DEP_1)
	v_and_b32_e32 v1, 0x1fe0, v0
	v_cmpx_lt_u32_e64 v41, v1
	s_cbranch_execz .LBB7_7
; %bb.12:                               ;   in Loop: Header=BB7_8 Depth=1
	s_mov_b64 s[0:1], src_shared_base
	v_dual_mov_b32 v31, v40 :: v_dual_mov_b32 v0, v41
	v_mov_b32_e32 v3, s1
	s_mov_b64 s[8:9], s[44:45]
	s_mov_b32 s12, s46
	s_swap_pc_i64 s[30:31], s[56:57]
	s_branch .LBB7_7
.LBB7_13:
	s_clause 0x2
	scratch_load_b32 v46, off, s33
	scratch_load_b32 v41, off, s33 offset:4
	scratch_load_b32 v40, off, s33 offset:8
	v_readlane_b32 s30, v42, 0
	v_readlane_b32 s31, v42, 1
	s_mov_b32 s32, s33
	s_wait_xcnt 0x0
	s_or_saveexec_b32 s0, -1
	scratch_load_b32 v42, off, s33 offset:12 ; 4-byte Folded Reload
	s_wait_xcnt 0x0
	s_mov_b32 exec_lo, s0
	s_mov_b32 s33, s59
	s_wait_loadcnt 0x0
	s_set_pc_i64 s[30:31]
.Lfunc_end7:
	.size	_Z48ncclDevFunc_Reduce_RING_SIMPLE_MinMax_bf16_0_0_2v, .Lfunc_end7-_Z48ncclDevFunc_Reduce_RING_SIMPLE_MinMax_bf16_0_0_2v
                                        ; -- End function
	.set .L_Z48ncclDevFunc_Reduce_RING_SIMPLE_MinMax_bf16_0_0_2v.num_vgpr, max(47, .L_ZN12_GLOBAL__N_17runRingI12hip_bfloat1610FuncMinMaxIS1_E11ProtoSimpleILi1ELi1ELi0ELi2ELi0ELi0EELi0ELi2ELi0EEEviiP15ncclDevWorkColl.num_vgpr)
	.set .L_Z48ncclDevFunc_Reduce_RING_SIMPLE_MinMax_bf16_0_0_2v.num_agpr, max(0, .L_ZN12_GLOBAL__N_17runRingI12hip_bfloat1610FuncMinMaxIS1_E11ProtoSimpleILi1ELi1ELi0ELi2ELi0ELi0EELi0ELi2ELi0EEEviiP15ncclDevWorkColl.num_agpr)
	.set .L_Z48ncclDevFunc_Reduce_RING_SIMPLE_MinMax_bf16_0_0_2v.numbered_sgpr, max(60, .L_ZN12_GLOBAL__N_17runRingI12hip_bfloat1610FuncMinMaxIS1_E11ProtoSimpleILi1ELi1ELi0ELi2ELi0ELi0EELi0ELi2ELi0EEEviiP15ncclDevWorkColl.numbered_sgpr)
	.set .L_Z48ncclDevFunc_Reduce_RING_SIMPLE_MinMax_bf16_0_0_2v.num_named_barrier, max(0, .L_ZN12_GLOBAL__N_17runRingI12hip_bfloat1610FuncMinMaxIS1_E11ProtoSimpleILi1ELi1ELi0ELi2ELi0ELi0EELi0ELi2ELi0EEEviiP15ncclDevWorkColl.num_named_barrier)
	.set .L_Z48ncclDevFunc_Reduce_RING_SIMPLE_MinMax_bf16_0_0_2v.private_seg_size, 32+max(.L_ZN12_GLOBAL__N_17runRingI12hip_bfloat1610FuncMinMaxIS1_E11ProtoSimpleILi1ELi1ELi0ELi2ELi0ELi0EELi0ELi2ELi0EEEviiP15ncclDevWorkColl.private_seg_size)
	.set .L_Z48ncclDevFunc_Reduce_RING_SIMPLE_MinMax_bf16_0_0_2v.uses_vcc, or(1, .L_ZN12_GLOBAL__N_17runRingI12hip_bfloat1610FuncMinMaxIS1_E11ProtoSimpleILi1ELi1ELi0ELi2ELi0ELi0EELi0ELi2ELi0EEEviiP15ncclDevWorkColl.uses_vcc)
	.set .L_Z48ncclDevFunc_Reduce_RING_SIMPLE_MinMax_bf16_0_0_2v.uses_flat_scratch, or(1, .L_ZN12_GLOBAL__N_17runRingI12hip_bfloat1610FuncMinMaxIS1_E11ProtoSimpleILi1ELi1ELi0ELi2ELi0ELi0EELi0ELi2ELi0EEEviiP15ncclDevWorkColl.uses_flat_scratch)
	.set .L_Z48ncclDevFunc_Reduce_RING_SIMPLE_MinMax_bf16_0_0_2v.has_dyn_sized_stack, or(0, .L_ZN12_GLOBAL__N_17runRingI12hip_bfloat1610FuncMinMaxIS1_E11ProtoSimpleILi1ELi1ELi0ELi2ELi0ELi0EELi0ELi2ELi0EEEviiP15ncclDevWorkColl.has_dyn_sized_stack)
	.set .L_Z48ncclDevFunc_Reduce_RING_SIMPLE_MinMax_bf16_0_0_2v.has_recursion, or(1, .L_ZN12_GLOBAL__N_17runRingI12hip_bfloat1610FuncMinMaxIS1_E11ProtoSimpleILi1ELi1ELi0ELi2ELi0ELi0EELi0ELi2ELi0EEEviiP15ncclDevWorkColl.has_recursion)
	.set .L_Z48ncclDevFunc_Reduce_RING_SIMPLE_MinMax_bf16_0_0_2v.has_indirect_call, or(0, .L_ZN12_GLOBAL__N_17runRingI12hip_bfloat1610FuncMinMaxIS1_E11ProtoSimpleILi1ELi1ELi0ELi2ELi0ELi0EELi0ELi2ELi0EEEviiP15ncclDevWorkColl.has_indirect_call)
	.section	.AMDGPU.csdata,"",@progbits
; Function info:
; codeLenInByte = 756
; TotalNumSgprs: 62
; NumVgprs: 120
; ScratchSize: 128
; MemoryBound: 0
	.text
	.p2align	2                               ; -- Begin function _ZN12_GLOBAL__N_17runRingI12hip_bfloat1610FuncMinMaxIS1_E11ProtoSimpleILi1ELi1ELi0ELi2ELi0ELi0EELi0ELi2ELi1EEEviiP15ncclDevWorkColl
	.type	_ZN12_GLOBAL__N_17runRingI12hip_bfloat1610FuncMinMaxIS1_E11ProtoSimpleILi1ELi1ELi0ELi2ELi0ELi0EELi0ELi2ELi1EEEviiP15ncclDevWorkColl,@function
_ZN12_GLOBAL__N_17runRingI12hip_bfloat1610FuncMinMaxIS1_E11ProtoSimpleILi1ELi1ELi0ELi2ELi0ELi0EELi0ELi2ELi1EEEviiP15ncclDevWorkColl: ; @_ZN12_GLOBAL__N_17runRingI12hip_bfloat1610FuncMinMaxIS1_E11ProtoSimpleILi1ELi1ELi0ELi2ELi0ELi0EELi0ELi2ELi1EEEviiP15ncclDevWorkColl
; %bb.0:
	s_wait_loadcnt_dscnt 0x0
	s_wait_kmcnt 0x0
	s_mov_b32 s56, s33
	s_mov_b32 s33, s32
	s_or_saveexec_b32 s0, -1
	scratch_store_b32 off, v108, s33 offset:224 ; 4-byte Folded Spill
	s_wait_xcnt 0x0
	s_mov_b32 exec_lo, s0
	s_addk_co_i32 s32, 0xf0
	s_clause 0x23
	scratch_store_b32 off, v40, s33 offset:140
	; meta instruction
	scratch_store_b32 off, v41, s33 offset:136
	; meta instruction
	;; [unrolled: 2-line block ×35, first 2 shown]
	scratch_store_b32 off, v107, s33
	v_writelane_b32 v108, s30, 0
	v_writelane_b32 v108, s31, 1
	s_trap 2
	ds_load_b64 v[14:15], v0
	ds_load_b32 v9, v0
	flat_load_b64 v[6:7], v[2:3]
                                        ; implicit-def: $vgpr18_vgpr19
                                        ; implicit-def: $vgpr4_vgpr5
                                        ; implicit-def: $vgpr52_vgpr53
	s_wait_dscnt 0x2
	v_readfirstlane_b32 s0, v14
	v_readfirstlane_b32 s1, v15
	flat_load_u16 v17, v[2:3] offset:8
	flat_load_b32 v24, v15, s[0:1] offset:-4 scale_offset
	s_wait_xcnt 0x0
	s_mov_b32 s0, exec_lo
	s_wait_loadcnt_dscnt 0x202
	v_and_b32_e32 v8, 0xff, v6
	v_mov_b32_e32 v16, v7
	s_delay_alu instid0(VALU_DEP_2)
	v_cmpx_ne_u32_e64 v9, v8
	s_xor_b32 s0, exec_lo, s0
	s_cbranch_execz .LBB8_6
; %bb.1:
	v_bfe_u32 v10, v6, 8, 8
	v_not_b32_e32 v8, v8
	s_mov_b32 s1, exec_lo
                                        ; implicit-def: $vgpr18_vgpr19
                                        ; implicit-def: $vgpr4_vgpr5
                                        ; implicit-def: $vgpr52_vgpr53
	s_delay_alu instid0(VALU_DEP_2)
	v_cmpx_ne_u32_e64 v9, v10
	s_xor_b32 s1, exec_lo, s1
	s_cbranch_execz .LBB8_3
; %bb.2:
	s_clause 0x1
	flat_load_b128 v[4:7], v[2:3] offset:72
	flat_load_b64 v[10:11], v[2:3] offset:96
	v_add_nc_u32_e32 v8, v9, v8
	s_wait_loadcnt_dscnt 0x101
	s_delay_alu instid0(VALU_DEP_1) | instskip(SKIP_3) | instid1(VALU_DEP_3)
	v_mad_nc_u64_u32 v[52:53], v6, v8, v[4:5]
	v_ashrrev_i32_e32 v5, 31, v8
	s_wait_loadcnt_dscnt 0x0
	v_lshrrev_b64 v[18:19], 13, v[10:11]
                                        ; implicit-def: $vgpr10
	v_mad_u32 v4, v7, v8, v53
                                        ; implicit-def: $vgpr8
	s_delay_alu instid0(VALU_DEP_1)
	v_mad_u32 v53, v6, v5, v4
	v_mov_b64_e32 v[4:5], v[6:7]
.LBB8_3:
	s_wait_xcnt 0x0
	s_and_not1_saveexec_b32 s1, s1
	s_cbranch_execz .LBB8_5
; %bb.4:
	s_clause 0x1
	flat_load_b128 v[18:21], v[2:3] offset:72
	flat_load_b128 v[4:7], v[2:3] offset:88
	s_wait_loadcnt_dscnt 0x0
	v_add_nc_u32_e32 v6, v10, v8
	s_delay_alu instid0(VALU_DEP_1) | instskip(SKIP_1) | instid1(VALU_DEP_2)
	v_mad_nc_u64_u32 v[52:53], v20, v6, v[18:19]
	v_lshrrev_b32_e32 v18, 2, v7
	v_mad_u32 v8, v21, v6, v53
	v_ashrrev_i32_e32 v6, 31, v6
	s_delay_alu instid0(VALU_DEP_1)
	v_mad_u32 v53, v20, v6, v8
.LBB8_5:
	s_wait_xcnt 0x0
	s_or_b32 exec_lo, exec_lo, s1
.LBB8_6:
	s_and_not1_saveexec_b32 s0, s0
	s_cbranch_execz .LBB8_8
; %bb.7:
	s_clause 0x1
	flat_load_b64 v[6:7], v[2:3] offset:96
	flat_load_b64 v[4:5], v[2:3] offset:72
	v_mov_b64_e32 v[52:53], 0
	s_wait_loadcnt_dscnt 0x101
	v_lshlrev_b64_e32 v[18:19], 8, v[6:7]
.LBB8_8:
	s_wait_xcnt 0x0
	s_or_b32 exec_lo, exec_lo, s0
	s_trap 2
	ds_load_b64 v[6:7], v0
	s_mov_b32 s1, 0
	s_mov_b32 s2, exec_lo
	s_wait_dscnt 0x0
	v_cmp_ne_u32_e32 vcc_lo, -1, v6
	v_cndmask_b32_e64 v15, 0, 1, vcc_lo
	v_cmp_ne_u32_e32 vcc_lo, -1, v7
	s_delay_alu instid0(VALU_DEP_2) | instskip(NEXT) | instid1(VALU_DEP_1)
	v_add_co_ci_u32_e64 v6, null, 0, v15, vcc_lo
	v_lshlrev_b32_e32 v7, 1, v6
	s_delay_alu instid0(VALU_DEP_1)
	v_cmpx_le_u32_e64 v7, v1
	s_xor_b32 s16, exec_lo, s2
	s_cbranch_execz .LBB8_1498
; %bb.9:
	s_clause 0x1
	flat_load_b128 v[10:13], v[2:3] offset:16
	flat_load_b64 v[20:21], v[2:3] offset:104
	s_trap 2
	s_load_b32 s0, s[8:9], 0x0
	s_bfe_u32 s2, ttmp6, 0x4000c
	s_and_b32 s3, ttmp6, 15
	s_add_co_i32 s2, s2, 1
	s_getreg_b32 s4, hwreg(HW_REG_IB_STS2, 6, 4)
	s_mul_i32 s2, ttmp9, s2
	v_dual_mov_b32 v2, 0 :: v_dual_mov_b32 v30, 4
	s_add_co_i32 s3, s3, s2
	s_cmp_eq_u32 s4, 0
	s_cselect_b32 s2, ttmp9, s3
	s_wait_kmcnt 0x0
	s_cmp_lt_u32 s2, s0
	s_mov_b32 s2, exec_lo
	s_cselect_b32 s0, 12, 18
	s_delay_alu instid0(SALU_CYCLE_1)
	s_add_nc_u64 s[0:1], s[8:9], s[0:1]
	global_load_u16 v19, v2, s[0:1]
	s_wait_xcnt 0x0
	ds_load_b32 v2, v0
	s_wait_dscnt 0x0
	v_readfirstlane_b32 s1, v2
	v_cmpx_ge_u32_e64 v0, v15
	s_cbranch_execz .LBB8_19
; %bb.10:
	v_cmp_ge_u32_e64 s0, v0, v6
                                        ; implicit-def: $vgpr30
	s_and_saveexec_b32 s3, s0
	s_delay_alu instid0(SALU_CYCLE_1)
	s_xor_b32 s0, exec_lo, s3
	s_cbranch_execz .LBB8_16
; %bb.11:
	v_cndmask_b32_e64 v2, 0, 1, vcc_lo
	s_mov_b32 s3, exec_lo
	s_delay_alu instid0(VALU_DEP_1) | instskip(NEXT) | instid1(VALU_DEP_1)
	v_sub_nc_u32_e32 v2, v1, v2
	v_cmpx_ge_u32_e64 v0, v2
	s_xor_b32 s3, exec_lo, s3
; %bb.12:
                                        ; implicit-def: $vgpr6
; %bb.13:
	s_delay_alu instid0(SALU_CYCLE_1)
	s_or_saveexec_b32 s3, s3
	v_mov_b32_e32 v30, 16
	s_xor_b32 exec_lo, exec_lo, s3
; %bb.14:
	v_sub_nc_u32_e32 v2, v1, v6
	s_delay_alu instid0(VALU_DEP_1)
	v_cmp_lt_i32_e32 vcc_lo, v0, v2
	v_cndmask_b32_e64 v30, 32, 0, vcc_lo
; %bb.15:
	s_or_b32 exec_lo, exec_lo, s3
.LBB8_16:
	s_and_not1_saveexec_b32 s0, s0
; %bb.17:
	v_mov_b32_e32 v30, 8
; %bb.18:
	s_or_b32 exec_lo, exec_lo, s0
.LBB8_19:
	s_delay_alu instid0(SALU_CYCLE_1) | instskip(NEXT) | instid1(VALU_DEP_1)
	s_or_b32 exec_lo, exec_lo, s2
	v_dual_mov_b32 v25, -1 :: v_dual_bitop2_b32 v2, 36, v30 bitop3:0x40
	s_delay_alu instid0(VALU_DEP_1)
	v_cmp_ne_u32_e32 vcc_lo, 0, v2
	s_and_saveexec_b32 s0, vcc_lo
	s_cbranch_execz .LBB8_21
; %bb.20:
	s_trap 2
	ds_load_b32 v25, v0
.LBB8_21:
	s_or_b32 exec_lo, exec_lo, s0
	v_and_b32_e32 v2, 24, v30
	s_mov_b32 s2, exec_lo
	s_delay_alu instid0(VALU_DEP_1)
	v_cmpx_ne_u32_e32 0, v2
	s_cbranch_execz .LBB8_23
; %bb.22:
	s_trap 2
	s_wait_dscnt 0x0
	ds_load_b32 v25, v0
.LBB8_23:
	s_or_b32 exec_lo, exec_lo, s2
	s_wait_loadcnt 0x4
	v_lshrrev_b64 v[2:3], 31, v[16:17]
	v_mov_b64_e32 v[54:55], 0
	v_mov_b64_e32 v[6:7], 0
                                        ; implicit-def: $vgpr66
                                        ; implicit-def: $vgpr70_vgpr71
                                        ; implicit-def: $vgpr68_vgpr69
                                        ; implicit-def: $vgpr64_vgpr65
	s_delay_alu instid0(VALU_DEP_3)
	v_and_b32_e32 v17, 3, v2
                                        ; implicit-def: $vgpr2_vgpr3
	s_and_saveexec_b32 s0, vcc_lo
	s_cbranch_execz .LBB8_33
; %bb.24:
	s_trap 2
	ds_load_b64 v[2:3], v0
	v_and_b32_e32 v6, 0xffff, v17
	s_wait_dscnt 0x0
	v_readfirstlane_b32 s2, v2
	v_readfirstlane_b32 s3, v3
	flat_load_b64 v[2:3], v25, s[2:3] scale_offset
	s_wait_loadcnt_dscnt 0x0
	v_mad_nc_u64_u32 v[22:23], 0xa8, v6, v[2:3]
	flat_load_b32 v2, v[22:23] offset:640
	s_wait_loadcnt_dscnt 0x0
	v_cmp_eq_u32_e32 vcc_lo, 1, v2
                                        ; implicit-def: $vgpr2_vgpr3
	s_wait_xcnt 0x0
	s_and_saveexec_b32 s2, vcc_lo
	s_cbranch_execz .LBB8_26
; %bb.25:
	flat_load_b64 v[2:3], v[22:23] offset:648
	v_or_b32_e32 v30, 0x2000, v30
	s_wait_loadcnt_dscnt 0x0
	flat_load_b64 v[6:7], v[2:3]
	s_trap 2
	s_wait_loadcnt_dscnt 0x0
	ds_store_b64 v0, v[6:7]
	flat_load_b64 v[6:7], v[2:3] offset:8
	s_wait_loadcnt_dscnt 0x0
	ds_store_b64 v0, v[6:7]
	flat_load_b64 v[6:7], v[2:3] offset:16
	s_wait_loadcnt_dscnt 0x0
	ds_store_b64 v0, v[6:7]
.LBB8_26:
	s_wait_xcnt 0x0
	s_or_b32 exec_lo, exec_lo, s2
	flat_load_b64 v[8:9], v[22:23] offset:608
	v_and_b32_e32 v6, 32, v30
	s_mov_b32 s2, exec_lo
                                        ; implicit-def: $vgpr64_vgpr65
	s_wait_xcnt 0x0
	s_delay_alu instid0(VALU_DEP_1)
	v_cmpx_ne_u32_e32 0, v6
	s_cbranch_execz .LBB8_28
; %bb.27:
	flat_load_b64 v[64:65], v[22:23] offset:560
	global_wb scope:SCOPE_SYS
	s_wait_storecnt 0x0
	s_wait_xcnt 0x0
	s_wait_loadcnt_dscnt 0x0
	flat_store_b64 v[64:65], v[8:9] scope:SCOPE_SYS
.LBB8_28:
	s_wait_xcnt 0x0
	s_or_b32 exec_lo, exec_lo, s2
	v_add_nc_u64_e32 v[54:55], 0x1f8, v[22:23]
	v_mov_b64_e32 v[6:7], 0
	v_and_b32_e32 v26, 4, v30
	s_mov_b32 s2, exec_lo
                                        ; implicit-def: $vgpr66
                                        ; implicit-def: $vgpr70_vgpr71
                                        ; implicit-def: $vgpr68_vgpr69
	s_delay_alu instid0(VALU_DEP_1)
	v_cmpx_ne_u32_e32 0, v26
	s_cbranch_execz .LBB8_32
; %bb.29:
	v_and_b32_e32 v6, 0x800, v30
	s_mov_b32 s3, exec_lo
	s_delay_alu instid0(VALU_DEP_1)
	v_cmpx_eq_u32_e32 0, v6
	s_cbranch_execz .LBB8_31
; %bb.30:
	s_trap 2
	ds_store_b64 v0, v[54:55]
.LBB8_31:
	s_or_b32 exec_lo, exec_lo, s3
	flat_load_b64 v[64:65], v[22:23] offset:552
	s_wait_loadcnt_dscnt 0x0
	flat_load_b64 v[70:71], v[64:65] scope:SCOPE_SYS
	s_clause 0x2
	flat_load_b32 v26, v[22:23] offset:576
	flat_load_b64 v[6:7], v[22:23] offset:600
	flat_load_b64 v[68:69], v[22:23] offset:520
	s_wait_xcnt 0x0
	v_or_b32_e32 v22, 0x100, v30
	s_wait_loadcnt_dscnt 0x202
	v_ashrrev_i32_e32 v66, 1, v26
	s_wait_loadcnt_dscnt 0x101
	v_cmp_eq_u64_e32 vcc_lo, 0, v[6:7]
	v_cndmask_b32_e32 v30, v22, v30, vcc_lo
.LBB8_32:
	s_or_b32 exec_lo, exec_lo, s2
.LBB8_33:
	s_delay_alu instid0(SALU_CYCLE_1) | instskip(NEXT) | instid1(VALU_DEP_1)
	s_or_b32 exec_lo, exec_lo, s0
	v_and_b32_e32 v22, 24, v30
	s_mov_b32 s0, exec_lo
                                        ; implicit-def: $vgpr84_vgpr85
	s_delay_alu instid0(VALU_DEP_1)
	v_cmpx_ne_u32_e32 0, v22
	s_cbranch_execz .LBB8_41
; %bb.34:
	s_trap 2
	ds_load_b64 v[6:7], v0
	s_wait_loadcnt_dscnt 0x1
	v_and_b32_e32 v8, 0xffff, v17
	v_or_b32_e32 v17, 0x100, v30
                                        ; implicit-def: $vgpr84_vgpr85
	s_wait_dscnt 0x0
	v_readfirstlane_b32 s2, v6
	v_readfirstlane_b32 s3, v7
	flat_load_b64 v[6:7], v25, s[2:3] scale_offset
	s_wait_xcnt 0x0
	s_mov_b32 s2, exec_lo
	s_wait_loadcnt_dscnt 0x0
	v_mad_nc_u64_u32 v[54:55], 0xa8, v8, v[6:7]
	flat_load_b128 v[6:9], v[54:55] offset:96
	s_wait_loadcnt_dscnt 0x0
	v_cmp_eq_u64_e32 vcc_lo, 0, v[6:7]
	v_cndmask_b32_e32 v30, v17, v30, vcc_lo
	s_delay_alu instid0(VALU_DEP_1) | instskip(SKIP_1) | instid1(VALU_DEP_1)
	v_and_b32_e32 v17, 16, v30
	s_wait_xcnt 0x0
	v_cmpx_ne_u32_e32 0, v17
	s_cbranch_execz .LBB8_36
; %bb.35:
	s_clause 0x2
	flat_load_b64 v[64:65], v[54:55] offset:48
	flat_load_b64 v[84:85], v[54:55] offset:120
	;; [unrolled: 1-line block ×3, first 2 shown]
.LBB8_36:
	s_wait_xcnt 0x0
	s_or_b32 exec_lo, exec_lo, s2
	v_and_b32_e32 v17, 8, v30
	s_mov_b32 s2, exec_lo
	s_delay_alu instid0(VALU_DEP_1)
	v_cmpx_ne_u32_e32 0, v17
	s_cbranch_execz .LBB8_40
; %bb.37:
	v_and_b32_e32 v17, 0x800, v30
	s_mov_b32 s3, exec_lo
	s_delay_alu instid0(VALU_DEP_1)
	v_cmpx_eq_u32_e32 0, v17
	s_cbranch_execz .LBB8_39
; %bb.38:
	s_trap 2
	ds_store_b64 v0, v[54:55]
.LBB8_39:
	s_or_b32 exec_lo, exec_lo, s3
	s_wait_loadcnt_dscnt 0x202
	flat_load_b64 v[64:65], v[54:55] offset:56
	s_wait_loadcnt_dscnt 0x0
	flat_load_b64 v[70:71], v[64:65] scope:SCOPE_SYS
	s_clause 0x1
	flat_load_b32 v17, v[54:55] offset:72
	flat_load_b64 v[68:69], v[54:55] offset:16
	s_wait_loadcnt_dscnt 0x101
	v_ashrrev_i32_e32 v66, 1, v17
.LBB8_40:
	s_wait_xcnt 0x0
	s_or_b32 exec_lo, exec_lo, s2
.LBB8_41:
	s_delay_alu instid0(SALU_CYCLE_1)
	s_or_b32 exec_lo, exec_lo, s0
	v_cmp_eq_u32_e64 s0, 0, v0
	s_and_saveexec_b32 s2, s0
	s_cbranch_execz .LBB8_43
; %bb.42:
	v_mov_b64_e32 v[22:23], 0
	s_wait_loadcnt 0x2
	ds_store_2addr_b64 v0, v[12:13], v[10:11] offset1:1
	s_trap 2
	ds_store_b64 v0, v[22:23]
	s_wait_loadcnt 0x1
	ds_store_b64 v0, v[20:21]
.LBB8_43:
	s_or_b32 exec_lo, exec_lo, s2
	s_ashr_i32 s2, s1, 31
	v_and_b32_e32 v82, 0x1fffff00, v18
	s_lshr_b32 s2, s2, 29
	s_wait_loadcnt 0x2
	v_bfe_u32 v10, v16, 1, 30
	v_mov_b32_e32 v83, 0
	s_wait_loadcnt 0x0
	v_and_b32_e32 v72, 0xffff, v19
	s_add_co_i32 s1, s1, s2
                                        ; implicit-def: $vgpr80_vgpr81
	s_delay_alu instid0(SALU_CYCLE_1)
	s_ashr_i32 s17, s1, 4
	s_mov_b32 s1, exec_lo
	v_cmpx_ne_u32_e64 v24, v10
	s_xor_b32 s18, exec_lo, s1
	s_cbranch_execz .LBB8_1259
; %bb.44:
                                        ; implicit-def: $vgpr80_vgpr81
	s_mov_b32 s1, exec_lo
	v_cmpx_ne_u32_e64 v14, v10
	s_xor_b32 s19, exec_lo, s1
	s_cbranch_execz .LBB8_657
; %bb.45:
	v_mov_b64_e32 v[80:81], 0
	s_mov_b32 s20, exec_lo
	v_cmpx_ne_u64_e32 0, v[4:5]
	s_cbranch_execz .LBB8_656
; %bb.46:
	v_dual_mov_b32 v87, 0 :: v_dual_lshrrev_b32 v96, 5, v1
	v_dual_ashrrev_i32 v67, 31, v66 :: v_dual_bitop2_b32 v10, 31, v31 bitop3:0x40
	s_delay_alu instid0(VALU_DEP_2) | instskip(NEXT) | instid1(VALU_DEP_3)
	v_dual_mov_b32 v97, v87 :: v_dual_bitop2_b32 v73, 31, v0 bitop3:0x40
	v_dual_lshlrev_b32 v74, 9, v96 :: v_dual_lshlrev_b32 v76, 6, v96
	v_lshl_add_u32 v98, v96, 10, 0xfffffc00
	s_delay_alu instid0(VALU_DEP_4) | instskip(NEXT) | instid1(VALU_DEP_3)
	v_cmp_eq_u32_e64 s4, 0, v10
	v_dual_mov_b32 v113, v87 :: v_dual_add_nc_u32 v100, 0xfffffe00, v74
	s_delay_alu instid0(VALU_DEP_4) | instskip(NEXT) | instid1(VALU_DEP_4)
	v_subrev_nc_u32_e32 v102, 64, v76
	v_dual_ashrrev_i32 v99, 31, v98 :: v_dual_lshrrev_b32 v75, 5, v0
	s_delay_alu instid0(VALU_DEP_3) | instskip(NEXT) | instid1(VALU_DEP_3)
	v_dual_lshlrev_b32 v10, 4, v73 :: v_dual_ashrrev_i32 v101, 31, v100
	v_dual_ashrrev_i32 v103, 31, v102 :: v_dual_mov_b32 v77, 1
	s_lshr_b32 s2, s17, 27
	v_cmp_eq_u32_e32 vcc_lo, 32, v1
	s_add_co_i32 s2, s17, s2
	v_add_nc_u64_e32 v[114:115], 0x400, v[98:99]
	v_add_nc_u64_e32 v[116:117], 0x200, v[100:101]
	v_mov_b64_e32 v[118:119], 0
	s_wait_dscnt 0x1
	v_cmp_eq_u64_e64 s7, 0, v[84:85]
	v_add_nc_u64_e32 v[40:41], 64, v[102:103]
	v_mov_b64_e32 v[42:43], 0
	v_mov_b64_e32 v[80:81], 0
	v_cmp_ge_u32_e64 s1, v0, v1
	s_ashr_i32 s21, s2, 5
	v_cmp_ne_u32_e64 s2, 32, v1
	v_cmp_ne_u32_e64 s3, v1, v72
	v_cmp_le_u32_e64 s5, v73, v15
	v_cmp_lt_u32_e64 s6, v73, v15
	v_lshl_or_b32 v112, v75, 10, v10
	v_mov_b32_e32 v78, 0x90
	s_mov_b32 s22, 0
	s_add_co_i32 s23, s33, 0xd0
	s_add_co_i32 s24, s33, 0xb0
	s_xor_b32 s25, vcc_lo, -1
	s_trap 2
	s_branch .LBB8_49
.LBB8_47:                               ;   in Loop: Header=BB8_49 Depth=1
	s_wait_xcnt 0x0
	s_or_b32 exec_lo, exec_lo, s10
.LBB8_48:                               ;   in Loop: Header=BB8_49 Depth=1
	s_delay_alu instid0(SALU_CYCLE_1) | instskip(SKIP_1) | instid1(VALU_DEP_1)
	s_or_b32 exec_lo, exec_lo, s11
	v_add_nc_u64_e32 v[42:43], v[42:43], v[82:83]
	v_cmp_ge_u64_e32 vcc_lo, v[42:43], v[4:5]
	s_or_b32 s22, vcc_lo, s22
	s_delay_alu instid0(SALU_CYCLE_1)
	s_and_not1_b32 exec_lo, exec_lo, s22
	s_cbranch_execz .LBB8_655
.LBB8_49:                               ; =>This Loop Header: Depth=1
                                        ;     Child Loop BB8_58 Depth 2
                                        ;     Child Loop BB8_86 Depth 2
	;; [unrolled: 1-line block ×5, first 2 shown]
                                        ;       Child Loop BB8_335 Depth 3
                                        ;       Child Loop BB8_372 Depth 3
                                        ;     Child Loop BB8_449 Depth 2
                                        ;     Child Loop BB8_556 Depth 2
                                        ;       Child Loop BB8_557 Depth 3
                                        ;       Child Loop BB8_566 Depth 3
                                        ;     Child Loop BB8_585 Depth 2
                                        ;     Child Loop BB8_610 Depth 2
	;; [unrolled: 1-line block ×3, first 2 shown]
	v_sub_nc_u64_e32 v[10:11], v[4:5], v[42:43]
	s_delay_alu instid0(VALU_DEP_1) | instskip(NEXT) | instid1(VALU_DEP_1)
	v_min_u64 v[44:45], v[82:83], v[10:11]
	v_add_nc_u32_e32 v10, 15, v44
	s_delay_alu instid0(VALU_DEP_2) | instskip(NEXT) | instid1(VALU_DEP_2)
	v_cmp_eq_u64_e32 vcc_lo, 0, v[44:45]
	v_and_b32_e32 v10, 0x3ffffff0, v10
	s_or_b32 s26, s1, vcc_lo
	s_delay_alu instid0(SALU_CYCLE_1) | instskip(NEXT) | instid1(VALU_DEP_1)
	s_xor_b32 s10, s26, -1
	v_dual_mov_b32 v10, 0 :: v_dual_max_i32 v45, s21, v10
	s_and_saveexec_b32 s27, s10
	s_cbranch_execz .LBB8_603
; %bb.50:                               ;   in Loop: Header=BB8_49 Depth=1
	s_and_saveexec_b32 s10, s0
	s_cbranch_execz .LBB8_52
; %bb.51:                               ;   in Loop: Header=BB8_49 Depth=1
	s_trap 2
	ds_load_b64 v[10:11], v0
	s_wait_dscnt 0x0
	v_lshl_add_u64 v[10:11], v[52:53], 1, v[10:11]
	s_delay_alu instid0(VALU_DEP_1)
	v_lshl_add_u64 v[10:11], v[42:43], 1, v[10:11]
	ds_store_b64 v0, v[10:11]
	ds_store_b64 v0, v[118:119]
.LBB8_52:                               ;   in Loop: Header=BB8_49 Depth=1
	s_or_b32 exec_lo, exec_lo, s10
	v_and_b32_e32 v10, 12, v30
	v_min_u32_e32 v45, v45, v44
	s_mov_b32 s11, exec_lo
	s_delay_alu instid0(VALU_DEP_2)
	v_cmpx_ne_u32_e32 0, v10
	s_cbranch_execz .LBB8_78
; %bb.53:                               ;   in Loop: Header=BB8_49 Depth=1
	v_and_b32_e32 v86, 8, v30
	s_wait_dscnt 0x0
	v_add_nc_u64_e32 v[10:11], 1, v[8:9]
	s_mov_b32 s12, exec_lo
	s_wait_loadcnt 0x0
	v_add_nc_u64_e32 v[12:13], v[70:71], v[86:87]
	s_delay_alu instid0(VALU_DEP_1)
	v_cmpx_lt_u64_e64 v[12:13], v[10:11]
	s_cbranch_execz .LBB8_65
; %bb.54:                               ;   in Loop: Header=BB8_49 Depth=1
	v_and_b32_e32 v9, 64, v30
	s_mov_b32 s13, 0
	s_mov_b32 s29, 0
                                        ; implicit-def: $sgpr14
                                        ; implicit-def: $sgpr15
                                        ; implicit-def: $sgpr28
	s_delay_alu instid0(VALU_DEP_1)
	v_cmp_eq_u32_e32 vcc_lo, 0, v9
	s_branch .LBB8_58
.LBB8_55:                               ;   in Loop: Header=BB8_58 Depth=2
	s_wait_loadcnt_dscnt 0x0
	v_add_nc_u64_e32 v[12:13], v[70:71], v[86:87]
	s_or_b32 s42, s42, exec_lo
	s_delay_alu instid0(VALU_DEP_1)
	v_cmp_ge_u64_e64 s10, v[12:13], v[10:11]
	s_or_not1_b32 s41, s10, exec_lo
.LBB8_56:                               ;   in Loop: Header=BB8_58 Depth=2
	s_or_b32 exec_lo, exec_lo, s44
	s_delay_alu instid0(SALU_CYCLE_1)
	s_and_not1_b32 s10, s28, exec_lo
	s_and_b32 s28, s42, exec_lo
	s_and_not1_b32 s15, s15, exec_lo
	s_and_b32 s41, s41, exec_lo
	s_or_b32 s28, s10, s28
	s_or_b32 s15, s15, s41
.LBB8_57:                               ;   in Loop: Header=BB8_58 Depth=2
	s_or_b32 exec_lo, exec_lo, s40
	s_delay_alu instid0(SALU_CYCLE_1) | instskip(NEXT) | instid1(SALU_CYCLE_1)
	s_and_b32 s10, exec_lo, s15
	s_or_b32 s13, s10, s13
	s_and_not1_b32 s10, s14, exec_lo
	s_and_b32 s14, s28, exec_lo
	s_delay_alu instid0(SALU_CYCLE_1)
	s_or_b32 s14, s10, s14
	s_and_not1_b32 exec_lo, exec_lo, s13
	s_cbranch_execz .LBB8_62
.LBB8_58:                               ;   Parent Loop BB8_49 Depth=1
                                        ; =>  This Inner Loop Header: Depth=2
	s_sleep 1
	s_wait_loadcnt_dscnt 0x0
	flat_load_b64 v[70:71], v[64:65] scope:SCOPE_SYS
	s_or_b32 s28, s28, exec_lo
	s_or_b32 s15, s15, exec_lo
                                        ; implicit-def: $vgpr9
	s_wait_xcnt 0x0
	s_and_saveexec_b32 s40, vcc_lo
	s_cbranch_execz .LBB8_57
; %bb.59:                               ;   in Loop: Header=BB8_58 Depth=2
	s_cmp_lt_i32 s29, 0x270f
	s_mov_b32 s41, -1
	s_cselect_b32 s43, -1, 0
	s_cmp_gt_i32 s29, 0x270e
	s_cbranch_scc0 .LBB8_61
; %bb.60:                               ;   in Loop: Header=BB8_58 Depth=2
	s_trap 2
	ds_load_b64 v[12:13], v0
	s_and_not1_b32 s29, s43, exec_lo
	s_mov_b32 s42, 0
	s_wait_storecnt 0x0
	s_wait_loadcnt_dscnt 0x0
	flat_load_b32 v9, v[12:13] scope:SCOPE_SYS
	s_wait_loadcnt_dscnt 0x0
	global_inv scope:SCOPE_SYS
	v_cmp_eq_u32_e64 s10, 0, v9
	s_and_b32 s10, s10, exec_lo
	s_delay_alu instid0(SALU_CYCLE_1)
	s_or_b32 s43, s29, s10
	s_mov_b32 s29, 0
	s_wait_xcnt 0x0
	s_and_saveexec_b32 s44, s43
	s_cbranch_execz .LBB8_56
	s_branch .LBB8_55
.LBB8_61:                               ;   in Loop: Header=BB8_58 Depth=2
	s_add_co_i32 s29, s29, 1
	s_mov_b32 s42, -1
                                        ; implicit-def: $vgpr9
	s_and_saveexec_b32 s44, s43
	s_cbranch_execz .LBB8_56
	s_branch .LBB8_55
.LBB8_62:                               ;   in Loop: Header=BB8_49 Depth=1
	s_or_b32 exec_lo, exec_lo, s13
	s_xor_b32 s10, s14, -1
	s_delay_alu instid0(SALU_CYCLE_1) | instskip(NEXT) | instid1(SALU_CYCLE_1)
	s_and_saveexec_b32 s13, s10
	s_xor_b32 s10, exec_lo, s13
	s_cbranch_execz .LBB8_64
; %bb.63:                               ;   in Loop: Header=BB8_49 Depth=1
	v_or_b32_e32 v30, 64, v30
	s_wait_storecnt 0x0
	s_wait_loadcnt_dscnt 0x0
	ds_store_b32 v0, v9
	s_trap 2
.LBB8_64:                               ;   in Loop: Header=BB8_49 Depth=1
	s_or_b32 exec_lo, exec_lo, s10
.LBB8_65:                               ;   in Loop: Header=BB8_49 Depth=1
	s_delay_alu instid0(SALU_CYCLE_1) | instskip(SKIP_3) | instid1(VALU_DEP_1)
	s_or_b32 exec_lo, exec_lo, s12
	v_and_b32_e32 v9, 0x108, v30
	s_mov_b32 s10, exec_lo
	;;#ASMSTART
	s_wakeup
	;;#ASMEND
                                        ; implicit-def: $vgpr12_vgpr13
	v_cmpx_ne_u32_e32 0x108, v9
	s_xor_b32 s10, exec_lo, s10
; %bb.66:                               ;   in Loop: Header=BB8_49 Depth=1
	v_dual_mov_b32 v13, v87 :: v_dual_bitop2_b32 v12, 7, v8 bitop3:0x40
; %bb.67:                               ;   in Loop: Header=BB8_49 Depth=1
	s_and_not1_saveexec_b32 s10, s10
	s_cbranch_execz .LBB8_69
; %bb.68:                               ;   in Loop: Header=BB8_49 Depth=1
	v_dual_lshlrev_b32 v14, 1, v45 :: v_dual_bitop2_b32 v12, 7, v8 bitop3:0x40
	v_dual_mov_b32 v15, v87 :: v_dual_mov_b32 v13, v87
	s_delay_alu instid0(VALU_DEP_2)
	v_mad_nc_u64_u32 v[8:9], v12, 24, v[6:7]
	flat_store_b64 v[8:9], v[14:15] offset:8
.LBB8_69:                               ;   in Loop: Header=BB8_49 Depth=1
	s_wait_xcnt 0x0
	s_or_b32 exec_lo, exec_lo, s10
	v_and_b32_e32 v8, 0x100, v30
	s_mov_b32 s10, -1
	s_delay_alu instid0(VALU_DEP_1)
	v_cmp_ne_u32_e32 vcc_lo, 0, v8
                                        ; implicit-def: $vgpr8_vgpr9
	s_and_saveexec_b32 s12, vcc_lo
	s_cbranch_execz .LBB8_73
; %bb.70:                               ;   in Loop: Header=BB8_49 Depth=1
	v_mad_nc_u64_u32 v[14:15], v12, 24, v[6:7]
	s_delay_alu instid0(VALU_DEP_1)
	v_mad_u32 v15, v13, 24, v15
	flat_load_b32 v8, v[14:15]
	s_wait_loadcnt_dscnt 0x0
	v_cmp_eq_u32_e64 s10, 1, v8
	v_cmp_ne_u32_e32 vcc_lo, 1, v8
                                        ; implicit-def: $vgpr8_vgpr9
	s_wait_xcnt 0x0
	s_and_saveexec_b32 s13, s10
	s_cbranch_execz .LBB8_72
; %bb.71:                               ;   in Loop: Header=BB8_49 Depth=1
	flat_load_b32 v8, v[14:15] offset:4 scope:SCOPE_SYS
	s_wait_loadcnt_dscnt 0x0
	v_ashrrev_i32_e32 v9, 31, v8
	s_delay_alu instid0(VALU_DEP_1)
	v_lshrrev_b64 v[8:9], 1, v[8:9]
.LBB8_72:                               ;   in Loop: Header=BB8_49 Depth=1
	s_wait_xcnt 0x0
	s_or_b32 exec_lo, exec_lo, s13
	s_delay_alu instid0(SALU_CYCLE_1)
	s_or_not1_b32 s10, vcc_lo, exec_lo
.LBB8_73:                               ;   in Loop: Header=BB8_49 Depth=1
	s_or_b32 exec_lo, exec_lo, s12
	s_and_saveexec_b32 s12, s10
; %bb.74:                               ;   in Loop: Header=BB8_49 Depth=1
	v_mul_u64_e32 v[8:9], v[12:13], v[66:67]
; %bb.75:                               ;   in Loop: Header=BB8_49 Depth=1
	s_or_b32 exec_lo, exec_lo, s12
	v_cmp_eq_u32_e32 vcc_lo, 0, v86
	v_and_b32_e32 v13, 0x2000, v30
	s_delay_alu instid0(VALU_DEP_3) | instskip(SKIP_2) | instid1(VALU_DEP_1)
	v_lshl_add_u64 v[8:9], v[8:9], 1, v[68:69]
	s_mov_b32 s10, exec_lo
	v_cndmask_b32_e32 v12, 0xc8, v78, vcc_lo
	v_add_nc_u32_e32 v12, v0, v12
	ds_store_b64 v12, v[8:9] offset:584
	v_cmpx_ne_u32_e32 0, v13
	s_cbranch_execz .LBB8_77
; %bb.76:                               ;   in Loop: Header=BB8_49 Depth=1
	ds_load_b64 v[8:9], v0 offset:872
	s_wait_dscnt 0x0
	v_add_nc_u64_e32 v[8:9], 1, v[8:9]
	ds_store_b64 v0, v[8:9] offset:872
.LBB8_77:                               ;   in Loop: Header=BB8_49 Depth=1
	s_or_b32 exec_lo, exec_lo, s10
	v_mov_b64_e32 v[8:9], v[10:11]
.LBB8_78:                               ;   in Loop: Header=BB8_49 Depth=1
	s_or_b32 exec_lo, exec_lo, s11
	s_and_saveexec_b32 s10, s2
	s_cbranch_execz .LBB8_97
; %bb.79:                               ;   in Loop: Header=BB8_49 Depth=1
	s_and_saveexec_b32 s11, s3
	s_delay_alu instid0(SALU_CYCLE_1)
	s_xor_b32 s11, exec_lo, s11
	s_cbranch_execz .LBB8_94
; %bb.80:                               ;   in Loop: Header=BB8_49 Depth=1
	s_and_saveexec_b32 s12, s4
	s_cbranch_execz .LBB8_93
; %bb.81:                               ;   in Loop: Header=BB8_49 Depth=1
	s_mov_b32 s14, exec_lo
	s_mov_b32 s13, exec_lo
	v_mbcnt_lo_u32_b32 v10, s14, 0
	global_wb scope:SCOPE_DEV
	s_wait_storecnt 0x0
	s_wait_loadcnt_dscnt 0x0
	global_inv scope:SCOPE_DEV
	v_cmpx_eq_u32_e32 0, v10
	s_cbranch_execz .LBB8_83
; %bb.82:                               ;   in Loop: Header=BB8_49 Depth=1
	s_bcnt1_i32_b32 s14, s14
	s_delay_alu instid0(SALU_CYCLE_1)
	v_mov_b32_e32 v86, s14
	s_wait_loadcnt 0x0
	ds_add_u64 v0, v[86:87]
	s_trap 2
.LBB8_83:                               ;   in Loop: Header=BB8_49 Depth=1
	s_or_b32 exec_lo, exec_lo, s13
	s_trap 2
	ds_load_b64 v[10:11], v0
	s_wait_dscnt 0x0
	v_add_nc_u64_e32 v[80:81], v[80:81], v[96:97]
	s_mov_b32 s13, exec_lo
	s_delay_alu instid0(VALU_DEP_1)
	v_cmpx_lt_u64_e64 v[10:11], v[80:81]
	s_cbranch_execz .LBB8_92
; %bb.84:                               ;   in Loop: Header=BB8_49 Depth=1
	s_mov_b32 s14, 0
	s_mov_b32 s29, 0
                                        ; implicit-def: $sgpr15
                                        ; implicit-def: $sgpr28
	s_branch .LBB8_86
.LBB8_85:                               ;   in Loop: Header=BB8_86 Depth=2
	s_or_b32 exec_lo, exec_lo, s41
	s_delay_alu instid0(SALU_CYCLE_1) | instskip(NEXT) | instid1(SALU_CYCLE_1)
	s_and_b32 s40, exec_lo, s42
	s_or_b32 s14, s40, s14
	s_and_not1_b32 s15, s15, exec_lo
	s_and_b32 s40, s28, exec_lo
	s_delay_alu instid0(SALU_CYCLE_1)
	s_or_b32 s15, s15, s40
	s_and_not1_b32 exec_lo, exec_lo, s14
	s_cbranch_execz .LBB8_90
.LBB8_86:                               ;   Parent Loop BB8_49 Depth=1
                                        ; =>  This Inner Loop Header: Depth=2
	s_add_co_i32 s29, s29, 1
	s_delay_alu instid0(SALU_CYCLE_1) | instskip(SKIP_1) | instid1(SALU_CYCLE_1)
	s_cmp_lg_u32 s29, 0x2710
	s_cselect_b32 s40, -1, 0
	s_and_b32 vcc_lo, exec_lo, s40
	s_cbranch_vccz .LBB8_88
; %bb.87:                               ;   in Loop: Header=BB8_86 Depth=2
	s_mov_b32 s42, -1
	s_or_b32 s28, s28, exec_lo
	s_and_saveexec_b32 s41, s40
	s_cbranch_execz .LBB8_85
	s_branch .LBB8_89
.LBB8_88:                               ;   in Loop: Header=BB8_86 Depth=2
	s_trap 2
	ds_load_b64 v[10:11], v0
	s_and_not1_b32 s40, s40, exec_lo
	s_mov_b32 s29, 0
	s_wait_loadcnt_dscnt 0x0
	flat_load_b32 v10, v[10:11] scope:SCOPE_SYS
	s_wait_loadcnt_dscnt 0x0
	global_inv scope:SCOPE_SYS
	v_cmp_eq_u32_e32 vcc_lo, 0, v10
	s_and_b32 s41, vcc_lo, exec_lo
	s_delay_alu instid0(SALU_CYCLE_1)
	s_or_b32 s40, s40, s41
	s_mov_b32 s42, -1
	s_or_b32 s28, s28, exec_lo
	s_wait_xcnt 0x0
	s_and_saveexec_b32 s41, s40
	s_cbranch_execz .LBB8_85
.LBB8_89:                               ;   in Loop: Header=BB8_86 Depth=2
	s_sleep 1
	s_trap 2
	ds_load_b64 v[10:11], v0
	s_wait_dscnt 0x0
	s_and_not1_b32 s28, s28, exec_lo
	v_cmp_ge_u64_e32 vcc_lo, v[10:11], v[80:81]
	s_or_not1_b32 s42, vcc_lo, exec_lo
	s_branch .LBB8_85
.LBB8_90:                               ;   in Loop: Header=BB8_49 Depth=1
	s_or_b32 exec_lo, exec_lo, s14
	s_and_saveexec_b32 s14, s15
	s_delay_alu instid0(SALU_CYCLE_1)
	s_xor_b32 s14, exec_lo, s14
	s_cbranch_execz .LBB8_92
; %bb.91:                               ;   in Loop: Header=BB8_49 Depth=1
	ds_store_b32 v0, v77
	s_trap 2
.LBB8_92:                               ;   in Loop: Header=BB8_49 Depth=1
	s_or_b32 exec_lo, exec_lo, s13
	;;#ASMSTART
	s_wakeup
	;;#ASMEND
.LBB8_93:                               ;   in Loop: Header=BB8_49 Depth=1
	s_or_b32 exec_lo, exec_lo, s12
.LBB8_94:                               ;   in Loop: Header=BB8_49 Depth=1
	s_and_not1_saveexec_b32 s11, s11
	s_cbranch_execz .LBB8_96
; %bb.95:                               ;   in Loop: Header=BB8_49 Depth=1
	global_wb scope:SCOPE_DEV
	s_wait_storecnt 0x0
	s_wait_loadcnt_dscnt 0x0
	global_inv scope:SCOPE_DEV
	s_barrier_signal -1
	s_barrier_wait -1
.LBB8_96:                               ;   in Loop: Header=BB8_49 Depth=1
	s_or_b32 exec_lo, exec_lo, s11
.LBB8_97:                               ;   in Loop: Header=BB8_49 Depth=1
	s_delay_alu instid0(SALU_CYCLE_1) | instskip(SKIP_3) | instid1(VALU_DEP_1)
	s_or_b32 exec_lo, exec_lo, s10
	s_trap 2
	ds_load_b32 v10, v0
	v_and_b32_e32 v11, 0x4000, v30
	v_cmp_ne_u32_e32 vcc_lo, 0, v11
	s_and_b32 s11, s25, vcc_lo
	s_delay_alu instid0(SALU_CYCLE_1)
	s_and_saveexec_b32 s10, s11
	s_cbranch_execz .LBB8_116
; %bb.98:                               ;   in Loop: Header=BB8_49 Depth=1
	s_and_saveexec_b32 s11, s3
	s_delay_alu instid0(SALU_CYCLE_1)
	s_xor_b32 s11, exec_lo, s11
	s_cbranch_execz .LBB8_113
; %bb.99:                               ;   in Loop: Header=BB8_49 Depth=1
	s_and_saveexec_b32 s12, s4
	s_cbranch_execz .LBB8_112
; %bb.100:                              ;   in Loop: Header=BB8_49 Depth=1
	s_mov_b32 s14, exec_lo
	s_mov_b32 s13, exec_lo
	v_mbcnt_lo_u32_b32 v11, s14, 0
	global_wb scope:SCOPE_DEV
	s_wait_storecnt 0x0
	s_wait_loadcnt_dscnt 0x0
	global_inv scope:SCOPE_DEV
	v_cmpx_eq_u32_e32 0, v11
	s_cbranch_execz .LBB8_102
; %bb.101:                              ;   in Loop: Header=BB8_49 Depth=1
	s_bcnt1_i32_b32 s14, s14
	s_delay_alu instid0(SALU_CYCLE_1)
	v_mov_b32_e32 v86, s14
	s_wait_loadcnt 0x0
	ds_add_u64 v0, v[86:87]
	s_trap 2
.LBB8_102:                              ;   in Loop: Header=BB8_49 Depth=1
	s_or_b32 exec_lo, exec_lo, s13
	s_trap 2
	ds_load_b64 v[12:13], v0
	s_wait_dscnt 0x0
	v_add_nc_u64_e32 v[80:81], v[80:81], v[96:97]
	s_mov_b32 s13, exec_lo
	s_delay_alu instid0(VALU_DEP_1)
	v_cmpx_lt_u64_e64 v[12:13], v[80:81]
	s_cbranch_execz .LBB8_111
; %bb.103:                              ;   in Loop: Header=BB8_49 Depth=1
	s_mov_b32 s14, 0
	s_mov_b32 s29, 0
                                        ; implicit-def: $sgpr15
                                        ; implicit-def: $sgpr28
	s_branch .LBB8_105
.LBB8_104:                              ;   in Loop: Header=BB8_105 Depth=2
	s_or_b32 exec_lo, exec_lo, s41
	s_delay_alu instid0(SALU_CYCLE_1) | instskip(NEXT) | instid1(SALU_CYCLE_1)
	s_and_b32 s40, exec_lo, s42
	s_or_b32 s14, s40, s14
	s_and_not1_b32 s15, s15, exec_lo
	s_and_b32 s40, s28, exec_lo
	s_delay_alu instid0(SALU_CYCLE_1)
	s_or_b32 s15, s15, s40
	s_and_not1_b32 exec_lo, exec_lo, s14
	s_cbranch_execz .LBB8_109
.LBB8_105:                              ;   Parent Loop BB8_49 Depth=1
                                        ; =>  This Inner Loop Header: Depth=2
	s_add_co_i32 s29, s29, 1
	s_delay_alu instid0(SALU_CYCLE_1) | instskip(SKIP_1) | instid1(SALU_CYCLE_1)
	s_cmp_lg_u32 s29, 0x2710
	s_cselect_b32 s40, -1, 0
	s_and_b32 vcc_lo, exec_lo, s40
	s_cbranch_vccz .LBB8_107
; %bb.106:                              ;   in Loop: Header=BB8_105 Depth=2
	s_mov_b32 s42, -1
	s_or_b32 s28, s28, exec_lo
	s_and_saveexec_b32 s41, s40
	s_cbranch_execz .LBB8_104
	s_branch .LBB8_108
.LBB8_107:                              ;   in Loop: Header=BB8_105 Depth=2
	s_trap 2
	ds_load_b64 v[12:13], v0
	s_and_not1_b32 s40, s40, exec_lo
	s_mov_b32 s29, 0
	s_wait_loadcnt_dscnt 0x0
	flat_load_b32 v11, v[12:13] scope:SCOPE_SYS
	s_wait_loadcnt_dscnt 0x0
	global_inv scope:SCOPE_SYS
	v_cmp_eq_u32_e32 vcc_lo, 0, v11
	s_and_b32 s41, vcc_lo, exec_lo
	s_delay_alu instid0(SALU_CYCLE_1)
	s_or_b32 s40, s40, s41
	s_mov_b32 s42, -1
	s_or_b32 s28, s28, exec_lo
	s_wait_xcnt 0x0
	s_and_saveexec_b32 s41, s40
	s_cbranch_execz .LBB8_104
.LBB8_108:                              ;   in Loop: Header=BB8_105 Depth=2
	s_sleep 1
	s_trap 2
	ds_load_b64 v[12:13], v0
	s_wait_dscnt 0x0
	s_and_not1_b32 s28, s28, exec_lo
	v_cmp_ge_u64_e32 vcc_lo, v[12:13], v[80:81]
	s_or_not1_b32 s42, vcc_lo, exec_lo
	s_branch .LBB8_104
.LBB8_109:                              ;   in Loop: Header=BB8_49 Depth=1
	s_or_b32 exec_lo, exec_lo, s14
	s_and_saveexec_b32 s14, s15
	s_delay_alu instid0(SALU_CYCLE_1)
	s_xor_b32 s14, exec_lo, s14
	s_cbranch_execz .LBB8_111
; %bb.110:                              ;   in Loop: Header=BB8_49 Depth=1
	ds_store_b32 v0, v77
	s_trap 2
.LBB8_111:                              ;   in Loop: Header=BB8_49 Depth=1
	s_or_b32 exec_lo, exec_lo, s13
	;;#ASMSTART
	s_wakeup
	;;#ASMEND
.LBB8_112:                              ;   in Loop: Header=BB8_49 Depth=1
	s_or_b32 exec_lo, exec_lo, s12
.LBB8_113:                              ;   in Loop: Header=BB8_49 Depth=1
	s_and_not1_saveexec_b32 s11, s11
	s_cbranch_execz .LBB8_115
; %bb.114:                              ;   in Loop: Header=BB8_49 Depth=1
	global_wb scope:SCOPE_DEV
	s_wait_storecnt 0x0
	s_wait_loadcnt_dscnt 0x0
	global_inv scope:SCOPE_DEV
	s_barrier_signal -1
	s_barrier_wait -1
.LBB8_115:                              ;   in Loop: Header=BB8_49 Depth=1
	s_or_b32 exec_lo, exec_lo, s11
.LBB8_116:                              ;   in Loop: Header=BB8_49 Depth=1
	s_delay_alu instid0(SALU_CYCLE_1)
	s_or_b32 exec_lo, exec_lo, s10
	s_trap 2
	ds_load_b64 v[46:47], v0
	s_wait_dscnt 0x0
	v_cmp_eq_u64_e32 vcc_lo, 0, v[46:47]
	s_cbranch_vccnz .LBB8_124
; %bb.117:                              ;   in Loop: Header=BB8_49 Depth=1
	s_trap 2
	ds_load_b64 v[56:57], v0
	s_wait_dscnt 0x0
	v_cmp_eq_u64_e32 vcc_lo, 0, v[56:57]
	s_cbranch_vccnz .LBB8_124
; %bb.118:                              ;   in Loop: Header=BB8_49 Depth=1
	s_trap 2
	ds_load_b64 v[12:13], v0
	s_mov_b32 s10, -1
	s_wait_dscnt 0x0
	v_readfirstlane_b32 s11, v12
	s_and_saveexec_b32 s12, s5
	s_cbranch_execz .LBB8_120
; %bb.119:                              ;   in Loop: Header=BB8_49 Depth=1
	ds_load_b32 v11, v0 offset:720
	s_wait_dscnt 0x0
	v_and_b32_e32 v11, 15, v11
	s_delay_alu instid0(VALU_DEP_1)
	v_cmp_eq_u32_e32 vcc_lo, 0, v11
	s_or_not1_b32 s10, vcc_lo, exec_lo
.LBB8_120:                              ;   in Loop: Header=BB8_49 Depth=1
	s_or_b32 exec_lo, exec_lo, s12
	s_and_saveexec_b32 s12, s6
	s_cbranch_execz .LBB8_122
; %bb.121:                              ;   in Loop: Header=BB8_49 Depth=1
	ds_load_b32 v11, v0 offset:784
	s_wait_dscnt 0x0
	v_and_b32_e32 v11, 15, v11
	s_delay_alu instid0(VALU_DEP_1) | instskip(SKIP_3) | instid1(SALU_CYCLE_1)
	v_cmp_eq_u32_e32 vcc_lo, 0, v11
	s_and_b32 s13, s10, vcc_lo
	s_and_not1_b32 s10, s10, exec_lo
	s_and_b32 s13, s13, exec_lo
	s_or_b32 s10, s10, s13
.LBB8_122:                              ;   in Loop: Header=BB8_49 Depth=1
	s_or_b32 exec_lo, exec_lo, s12
	s_xor_b32 s10, s10, -1
	s_mov_b32 s12, -1
	v_cndmask_b32_e64 v11, 0, 1, s10
	v_cmp_eq_u32_e64 s10, 0, v10
	s_delay_alu instid0(VALU_DEP_2)
	v_cmp_ne_u32_e32 vcc_lo, 0, v11
	s_cbranch_vccz .LBB8_125
; %bb.123:                              ;   in Loop: Header=BB8_49 Depth=1
	s_and_b32 s28, s11, 1
	s_mov_b32 s12, 0
	s_mov_b32 s29, -1
	s_branch .LBB8_126
.LBB8_124:                              ;   in Loop: Header=BB8_49 Depth=1
	s_mov_b32 s10, 0
	s_and_saveexec_b32 s11, s2
	s_cbranch_execnz .LBB8_578
	s_branch .LBB8_596
.LBB8_125:                              ;   in Loop: Header=BB8_49 Depth=1
	s_mov_b32 s29, 0
                                        ; implicit-def: $sgpr28
.LBB8_126:                              ;   in Loop: Header=BB8_49 Depth=1
	v_dual_cndmask_b32 v86, 0, v45, s10 :: v_dual_mov_b32 v16, 0
	s_and_not1_b32 vcc_lo, exec_lo, s12
	s_delay_alu instid0(VALU_DEP_1)
	v_lshlrev_b32_e32 v79, 1, v86
	s_cbranch_vccnz .LBB8_262
; %bb.127:                              ;   in Loop: Header=BB8_49 Depth=1
	v_lshrrev_b32_e32 v88, 9, v86
	v_add_nc_u64_e32 v[58:59], v[56:57], v[112:113]
	s_and_b32 s28, s11, 1
	s_mov_b32 s10, 0
	s_mov_b32 s11, exec_lo
	v_sub_nc_u32_e32 v89, v88, v75
                                        ; implicit-def: $vgpr22_vgpr23
                                        ; implicit-def: $vgpr14_vgpr15
                                        ; implicit-def: $vgpr18_vgpr19
                                        ; implicit-def: $vgpr10_vgpr11
	s_delay_alu instid0(VALU_DEP_1)
	v_cmpx_lt_i32_e32 0, v89
	s_cbranch_execz .LBB8_264
; %bb.128:                              ;   in Loop: Header=BB8_49 Depth=1
	s_trap 2
	ds_load_b64 v[10:11], v0
	v_add_nc_u64_e32 v[60:61], v[46:47], v[112:113]
	s_and_b32 s10, 0xffff, s28
	s_mov_b32 s14, 0
	s_cmp_eq_u32 s10, 0
	s_mov_b32 s12, 0
	s_cselect_b32 vcc_lo, -1, 0
                                        ; implicit-def: $sgpr13
                                        ; implicit-def: $vgpr22_vgpr23
                                        ; implicit-def: $vgpr14_vgpr15
                                        ; implicit-def: $vgpr18_vgpr19
	s_wait_dscnt 0x0
	v_add_nc_u64_e32 v[62:63], v[10:11], v[112:113]
                                        ; implicit-def: $vgpr10_vgpr11
	s_branch .LBB8_130
.LBB8_129:                              ;   in Loop: Header=BB8_130 Depth=2
	s_or_b32 exec_lo, exec_lo, s15
	v_dual_lshrrev_b32 v35, 16, v48 :: v_dual_lshrrev_b32 v48, 16, v90
	v_dual_lshrrev_b32 v49, 16, v49 :: v_dual_lshrrev_b32 v50, 16, v50
	v_lshrrev_b32_e32 v32, 16, v32
	s_delay_alu instid0(VALU_DEP_3) | instskip(NEXT) | instid1(VALU_DEP_4)
	v_and_or_b32 v37, 0xffff0000, v37, v35
	v_and_or_b32 v36, 0xffff0000, v36, v48
	v_dual_lshrrev_b32 v35, 16, v51 :: v_dual_cndmask_b32 v48, 0, v96, s14
	v_and_or_b32 v38, 0xffff0000, v38, v49
	v_dual_lshrrev_b32 v33, 16, v33 :: v_dual_lshrrev_b32 v34, 16, v34
	s_delay_alu instid0(VALU_DEP_3) | instskip(NEXT) | instid1(VALU_DEP_4)
	v_and_or_b32 v26, 0xffff0000, v26, v35
	v_dual_cndmask_b32 v35, 0, v115, s14 :: v_dual_sub_nc_u32 v89, v89, v48
	v_add_nc_u64_e32 v[48:49], v[62:63], v[98:99]
	v_and_or_b32 v39, 0xffff0000, v39, v50
	v_and_or_b32 v27, 0xffff0000, v27, v32
	;; [unrolled: 1-line block ×4, first 2 shown]
	v_add_nc_u64_e32 v[32:33], v[60:61], v[98:99]
	v_cndmask_b32_e64 v34, 0x400, v114, s14
	v_cndmask_b32_e64 v63, v63, v49, s14
	v_cmp_gt_i32_e64 s10, 1, v89
	s_clause 0x1
	global_store_b128 v[58:59], v[36:39], off th:TH_STORE_NT
	global_store_b128 v[58:59], v[26:29], off offset:512 th:TH_STORE_NT
	v_cndmask_b32_e64 v62, v62, v48, s14
	s_wait_xcnt 0x0
	v_add_nc_u64_e32 v[58:59], v[58:59], v[34:35]
	v_dual_cndmask_b32 v61, v61, v33, s14 :: v_dual_cndmask_b32 v60, v60, v32, s14
	s_or_b32 s12, s10, s12
	s_and_not1_b32 s10, s13, exec_lo
	s_and_b32 s13, s14, exec_lo
	s_delay_alu instid0(SALU_CYCLE_1)
	s_or_b32 s13, s10, s13
	s_and_not1_b32 exec_lo, exec_lo, s12
	s_cbranch_execz .LBB8_263
.LBB8_130:                              ;   Parent Loop BB8_49 Depth=1
                                        ; =>  This Inner Loop Header: Depth=2
	s_clause 0x1
	global_load_b128 v[36:39], v[60:61], off th:TH_LOAD_NT
	global_load_b128 v[26:29], v[60:61], off offset:512 th:TH_LOAD_NT
	s_clause 0x1
	global_load_b128 v[48:51], v[62:63], off th:TH_LOAD_NT
	global_load_b128 v[32:35], v[62:63], off offset:512 th:TH_LOAD_NT
	s_wait_xcnt 0x0
	s_and_saveexec_b32 s15, s14
	s_cbranch_execz .LBB8_196
; %bb.131:                              ;   in Loop: Header=BB8_130 Depth=2
	v_lshlrev_b32_e32 v91, 16, v22
	s_delay_alu instid0(VALU_DEP_1) | instskip(NEXT) | instid1(VALU_DEP_1)
	v_dual_max_num_f32 v91, v91, v91 :: v_dual_lshlrev_b32 v90, 16, v18
	v_max_num_f32_e32 v90, v90, v90
	s_delay_alu instid0(VALU_DEP_1) | instskip(NEXT) | instid1(VALU_DEP_1)
	v_dual_min_num_f32 v92, v91, v90 :: v_dual_max_num_f32 v90, v91, v90
	v_cndmask_b32_e32 v91, v90, v92, vcc_lo
	s_delay_alu instid0(VALU_DEP_1) | instskip(NEXT) | instid1(VALU_DEP_1)
	v_and_b32_e32 v90, 0x7f800000, v91
	v_cmp_ne_u32_e64 s10, 0x7f800000, v90
                                        ; implicit-def: $vgpr90
	s_and_saveexec_b32 s14, s10
	s_delay_alu instid0(SALU_CYCLE_1)
	s_xor_b32 s10, exec_lo, s14
; %bb.132:                              ;   in Loop: Header=BB8_130 Depth=2
	v_bfe_u32 v90, v91, 16, 1
	s_delay_alu instid0(VALU_DEP_1)
	v_add3_u32 v90, v91, v90, 0x7fff
                                        ; implicit-def: $vgpr91
; %bb.133:                              ;   in Loop: Header=BB8_130 Depth=2
	s_and_not1_saveexec_b32 s14, s10
; %bb.134:                              ;   in Loop: Header=BB8_130 Depth=2
	v_and_b32_e32 v90, 0xffff, v91
	v_or_b32_e32 v92, 0x10000, v91
	s_delay_alu instid0(VALU_DEP_2) | instskip(NEXT) | instid1(VALU_DEP_1)
	v_cmp_eq_u32_e64 s10, 0, v90
	v_cndmask_b32_e64 v90, v92, v91, s10
; %bb.135:                              ;   in Loop: Header=BB8_130 Depth=2
	s_or_b32 exec_lo, exec_lo, s14
	v_and_b32_e32 v91, 0xffff0000, v18
	v_and_b32_e32 v22, 0xffff0000, v22
	s_delay_alu instid0(VALU_DEP_1) | instskip(NEXT) | instid1(VALU_DEP_1)
	v_dual_max_num_f32 v91, v91, v91 :: v_dual_max_num_f32 v22, v22, v22
	v_dual_min_num_f32 v92, v22, v91 :: v_dual_max_num_f32 v22, v22, v91
	s_delay_alu instid0(VALU_DEP_1) | instskip(NEXT) | instid1(VALU_DEP_1)
	v_cndmask_b32_e32 v91, v22, v92, vcc_lo
	v_and_b32_e32 v22, 0x7f800000, v91
	s_delay_alu instid0(VALU_DEP_1) | instskip(SKIP_1) | instid1(SALU_CYCLE_1)
	v_cmp_ne_u32_e64 s10, 0x7f800000, v22
                                        ; implicit-def: $vgpr22
	s_and_saveexec_b32 s14, s10
	s_xor_b32 s10, exec_lo, s14
; %bb.136:                              ;   in Loop: Header=BB8_130 Depth=2
	v_bfe_u32 v22, v91, 16, 1
	s_delay_alu instid0(VALU_DEP_1)
	v_add3_u32 v22, v91, v22, 0x7fff
                                        ; implicit-def: $vgpr91
; %bb.137:                              ;   in Loop: Header=BB8_130 Depth=2
	s_and_not1_saveexec_b32 s14, s10
; %bb.138:                              ;   in Loop: Header=BB8_130 Depth=2
	v_and_b32_e32 v22, 0xffff, v91
	v_or_b32_e32 v92, 0x10000, v91
	s_delay_alu instid0(VALU_DEP_2) | instskip(NEXT) | instid1(VALU_DEP_1)
	v_cmp_eq_u32_e64 s10, 0, v22
	v_cndmask_b32_e64 v22, v92, v91, s10
; %bb.139:                              ;   in Loop: Header=BB8_130 Depth=2
	s_or_b32 exec_lo, exec_lo, s14
	v_lshlrev_b32_e32 v92, 16, v23
	s_delay_alu instid0(VALU_DEP_1) | instskip(NEXT) | instid1(VALU_DEP_1)
	v_dual_max_num_f32 v92, v92, v92 :: v_dual_lshlrev_b32 v91, 16, v19
	v_max_num_f32_e32 v91, v91, v91
	s_delay_alu instid0(VALU_DEP_1) | instskip(NEXT) | instid1(VALU_DEP_1)
	v_dual_min_num_f32 v93, v92, v91 :: v_dual_max_num_f32 v91, v92, v91
	v_cndmask_b32_e32 v92, v91, v93, vcc_lo
	s_delay_alu instid0(VALU_DEP_1) | instskip(NEXT) | instid1(VALU_DEP_1)
	v_and_b32_e32 v91, 0x7f800000, v92
	v_cmp_ne_u32_e64 s10, 0x7f800000, v91
                                        ; implicit-def: $vgpr91
	s_and_saveexec_b32 s14, s10
	s_delay_alu instid0(SALU_CYCLE_1)
	s_xor_b32 s10, exec_lo, s14
; %bb.140:                              ;   in Loop: Header=BB8_130 Depth=2
	v_bfe_u32 v91, v92, 16, 1
	s_delay_alu instid0(VALU_DEP_1)
	v_add3_u32 v91, v92, v91, 0x7fff
                                        ; implicit-def: $vgpr92
; %bb.141:                              ;   in Loop: Header=BB8_130 Depth=2
	s_and_not1_saveexec_b32 s14, s10
; %bb.142:                              ;   in Loop: Header=BB8_130 Depth=2
	v_and_b32_e32 v91, 0xffff, v92
	v_or_b32_e32 v93, 0x10000, v92
	s_delay_alu instid0(VALU_DEP_2) | instskip(NEXT) | instid1(VALU_DEP_1)
	v_cmp_eq_u32_e64 s10, 0, v91
	v_cndmask_b32_e64 v91, v93, v92, s10
; %bb.143:                              ;   in Loop: Header=BB8_130 Depth=2
	s_or_b32 exec_lo, exec_lo, s14
	v_and_b32_e32 v92, 0xffff0000, v19
	v_and_b32_e32 v23, 0xffff0000, v23
	s_delay_alu instid0(VALU_DEP_1) | instskip(NEXT) | instid1(VALU_DEP_1)
	v_dual_max_num_f32 v92, v92, v92 :: v_dual_max_num_f32 v23, v23, v23
	v_dual_min_num_f32 v93, v23, v92 :: v_dual_max_num_f32 v23, v23, v92
	s_delay_alu instid0(VALU_DEP_1) | instskip(NEXT) | instid1(VALU_DEP_1)
	v_cndmask_b32_e32 v92, v23, v93, vcc_lo
	v_and_b32_e32 v23, 0x7f800000, v92
	s_delay_alu instid0(VALU_DEP_1) | instskip(SKIP_1) | instid1(SALU_CYCLE_1)
	v_cmp_ne_u32_e64 s10, 0x7f800000, v23
                                        ; implicit-def: $vgpr23
	s_and_saveexec_b32 s14, s10
	s_xor_b32 s10, exec_lo, s14
; %bb.144:                              ;   in Loop: Header=BB8_130 Depth=2
	v_bfe_u32 v23, v92, 16, 1
	s_delay_alu instid0(VALU_DEP_1)
	v_add3_u32 v23, v92, v23, 0x7fff
                                        ; implicit-def: $vgpr92
; %bb.145:                              ;   in Loop: Header=BB8_130 Depth=2
	s_and_not1_saveexec_b32 s14, s10
; %bb.146:                              ;   in Loop: Header=BB8_130 Depth=2
	v_and_b32_e32 v23, 0xffff, v92
	v_or_b32_e32 v93, 0x10000, v92
	s_delay_alu instid0(VALU_DEP_2) | instskip(NEXT) | instid1(VALU_DEP_1)
	v_cmp_eq_u32_e64 s10, 0, v23
	v_cndmask_b32_e64 v23, v93, v92, s10
; %bb.147:                              ;   in Loop: Header=BB8_130 Depth=2
	s_or_b32 exec_lo, exec_lo, s14
	v_lshlrev_b32_e32 v93, 16, v24
	s_delay_alu instid0(VALU_DEP_1) | instskip(NEXT) | instid1(VALU_DEP_1)
	v_dual_max_num_f32 v93, v93, v93 :: v_dual_lshlrev_b32 v92, 16, v20
	v_max_num_f32_e32 v92, v92, v92
	s_delay_alu instid0(VALU_DEP_1) | instskip(NEXT) | instid1(VALU_DEP_1)
	v_dual_min_num_f32 v94, v93, v92 :: v_dual_max_num_f32 v92, v93, v92
	v_cndmask_b32_e32 v93, v92, v94, vcc_lo
	s_delay_alu instid0(VALU_DEP_1) | instskip(NEXT) | instid1(VALU_DEP_1)
	v_and_b32_e32 v92, 0x7f800000, v93
	v_cmp_ne_u32_e64 s10, 0x7f800000, v92
                                        ; implicit-def: $vgpr92
	s_and_saveexec_b32 s14, s10
	s_delay_alu instid0(SALU_CYCLE_1)
	s_xor_b32 s10, exec_lo, s14
; %bb.148:                              ;   in Loop: Header=BB8_130 Depth=2
	v_bfe_u32 v92, v93, 16, 1
	s_delay_alu instid0(VALU_DEP_1)
	v_add3_u32 v92, v93, v92, 0x7fff
                                        ; implicit-def: $vgpr93
; %bb.149:                              ;   in Loop: Header=BB8_130 Depth=2
	s_and_not1_saveexec_b32 s14, s10
; %bb.150:                              ;   in Loop: Header=BB8_130 Depth=2
	v_and_b32_e32 v92, 0xffff, v93
	v_or_b32_e32 v94, 0x10000, v93
	s_delay_alu instid0(VALU_DEP_2) | instskip(NEXT) | instid1(VALU_DEP_1)
	v_cmp_eq_u32_e64 s10, 0, v92
	v_cndmask_b32_e64 v92, v94, v93, s10
; %bb.151:                              ;   in Loop: Header=BB8_130 Depth=2
	s_or_b32 exec_lo, exec_lo, s14
	v_and_b32_e32 v93, 0xffff0000, v20
	v_and_b32_e32 v24, 0xffff0000, v24
	s_delay_alu instid0(VALU_DEP_1) | instskip(NEXT) | instid1(VALU_DEP_1)
	v_dual_max_num_f32 v93, v93, v93 :: v_dual_max_num_f32 v24, v24, v24
	v_dual_min_num_f32 v94, v24, v93 :: v_dual_max_num_f32 v24, v24, v93
	s_delay_alu instid0(VALU_DEP_1) | instskip(NEXT) | instid1(VALU_DEP_1)
	v_cndmask_b32_e32 v93, v24, v94, vcc_lo
	v_and_b32_e32 v24, 0x7f800000, v93
	s_delay_alu instid0(VALU_DEP_1) | instskip(SKIP_1) | instid1(SALU_CYCLE_1)
	v_cmp_ne_u32_e64 s10, 0x7f800000, v24
                                        ; implicit-def: $vgpr24
	s_and_saveexec_b32 s14, s10
	s_xor_b32 s10, exec_lo, s14
; %bb.152:                              ;   in Loop: Header=BB8_130 Depth=2
	v_bfe_u32 v24, v93, 16, 1
	s_delay_alu instid0(VALU_DEP_1)
	v_add3_u32 v24, v93, v24, 0x7fff
                                        ; implicit-def: $vgpr93
; %bb.153:                              ;   in Loop: Header=BB8_130 Depth=2
	s_and_not1_saveexec_b32 s14, s10
; %bb.154:                              ;   in Loop: Header=BB8_130 Depth=2
	v_and_b32_e32 v24, 0xffff, v93
	v_or_b32_e32 v94, 0x10000, v93
	s_delay_alu instid0(VALU_DEP_2) | instskip(NEXT) | instid1(VALU_DEP_1)
	v_cmp_eq_u32_e64 s10, 0, v24
	v_cndmask_b32_e64 v24, v94, v93, s10
; %bb.155:                              ;   in Loop: Header=BB8_130 Depth=2
	s_or_b32 exec_lo, exec_lo, s14
	v_lshlrev_b32_e32 v94, 16, v25
	s_delay_alu instid0(VALU_DEP_1) | instskip(NEXT) | instid1(VALU_DEP_1)
	v_dual_max_num_f32 v94, v94, v94 :: v_dual_lshlrev_b32 v93, 16, v21
	v_max_num_f32_e32 v93, v93, v93
	s_delay_alu instid0(VALU_DEP_1) | instskip(NEXT) | instid1(VALU_DEP_1)
	v_dual_min_num_f32 v95, v94, v93 :: v_dual_max_num_f32 v93, v94, v93
	v_cndmask_b32_e32 v94, v93, v95, vcc_lo
	s_delay_alu instid0(VALU_DEP_1) | instskip(NEXT) | instid1(VALU_DEP_1)
	v_and_b32_e32 v93, 0x7f800000, v94
	v_cmp_ne_u32_e64 s10, 0x7f800000, v93
                                        ; implicit-def: $vgpr93
	s_and_saveexec_b32 s14, s10
	s_delay_alu instid0(SALU_CYCLE_1)
	s_xor_b32 s10, exec_lo, s14
; %bb.156:                              ;   in Loop: Header=BB8_130 Depth=2
	v_bfe_u32 v93, v94, 16, 1
	s_delay_alu instid0(VALU_DEP_1)
	v_add3_u32 v93, v94, v93, 0x7fff
                                        ; implicit-def: $vgpr94
; %bb.157:                              ;   in Loop: Header=BB8_130 Depth=2
	s_and_not1_saveexec_b32 s14, s10
; %bb.158:                              ;   in Loop: Header=BB8_130 Depth=2
	v_and_b32_e32 v93, 0xffff, v94
	v_or_b32_e32 v95, 0x10000, v94
	s_delay_alu instid0(VALU_DEP_2) | instskip(NEXT) | instid1(VALU_DEP_1)
	v_cmp_eq_u32_e64 s10, 0, v93
	v_cndmask_b32_e64 v93, v95, v94, s10
; %bb.159:                              ;   in Loop: Header=BB8_130 Depth=2
	s_or_b32 exec_lo, exec_lo, s14
	v_and_b32_e32 v94, 0xffff0000, v21
	v_and_b32_e32 v25, 0xffff0000, v25
	s_delay_alu instid0(VALU_DEP_1) | instskip(NEXT) | instid1(VALU_DEP_1)
	v_dual_max_num_f32 v94, v94, v94 :: v_dual_max_num_f32 v25, v25, v25
	v_dual_min_num_f32 v95, v25, v94 :: v_dual_max_num_f32 v25, v25, v94
	s_delay_alu instid0(VALU_DEP_1) | instskip(NEXT) | instid1(VALU_DEP_1)
	v_cndmask_b32_e32 v94, v25, v95, vcc_lo
	v_and_b32_e32 v25, 0x7f800000, v94
	s_delay_alu instid0(VALU_DEP_1) | instskip(SKIP_1) | instid1(SALU_CYCLE_1)
	v_cmp_ne_u32_e64 s10, 0x7f800000, v25
                                        ; implicit-def: $vgpr25
	s_and_saveexec_b32 s14, s10
	s_xor_b32 s10, exec_lo, s14
; %bb.160:                              ;   in Loop: Header=BB8_130 Depth=2
	v_bfe_u32 v25, v94, 16, 1
	s_delay_alu instid0(VALU_DEP_1)
	v_add3_u32 v25, v94, v25, 0x7fff
                                        ; implicit-def: $vgpr94
; %bb.161:                              ;   in Loop: Header=BB8_130 Depth=2
	s_and_not1_saveexec_b32 s14, s10
; %bb.162:                              ;   in Loop: Header=BB8_130 Depth=2
	v_and_b32_e32 v25, 0xffff, v94
	v_or_b32_e32 v95, 0x10000, v94
	s_delay_alu instid0(VALU_DEP_2) | instskip(NEXT) | instid1(VALU_DEP_1)
	v_cmp_eq_u32_e64 s10, 0, v25
	v_cndmask_b32_e64 v25, v95, v94, s10
; %bb.163:                              ;   in Loop: Header=BB8_130 Depth=2
	s_or_b32 exec_lo, exec_lo, s14
	v_lshlrev_b32_e32 v95, 16, v14
	s_delay_alu instid0(VALU_DEP_1) | instskip(NEXT) | instid1(VALU_DEP_1)
	v_dual_max_num_f32 v95, v95, v95 :: v_dual_lshlrev_b32 v94, 16, v10
	v_max_num_f32_e32 v94, v94, v94
	s_delay_alu instid0(VALU_DEP_1) | instskip(NEXT) | instid1(VALU_DEP_1)
	v_dual_min_num_f32 v104, v95, v94 :: v_dual_max_num_f32 v94, v95, v94
	v_cndmask_b32_e32 v95, v94, v104, vcc_lo
	s_delay_alu instid0(VALU_DEP_1) | instskip(NEXT) | instid1(VALU_DEP_1)
	v_and_b32_e32 v94, 0x7f800000, v95
	v_cmp_ne_u32_e64 s10, 0x7f800000, v94
                                        ; implicit-def: $vgpr94
	s_and_saveexec_b32 s14, s10
	s_delay_alu instid0(SALU_CYCLE_1)
	s_xor_b32 s10, exec_lo, s14
; %bb.164:                              ;   in Loop: Header=BB8_130 Depth=2
	v_bfe_u32 v94, v95, 16, 1
	s_delay_alu instid0(VALU_DEP_1)
	v_add3_u32 v94, v95, v94, 0x7fff
                                        ; implicit-def: $vgpr95
; %bb.165:                              ;   in Loop: Header=BB8_130 Depth=2
	s_and_not1_saveexec_b32 s14, s10
; %bb.166:                              ;   in Loop: Header=BB8_130 Depth=2
	v_and_b32_e32 v94, 0xffff, v95
	v_or_b32_e32 v104, 0x10000, v95
	s_delay_alu instid0(VALU_DEP_2) | instskip(NEXT) | instid1(VALU_DEP_1)
	v_cmp_eq_u32_e64 s10, 0, v94
	v_cndmask_b32_e64 v94, v104, v95, s10
; %bb.167:                              ;   in Loop: Header=BB8_130 Depth=2
	s_or_b32 exec_lo, exec_lo, s14
	v_and_b32_e32 v95, 0xffff0000, v10
	v_and_b32_e32 v14, 0xffff0000, v14
	s_delay_alu instid0(VALU_DEP_1) | instskip(NEXT) | instid1(VALU_DEP_1)
	v_dual_max_num_f32 v95, v95, v95 :: v_dual_max_num_f32 v14, v14, v14
	v_dual_min_num_f32 v104, v14, v95 :: v_dual_max_num_f32 v14, v14, v95
	s_delay_alu instid0(VALU_DEP_1) | instskip(NEXT) | instid1(VALU_DEP_1)
	v_cndmask_b32_e32 v95, v14, v104, vcc_lo
	v_and_b32_e32 v14, 0x7f800000, v95
	s_delay_alu instid0(VALU_DEP_1) | instskip(SKIP_1) | instid1(SALU_CYCLE_1)
	v_cmp_ne_u32_e64 s10, 0x7f800000, v14
                                        ; implicit-def: $vgpr14
	s_and_saveexec_b32 s14, s10
	s_xor_b32 s10, exec_lo, s14
; %bb.168:                              ;   in Loop: Header=BB8_130 Depth=2
	v_bfe_u32 v14, v95, 16, 1
	s_delay_alu instid0(VALU_DEP_1)
	v_add3_u32 v14, v95, v14, 0x7fff
                                        ; implicit-def: $vgpr95
; %bb.169:                              ;   in Loop: Header=BB8_130 Depth=2
	s_and_not1_saveexec_b32 s14, s10
; %bb.170:                              ;   in Loop: Header=BB8_130 Depth=2
	v_and_b32_e32 v14, 0xffff, v95
	v_or_b32_e32 v104, 0x10000, v95
	s_delay_alu instid0(VALU_DEP_2) | instskip(NEXT) | instid1(VALU_DEP_1)
	v_cmp_eq_u32_e64 s10, 0, v14
	v_cndmask_b32_e64 v14, v104, v95, s10
; %bb.171:                              ;   in Loop: Header=BB8_130 Depth=2
	s_or_b32 exec_lo, exec_lo, s14
	v_lshlrev_b32_e32 v104, 16, v15
	s_delay_alu instid0(VALU_DEP_1) | instskip(NEXT) | instid1(VALU_DEP_1)
	v_dual_max_num_f32 v104, v104, v104 :: v_dual_lshlrev_b32 v95, 16, v11
	v_max_num_f32_e32 v95, v95, v95
	s_delay_alu instid0(VALU_DEP_1) | instskip(NEXT) | instid1(VALU_DEP_1)
	v_dual_min_num_f32 v105, v104, v95 :: v_dual_max_num_f32 v95, v104, v95
	v_cndmask_b32_e32 v104, v95, v105, vcc_lo
	s_delay_alu instid0(VALU_DEP_1) | instskip(NEXT) | instid1(VALU_DEP_1)
	v_and_b32_e32 v95, 0x7f800000, v104
	v_cmp_ne_u32_e64 s10, 0x7f800000, v95
                                        ; implicit-def: $vgpr95
	s_and_saveexec_b32 s14, s10
	s_delay_alu instid0(SALU_CYCLE_1)
	s_xor_b32 s10, exec_lo, s14
; %bb.172:                              ;   in Loop: Header=BB8_130 Depth=2
	v_bfe_u32 v95, v104, 16, 1
	s_delay_alu instid0(VALU_DEP_1)
	v_add3_u32 v95, v104, v95, 0x7fff
                                        ; implicit-def: $vgpr104
; %bb.173:                              ;   in Loop: Header=BB8_130 Depth=2
	s_and_not1_saveexec_b32 s14, s10
; %bb.174:                              ;   in Loop: Header=BB8_130 Depth=2
	v_and_b32_e32 v95, 0xffff, v104
	v_or_b32_e32 v105, 0x10000, v104
	s_delay_alu instid0(VALU_DEP_2) | instskip(NEXT) | instid1(VALU_DEP_1)
	v_cmp_eq_u32_e64 s10, 0, v95
	v_cndmask_b32_e64 v95, v105, v104, s10
; %bb.175:                              ;   in Loop: Header=BB8_130 Depth=2
	s_or_b32 exec_lo, exec_lo, s14
	v_and_b32_e32 v104, 0xffff0000, v11
	v_and_b32_e32 v15, 0xffff0000, v15
	s_delay_alu instid0(VALU_DEP_1) | instskip(NEXT) | instid1(VALU_DEP_1)
	v_dual_max_num_f32 v104, v104, v104 :: v_dual_max_num_f32 v15, v15, v15
	v_dual_min_num_f32 v105, v15, v104 :: v_dual_max_num_f32 v15, v15, v104
	s_delay_alu instid0(VALU_DEP_1) | instskip(NEXT) | instid1(VALU_DEP_1)
	v_cndmask_b32_e32 v104, v15, v105, vcc_lo
	v_and_b32_e32 v15, 0x7f800000, v104
	s_delay_alu instid0(VALU_DEP_1) | instskip(SKIP_1) | instid1(SALU_CYCLE_1)
	v_cmp_ne_u32_e64 s10, 0x7f800000, v15
                                        ; implicit-def: $vgpr15
	s_and_saveexec_b32 s14, s10
	s_xor_b32 s10, exec_lo, s14
; %bb.176:                              ;   in Loop: Header=BB8_130 Depth=2
	v_bfe_u32 v15, v104, 16, 1
	s_delay_alu instid0(VALU_DEP_1)
	v_add3_u32 v15, v104, v15, 0x7fff
                                        ; implicit-def: $vgpr104
; %bb.177:                              ;   in Loop: Header=BB8_130 Depth=2
	s_and_not1_saveexec_b32 s14, s10
; %bb.178:                              ;   in Loop: Header=BB8_130 Depth=2
	v_and_b32_e32 v15, 0xffff, v104
	v_or_b32_e32 v105, 0x10000, v104
	s_delay_alu instid0(VALU_DEP_2) | instskip(NEXT) | instid1(VALU_DEP_1)
	v_cmp_eq_u32_e64 s10, 0, v15
	v_cndmask_b32_e64 v15, v105, v104, s10
; %bb.179:                              ;   in Loop: Header=BB8_130 Depth=2
	s_or_b32 exec_lo, exec_lo, s14
	v_lshlrev_b32_e32 v105, 16, v16
	s_delay_alu instid0(VALU_DEP_1) | instskip(NEXT) | instid1(VALU_DEP_1)
	v_dual_max_num_f32 v105, v105, v105 :: v_dual_lshlrev_b32 v104, 16, v12
	v_max_num_f32_e32 v104, v104, v104
	s_delay_alu instid0(VALU_DEP_1) | instskip(NEXT) | instid1(VALU_DEP_1)
	v_dual_min_num_f32 v106, v105, v104 :: v_dual_max_num_f32 v104, v105, v104
	v_cndmask_b32_e32 v105, v104, v106, vcc_lo
	s_delay_alu instid0(VALU_DEP_1) | instskip(NEXT) | instid1(VALU_DEP_1)
	v_and_b32_e32 v104, 0x7f800000, v105
	v_cmp_ne_u32_e64 s10, 0x7f800000, v104
                                        ; implicit-def: $vgpr104
	s_and_saveexec_b32 s14, s10
	s_delay_alu instid0(SALU_CYCLE_1)
	s_xor_b32 s10, exec_lo, s14
; %bb.180:                              ;   in Loop: Header=BB8_130 Depth=2
	v_bfe_u32 v104, v105, 16, 1
	s_delay_alu instid0(VALU_DEP_1)
	v_add3_u32 v104, v105, v104, 0x7fff
                                        ; implicit-def: $vgpr105
; %bb.181:                              ;   in Loop: Header=BB8_130 Depth=2
	s_and_not1_saveexec_b32 s14, s10
; %bb.182:                              ;   in Loop: Header=BB8_130 Depth=2
	v_and_b32_e32 v104, 0xffff, v105
	v_or_b32_e32 v106, 0x10000, v105
	s_delay_alu instid0(VALU_DEP_2) | instskip(NEXT) | instid1(VALU_DEP_1)
	v_cmp_eq_u32_e64 s10, 0, v104
	v_cndmask_b32_e64 v104, v106, v105, s10
; %bb.183:                              ;   in Loop: Header=BB8_130 Depth=2
	s_or_b32 exec_lo, exec_lo, s14
	v_and_b32_e32 v105, 0xffff0000, v12
	v_and_b32_e32 v16, 0xffff0000, v16
	s_delay_alu instid0(VALU_DEP_1) | instskip(NEXT) | instid1(VALU_DEP_1)
	v_dual_max_num_f32 v105, v105, v105 :: v_dual_max_num_f32 v16, v16, v16
	v_dual_min_num_f32 v106, v16, v105 :: v_dual_max_num_f32 v16, v16, v105
	s_delay_alu instid0(VALU_DEP_1) | instskip(NEXT) | instid1(VALU_DEP_1)
	v_cndmask_b32_e32 v105, v16, v106, vcc_lo
	v_and_b32_e32 v16, 0x7f800000, v105
	s_delay_alu instid0(VALU_DEP_1) | instskip(SKIP_1) | instid1(SALU_CYCLE_1)
	v_cmp_ne_u32_e64 s10, 0x7f800000, v16
                                        ; implicit-def: $vgpr16
	s_and_saveexec_b32 s14, s10
	s_xor_b32 s10, exec_lo, s14
; %bb.184:                              ;   in Loop: Header=BB8_130 Depth=2
	v_bfe_u32 v16, v105, 16, 1
	s_delay_alu instid0(VALU_DEP_1)
	v_add3_u32 v16, v105, v16, 0x7fff
                                        ; implicit-def: $vgpr105
; %bb.185:                              ;   in Loop: Header=BB8_130 Depth=2
	s_and_not1_saveexec_b32 s14, s10
; %bb.186:                              ;   in Loop: Header=BB8_130 Depth=2
	v_and_b32_e32 v16, 0xffff, v105
	v_or_b32_e32 v106, 0x10000, v105
	s_delay_alu instid0(VALU_DEP_2) | instskip(NEXT) | instid1(VALU_DEP_1)
	v_cmp_eq_u32_e64 s10, 0, v16
	v_cndmask_b32_e64 v16, v106, v105, s10
; %bb.187:                              ;   in Loop: Header=BB8_130 Depth=2
	s_or_b32 exec_lo, exec_lo, s14
	v_lshlrev_b32_e32 v106, 16, v17
	s_delay_alu instid0(VALU_DEP_1) | instskip(NEXT) | instid1(VALU_DEP_1)
	v_dual_max_num_f32 v106, v106, v106 :: v_dual_lshlrev_b32 v105, 16, v13
	v_max_num_f32_e32 v105, v105, v105
	s_delay_alu instid0(VALU_DEP_1) | instskip(NEXT) | instid1(VALU_DEP_1)
	v_dual_min_num_f32 v107, v106, v105 :: v_dual_max_num_f32 v105, v106, v105
	v_cndmask_b32_e32 v106, v105, v107, vcc_lo
	s_delay_alu instid0(VALU_DEP_1) | instskip(NEXT) | instid1(VALU_DEP_1)
	v_and_b32_e32 v105, 0x7f800000, v106
	v_cmp_ne_u32_e64 s10, 0x7f800000, v105
                                        ; implicit-def: $vgpr105
	s_and_saveexec_b32 s14, s10
	s_delay_alu instid0(SALU_CYCLE_1)
	s_xor_b32 s10, exec_lo, s14
; %bb.188:                              ;   in Loop: Header=BB8_130 Depth=2
	v_bfe_u32 v105, v106, 16, 1
	s_delay_alu instid0(VALU_DEP_1)
	v_add3_u32 v105, v106, v105, 0x7fff
                                        ; implicit-def: $vgpr106
; %bb.189:                              ;   in Loop: Header=BB8_130 Depth=2
	s_and_not1_saveexec_b32 s14, s10
; %bb.190:                              ;   in Loop: Header=BB8_130 Depth=2
	v_and_b32_e32 v105, 0xffff, v106
	v_or_b32_e32 v107, 0x10000, v106
	s_delay_alu instid0(VALU_DEP_2) | instskip(NEXT) | instid1(VALU_DEP_1)
	v_cmp_eq_u32_e64 s10, 0, v105
	v_cndmask_b32_e64 v105, v107, v106, s10
; %bb.191:                              ;   in Loop: Header=BB8_130 Depth=2
	s_or_b32 exec_lo, exec_lo, s14
	v_and_b32_e32 v106, 0xffff0000, v13
	v_and_b32_e32 v17, 0xffff0000, v17
	s_delay_alu instid0(VALU_DEP_1) | instskip(NEXT) | instid1(VALU_DEP_1)
	v_dual_max_num_f32 v106, v106, v106 :: v_dual_max_num_f32 v17, v17, v17
	v_dual_min_num_f32 v107, v17, v106 :: v_dual_max_num_f32 v17, v17, v106
	s_delay_alu instid0(VALU_DEP_1) | instskip(NEXT) | instid1(VALU_DEP_1)
	v_cndmask_b32_e32 v106, v17, v107, vcc_lo
	v_and_b32_e32 v17, 0x7f800000, v106
	s_delay_alu instid0(VALU_DEP_1) | instskip(SKIP_1) | instid1(SALU_CYCLE_1)
	v_cmp_ne_u32_e64 s10, 0x7f800000, v17
                                        ; implicit-def: $vgpr17
	s_and_saveexec_b32 s14, s10
	s_xor_b32 s10, exec_lo, s14
; %bb.192:                              ;   in Loop: Header=BB8_130 Depth=2
	v_bfe_u32 v17, v106, 16, 1
	s_delay_alu instid0(VALU_DEP_1)
	v_add3_u32 v17, v106, v17, 0x7fff
                                        ; implicit-def: $vgpr106
; %bb.193:                              ;   in Loop: Header=BB8_130 Depth=2
	s_and_not1_saveexec_b32 s14, s10
; %bb.194:                              ;   in Loop: Header=BB8_130 Depth=2
	v_and_b32_e32 v17, 0xffff, v106
	v_or_b32_e32 v107, 0x10000, v106
	s_delay_alu instid0(VALU_DEP_2) | instskip(NEXT) | instid1(VALU_DEP_1)
	v_cmp_eq_u32_e64 s10, 0, v17
	v_cndmask_b32_e64 v17, v107, v106, s10
; %bb.195:                              ;   in Loop: Header=BB8_130 Depth=2
	s_or_b32 exec_lo, exec_lo, s14
	v_dual_lshrrev_b32 v91, 16, v91 :: v_dual_lshrrev_b32 v90, 16, v90
	v_lshrrev_b32_e32 v92, 16, v92
	s_delay_alu instid0(VALU_DEP_2) | instskip(NEXT) | instid1(VALU_DEP_3)
	v_and_or_b32 v23, 0xffff0000, v23, v91
	v_and_or_b32 v22, 0xffff0000, v22, v90
	v_lshrrev_b32_e32 v90, 16, v93
	s_delay_alu instid0(VALU_DEP_4) | instskip(SKIP_2) | instid1(VALU_DEP_4)
	v_and_or_b32 v24, 0xffff0000, v24, v92
	v_dual_lshrrev_b32 v91, 16, v95 :: v_dual_lshrrev_b32 v92, 16, v94
	v_dual_lshrrev_b32 v93, 16, v104 :: v_dual_lshrrev_b32 v94, 16, v105
	v_and_or_b32 v25, 0xffff0000, v25, v90
	s_delay_alu instid0(VALU_DEP_3) | instskip(NEXT) | instid1(VALU_DEP_4)
	v_and_or_b32 v15, 0xffff0000, v15, v91
	v_and_or_b32 v14, 0xffff0000, v14, v92
	s_delay_alu instid0(VALU_DEP_4)
	v_and_or_b32 v16, 0xffff0000, v16, v93
	v_and_or_b32 v17, 0xffff0000, v17, v94
	s_clause 0x1
	global_store_b128 v[58:59], v[22:25], off th:TH_STORE_NT
	global_store_b128 v[58:59], v[14:17], off offset:512 th:TH_STORE_NT
	s_wait_xcnt 0x0
	v_add_nc_u64_e32 v[58:59], v[58:59], v[114:115]
.LBB8_196:                              ;   in Loop: Header=BB8_130 Depth=2
	s_or_b32 exec_lo, exec_lo, s15
	v_sub_nc_u32_e32 v89, v89, v96
	v_add_nc_u64_e32 v[60:61], v[60:61], v[114:115]
	v_add_nc_u64_e32 v[62:63], v[62:63], v[114:115]
	s_delay_alu instid0(VALU_DEP_3)
	v_cmp_lt_i32_e64 s14, 0, v89
	s_and_saveexec_b32 s10, s14
	s_cbranch_execz .LBB8_198
; %bb.197:                              ;   in Loop: Header=BB8_130 Depth=2
	s_clause 0x1
	global_load_b128 v[22:25], v[60:61], off th:TH_LOAD_NT
	global_load_b128 v[14:17], v[60:61], off offset:512 th:TH_LOAD_NT
	s_clause 0x1
	global_load_b128 v[18:21], v[62:63], off th:TH_LOAD_NT
	global_load_b128 v[10:13], v[62:63], off offset:512 th:TH_LOAD_NT
	s_wait_xcnt 0x2
	v_add_nc_u64_e32 v[60:61], 0x400, v[60:61]
	s_wait_xcnt 0x0
	v_add_nc_u64_e32 v[62:63], 0x400, v[62:63]
.LBB8_198:                              ;   in Loop: Header=BB8_130 Depth=2
	s_or_b32 exec_lo, exec_lo, s10
	s_wait_loadcnt 0x3
	v_lshlrev_b32_e32 v91, 16, v36
	s_wait_loadcnt 0x1
	s_delay_alu instid0(VALU_DEP_1) | instskip(NEXT) | instid1(VALU_DEP_1)
	v_dual_max_num_f32 v91, v91, v91 :: v_dual_lshlrev_b32 v90, 16, v48
	v_max_num_f32_e32 v90, v90, v90
	s_delay_alu instid0(VALU_DEP_1) | instskip(NEXT) | instid1(VALU_DEP_1)
	v_dual_min_num_f32 v92, v91, v90 :: v_dual_max_num_f32 v90, v91, v90
	v_cndmask_b32_e32 v91, v90, v92, vcc_lo
	s_delay_alu instid0(VALU_DEP_1) | instskip(NEXT) | instid1(VALU_DEP_1)
	v_and_b32_e32 v90, 0x7f800000, v91
	v_cmp_ne_u32_e64 s10, 0x7f800000, v90
                                        ; implicit-def: $vgpr90
	s_and_saveexec_b32 s15, s10
	s_delay_alu instid0(SALU_CYCLE_1)
	s_xor_b32 s10, exec_lo, s15
; %bb.199:                              ;   in Loop: Header=BB8_130 Depth=2
	v_bfe_u32 v90, v91, 16, 1
	s_delay_alu instid0(VALU_DEP_1)
	v_add3_u32 v90, v91, v90, 0x7fff
                                        ; implicit-def: $vgpr91
; %bb.200:                              ;   in Loop: Header=BB8_130 Depth=2
	s_and_not1_saveexec_b32 s15, s10
; %bb.201:                              ;   in Loop: Header=BB8_130 Depth=2
	v_and_b32_e32 v90, 0xffff, v91
	v_or_b32_e32 v92, 0x10000, v91
	s_delay_alu instid0(VALU_DEP_2) | instskip(NEXT) | instid1(VALU_DEP_1)
	v_cmp_eq_u32_e64 s10, 0, v90
	v_cndmask_b32_e64 v90, v92, v91, s10
; %bb.202:                              ;   in Loop: Header=BB8_130 Depth=2
	s_or_b32 exec_lo, exec_lo, s15
	v_and_b32_e32 v48, 0xffff0000, v48
	v_and_b32_e32 v36, 0xffff0000, v36
	s_delay_alu instid0(VALU_DEP_2) | instskip(NEXT) | instid1(VALU_DEP_2)
	v_max_num_f32_e32 v48, v48, v48
	v_max_num_f32_e32 v36, v36, v36
	s_delay_alu instid0(VALU_DEP_1) | instskip(NEXT) | instid1(VALU_DEP_1)
	v_dual_min_num_f32 v91, v36, v48 :: v_dual_max_num_f32 v36, v36, v48
	v_cndmask_b32_e32 v48, v36, v91, vcc_lo
	s_delay_alu instid0(VALU_DEP_1) | instskip(NEXT) | instid1(VALU_DEP_1)
	v_and_b32_e32 v36, 0x7f800000, v48
	v_cmp_ne_u32_e64 s10, 0x7f800000, v36
                                        ; implicit-def: $vgpr36
	s_and_saveexec_b32 s15, s10
	s_delay_alu instid0(SALU_CYCLE_1)
	s_xor_b32 s10, exec_lo, s15
; %bb.203:                              ;   in Loop: Header=BB8_130 Depth=2
	v_bfe_u32 v36, v48, 16, 1
	s_delay_alu instid0(VALU_DEP_1)
	v_add3_u32 v36, v48, v36, 0x7fff
                                        ; implicit-def: $vgpr48
; %bb.204:                              ;   in Loop: Header=BB8_130 Depth=2
	s_and_not1_saveexec_b32 s15, s10
; %bb.205:                              ;   in Loop: Header=BB8_130 Depth=2
	v_and_b32_e32 v36, 0xffff, v48
	v_or_b32_e32 v91, 0x10000, v48
	s_delay_alu instid0(VALU_DEP_2) | instskip(NEXT) | instid1(VALU_DEP_1)
	v_cmp_eq_u32_e64 s10, 0, v36
	v_cndmask_b32_e64 v36, v91, v48, s10
; %bb.206:                              ;   in Loop: Header=BB8_130 Depth=2
	s_or_b32 exec_lo, exec_lo, s15
	v_lshlrev_b32_e32 v91, 16, v37
	s_delay_alu instid0(VALU_DEP_1) | instskip(NEXT) | instid1(VALU_DEP_1)
	v_dual_max_num_f32 v91, v91, v91 :: v_dual_lshlrev_b32 v48, 16, v49
	v_max_num_f32_e32 v48, v48, v48
	s_delay_alu instid0(VALU_DEP_1) | instskip(NEXT) | instid1(VALU_DEP_1)
	v_dual_min_num_f32 v92, v91, v48 :: v_dual_max_num_f32 v48, v91, v48
	v_cndmask_b32_e32 v91, v48, v92, vcc_lo
	s_delay_alu instid0(VALU_DEP_1) | instskip(NEXT) | instid1(VALU_DEP_1)
	v_and_b32_e32 v48, 0x7f800000, v91
	v_cmp_ne_u32_e64 s10, 0x7f800000, v48
                                        ; implicit-def: $vgpr48
	s_and_saveexec_b32 s15, s10
	s_delay_alu instid0(SALU_CYCLE_1)
	s_xor_b32 s10, exec_lo, s15
; %bb.207:                              ;   in Loop: Header=BB8_130 Depth=2
	v_bfe_u32 v48, v91, 16, 1
	s_delay_alu instid0(VALU_DEP_1)
	v_add3_u32 v48, v91, v48, 0x7fff
                                        ; implicit-def: $vgpr91
; %bb.208:                              ;   in Loop: Header=BB8_130 Depth=2
	s_and_not1_saveexec_b32 s15, s10
; %bb.209:                              ;   in Loop: Header=BB8_130 Depth=2
	v_and_b32_e32 v48, 0xffff, v91
	v_or_b32_e32 v92, 0x10000, v91
	s_delay_alu instid0(VALU_DEP_2) | instskip(NEXT) | instid1(VALU_DEP_1)
	v_cmp_eq_u32_e64 s10, 0, v48
	v_cndmask_b32_e64 v48, v92, v91, s10
; %bb.210:                              ;   in Loop: Header=BB8_130 Depth=2
	s_or_b32 exec_lo, exec_lo, s15
	v_and_b32_e32 v49, 0xffff0000, v49
	v_and_b32_e32 v37, 0xffff0000, v37
	s_delay_alu instid0(VALU_DEP_2) | instskip(NEXT) | instid1(VALU_DEP_2)
	v_max_num_f32_e32 v49, v49, v49
	v_max_num_f32_e32 v37, v37, v37
	s_delay_alu instid0(VALU_DEP_1) | instskip(NEXT) | instid1(VALU_DEP_1)
	v_dual_min_num_f32 v91, v37, v49 :: v_dual_max_num_f32 v37, v37, v49
	v_cndmask_b32_e32 v49, v37, v91, vcc_lo
	s_delay_alu instid0(VALU_DEP_1) | instskip(NEXT) | instid1(VALU_DEP_1)
	v_and_b32_e32 v37, 0x7f800000, v49
	v_cmp_ne_u32_e64 s10, 0x7f800000, v37
                                        ; implicit-def: $vgpr37
	s_and_saveexec_b32 s15, s10
	s_delay_alu instid0(SALU_CYCLE_1)
	s_xor_b32 s10, exec_lo, s15
; %bb.211:                              ;   in Loop: Header=BB8_130 Depth=2
	v_bfe_u32 v37, v49, 16, 1
	s_delay_alu instid0(VALU_DEP_1)
	v_add3_u32 v37, v49, v37, 0x7fff
                                        ; implicit-def: $vgpr49
; %bb.212:                              ;   in Loop: Header=BB8_130 Depth=2
	s_and_not1_saveexec_b32 s15, s10
; %bb.213:                              ;   in Loop: Header=BB8_130 Depth=2
	v_and_b32_e32 v37, 0xffff, v49
	v_or_b32_e32 v91, 0x10000, v49
	s_delay_alu instid0(VALU_DEP_2) | instskip(NEXT) | instid1(VALU_DEP_1)
	v_cmp_eq_u32_e64 s10, 0, v37
	v_cndmask_b32_e64 v37, v91, v49, s10
; %bb.214:                              ;   in Loop: Header=BB8_130 Depth=2
	s_or_b32 exec_lo, exec_lo, s15
	v_lshlrev_b32_e32 v91, 16, v38
	s_delay_alu instid0(VALU_DEP_1) | instskip(NEXT) | instid1(VALU_DEP_1)
	v_dual_lshlrev_b32 v49, 16, v50 :: v_dual_max_num_f32 v91, v91, v91
	v_max_num_f32_e32 v49, v49, v49
	s_delay_alu instid0(VALU_DEP_1) | instskip(NEXT) | instid1(VALU_DEP_1)
	v_dual_min_num_f32 v92, v91, v49 :: v_dual_max_num_f32 v49, v91, v49
	v_cndmask_b32_e32 v91, v49, v92, vcc_lo
	s_delay_alu instid0(VALU_DEP_1) | instskip(NEXT) | instid1(VALU_DEP_1)
	v_and_b32_e32 v49, 0x7f800000, v91
	v_cmp_ne_u32_e64 s10, 0x7f800000, v49
                                        ; implicit-def: $vgpr49
	s_and_saveexec_b32 s15, s10
	s_delay_alu instid0(SALU_CYCLE_1)
	s_xor_b32 s10, exec_lo, s15
; %bb.215:                              ;   in Loop: Header=BB8_130 Depth=2
	v_bfe_u32 v49, v91, 16, 1
	s_delay_alu instid0(VALU_DEP_1)
	v_add3_u32 v49, v91, v49, 0x7fff
                                        ; implicit-def: $vgpr91
; %bb.216:                              ;   in Loop: Header=BB8_130 Depth=2
	s_and_not1_saveexec_b32 s15, s10
; %bb.217:                              ;   in Loop: Header=BB8_130 Depth=2
	v_and_b32_e32 v49, 0xffff, v91
	v_or_b32_e32 v92, 0x10000, v91
	s_delay_alu instid0(VALU_DEP_2) | instskip(NEXT) | instid1(VALU_DEP_1)
	v_cmp_eq_u32_e64 s10, 0, v49
	v_cndmask_b32_e64 v49, v92, v91, s10
; %bb.218:                              ;   in Loop: Header=BB8_130 Depth=2
	s_or_b32 exec_lo, exec_lo, s15
	v_and_b32_e32 v50, 0xffff0000, v50
	v_and_b32_e32 v38, 0xffff0000, v38
	s_delay_alu instid0(VALU_DEP_2) | instskip(NEXT) | instid1(VALU_DEP_2)
	v_max_num_f32_e32 v50, v50, v50
	v_max_num_f32_e32 v38, v38, v38
	s_delay_alu instid0(VALU_DEP_1) | instskip(NEXT) | instid1(VALU_DEP_1)
	v_dual_min_num_f32 v91, v38, v50 :: v_dual_max_num_f32 v38, v38, v50
	v_cndmask_b32_e32 v50, v38, v91, vcc_lo
	s_delay_alu instid0(VALU_DEP_1) | instskip(NEXT) | instid1(VALU_DEP_1)
	v_and_b32_e32 v38, 0x7f800000, v50
	v_cmp_ne_u32_e64 s10, 0x7f800000, v38
                                        ; implicit-def: $vgpr38
	s_and_saveexec_b32 s15, s10
	s_delay_alu instid0(SALU_CYCLE_1)
	s_xor_b32 s10, exec_lo, s15
; %bb.219:                              ;   in Loop: Header=BB8_130 Depth=2
	v_bfe_u32 v38, v50, 16, 1
	s_delay_alu instid0(VALU_DEP_1)
	v_add3_u32 v38, v50, v38, 0x7fff
                                        ; implicit-def: $vgpr50
; %bb.220:                              ;   in Loop: Header=BB8_130 Depth=2
	s_and_not1_saveexec_b32 s15, s10
; %bb.221:                              ;   in Loop: Header=BB8_130 Depth=2
	v_and_b32_e32 v38, 0xffff, v50
	v_or_b32_e32 v91, 0x10000, v50
	s_delay_alu instid0(VALU_DEP_2) | instskip(NEXT) | instid1(VALU_DEP_1)
	v_cmp_eq_u32_e64 s10, 0, v38
	v_cndmask_b32_e64 v38, v91, v50, s10
; %bb.222:                              ;   in Loop: Header=BB8_130 Depth=2
	s_or_b32 exec_lo, exec_lo, s15
	v_lshlrev_b32_e32 v50, 16, v51
	s_delay_alu instid0(VALU_DEP_1) | instskip(NEXT) | instid1(VALU_DEP_1)
	v_dual_max_num_f32 v50, v50, v50 :: v_dual_lshlrev_b32 v91, 16, v39
	v_max_num_f32_e32 v91, v91, v91
	s_delay_alu instid0(VALU_DEP_1) | instskip(NEXT) | instid1(VALU_DEP_1)
	v_dual_min_num_f32 v92, v91, v50 :: v_dual_max_num_f32 v50, v91, v50
	v_cndmask_b32_e32 v91, v50, v92, vcc_lo
	s_delay_alu instid0(VALU_DEP_1) | instskip(NEXT) | instid1(VALU_DEP_1)
	v_and_b32_e32 v50, 0x7f800000, v91
	v_cmp_ne_u32_e64 s10, 0x7f800000, v50
                                        ; implicit-def: $vgpr50
	s_and_saveexec_b32 s15, s10
	s_delay_alu instid0(SALU_CYCLE_1)
	s_xor_b32 s10, exec_lo, s15
; %bb.223:                              ;   in Loop: Header=BB8_130 Depth=2
	v_bfe_u32 v50, v91, 16, 1
	s_delay_alu instid0(VALU_DEP_1)
	v_add3_u32 v50, v91, v50, 0x7fff
                                        ; implicit-def: $vgpr91
; %bb.224:                              ;   in Loop: Header=BB8_130 Depth=2
	s_and_not1_saveexec_b32 s15, s10
; %bb.225:                              ;   in Loop: Header=BB8_130 Depth=2
	v_and_b32_e32 v50, 0xffff, v91
	v_or_b32_e32 v92, 0x10000, v91
	s_delay_alu instid0(VALU_DEP_2) | instskip(NEXT) | instid1(VALU_DEP_1)
	v_cmp_eq_u32_e64 s10, 0, v50
	v_cndmask_b32_e64 v50, v92, v91, s10
; %bb.226:                              ;   in Loop: Header=BB8_130 Depth=2
	s_or_b32 exec_lo, exec_lo, s15
	v_and_b32_e32 v51, 0xffff0000, v51
	v_and_b32_e32 v39, 0xffff0000, v39
	s_delay_alu instid0(VALU_DEP_2) | instskip(NEXT) | instid1(VALU_DEP_2)
	v_max_num_f32_e32 v51, v51, v51
	v_max_num_f32_e32 v39, v39, v39
	s_delay_alu instid0(VALU_DEP_1) | instskip(NEXT) | instid1(VALU_DEP_1)
	v_dual_min_num_f32 v91, v39, v51 :: v_dual_max_num_f32 v39, v39, v51
	v_cndmask_b32_e32 v51, v39, v91, vcc_lo
	s_delay_alu instid0(VALU_DEP_1) | instskip(NEXT) | instid1(VALU_DEP_1)
	v_and_b32_e32 v39, 0x7f800000, v51
	v_cmp_ne_u32_e64 s10, 0x7f800000, v39
                                        ; implicit-def: $vgpr39
	s_and_saveexec_b32 s15, s10
	s_delay_alu instid0(SALU_CYCLE_1)
	s_xor_b32 s10, exec_lo, s15
; %bb.227:                              ;   in Loop: Header=BB8_130 Depth=2
	v_bfe_u32 v39, v51, 16, 1
	s_delay_alu instid0(VALU_DEP_1)
	v_add3_u32 v39, v51, v39, 0x7fff
                                        ; implicit-def: $vgpr51
; %bb.228:                              ;   in Loop: Header=BB8_130 Depth=2
	s_and_not1_saveexec_b32 s15, s10
; %bb.229:                              ;   in Loop: Header=BB8_130 Depth=2
	v_and_b32_e32 v39, 0xffff, v51
	v_or_b32_e32 v91, 0x10000, v51
	s_delay_alu instid0(VALU_DEP_2) | instskip(NEXT) | instid1(VALU_DEP_1)
	v_cmp_eq_u32_e64 s10, 0, v39
	v_cndmask_b32_e64 v39, v91, v51, s10
; %bb.230:                              ;   in Loop: Header=BB8_130 Depth=2
	s_or_b32 exec_lo, exec_lo, s15
	s_wait_loadcnt 0x0
	v_dual_lshlrev_b32 v51, 16, v32 :: v_dual_lshlrev_b32 v91, 16, v26
	s_delay_alu instid0(VALU_DEP_1) | instskip(NEXT) | instid1(VALU_DEP_2)
	v_max_num_f32_e32 v51, v51, v51
	v_max_num_f32_e32 v91, v91, v91
	s_delay_alu instid0(VALU_DEP_1) | instskip(NEXT) | instid1(VALU_DEP_1)
	v_dual_min_num_f32 v92, v91, v51 :: v_dual_max_num_f32 v51, v91, v51
	v_cndmask_b32_e32 v91, v51, v92, vcc_lo
	s_delay_alu instid0(VALU_DEP_1) | instskip(NEXT) | instid1(VALU_DEP_1)
	v_and_b32_e32 v51, 0x7f800000, v91
	v_cmp_ne_u32_e64 s10, 0x7f800000, v51
                                        ; implicit-def: $vgpr51
	s_and_saveexec_b32 s15, s10
	s_delay_alu instid0(SALU_CYCLE_1)
	s_xor_b32 s10, exec_lo, s15
; %bb.231:                              ;   in Loop: Header=BB8_130 Depth=2
	v_bfe_u32 v51, v91, 16, 1
	s_delay_alu instid0(VALU_DEP_1)
	v_add3_u32 v51, v91, v51, 0x7fff
                                        ; implicit-def: $vgpr91
; %bb.232:                              ;   in Loop: Header=BB8_130 Depth=2
	s_and_not1_saveexec_b32 s15, s10
; %bb.233:                              ;   in Loop: Header=BB8_130 Depth=2
	v_and_b32_e32 v51, 0xffff, v91
	v_or_b32_e32 v92, 0x10000, v91
	s_delay_alu instid0(VALU_DEP_2) | instskip(NEXT) | instid1(VALU_DEP_1)
	v_cmp_eq_u32_e64 s10, 0, v51
	v_cndmask_b32_e64 v51, v92, v91, s10
; %bb.234:                              ;   in Loop: Header=BB8_130 Depth=2
	s_or_b32 exec_lo, exec_lo, s15
	v_and_b32_e32 v32, 0xffff0000, v32
	v_and_b32_e32 v26, 0xffff0000, v26
	s_delay_alu instid0(VALU_DEP_1) | instskip(NEXT) | instid1(VALU_DEP_1)
	v_dual_max_num_f32 v32, v32, v32 :: v_dual_max_num_f32 v26, v26, v26
	v_dual_min_num_f32 v91, v26, v32 :: v_dual_max_num_f32 v26, v26, v32
	s_delay_alu instid0(VALU_DEP_1) | instskip(NEXT) | instid1(VALU_DEP_1)
	v_cndmask_b32_e32 v32, v26, v91, vcc_lo
	v_and_b32_e32 v26, 0x7f800000, v32
	s_delay_alu instid0(VALU_DEP_1) | instskip(SKIP_1) | instid1(SALU_CYCLE_1)
	v_cmp_ne_u32_e64 s10, 0x7f800000, v26
                                        ; implicit-def: $vgpr26
	s_and_saveexec_b32 s15, s10
	s_xor_b32 s10, exec_lo, s15
; %bb.235:                              ;   in Loop: Header=BB8_130 Depth=2
	v_bfe_u32 v26, v32, 16, 1
	s_delay_alu instid0(VALU_DEP_1)
	v_add3_u32 v26, v32, v26, 0x7fff
                                        ; implicit-def: $vgpr32
; %bb.236:                              ;   in Loop: Header=BB8_130 Depth=2
	s_and_not1_saveexec_b32 s15, s10
; %bb.237:                              ;   in Loop: Header=BB8_130 Depth=2
	v_and_b32_e32 v26, 0xffff, v32
	v_or_b32_e32 v91, 0x10000, v32
	s_delay_alu instid0(VALU_DEP_2) | instskip(NEXT) | instid1(VALU_DEP_1)
	v_cmp_eq_u32_e64 s10, 0, v26
	v_cndmask_b32_e64 v26, v91, v32, s10
; %bb.238:                              ;   in Loop: Header=BB8_130 Depth=2
	s_or_b32 exec_lo, exec_lo, s15
	v_dual_lshlrev_b32 v32, 16, v33 :: v_dual_lshlrev_b32 v91, 16, v27
	s_delay_alu instid0(VALU_DEP_1) | instskip(NEXT) | instid1(VALU_DEP_1)
	v_dual_max_num_f32 v32, v32, v32 :: v_dual_max_num_f32 v91, v91, v91
	v_dual_min_num_f32 v92, v91, v32 :: v_dual_max_num_f32 v32, v91, v32
	s_delay_alu instid0(VALU_DEP_1) | instskip(NEXT) | instid1(VALU_DEP_1)
	v_cndmask_b32_e32 v91, v32, v92, vcc_lo
	v_and_b32_e32 v32, 0x7f800000, v91
	s_delay_alu instid0(VALU_DEP_1) | instskip(SKIP_1) | instid1(SALU_CYCLE_1)
	v_cmp_ne_u32_e64 s10, 0x7f800000, v32
                                        ; implicit-def: $vgpr32
	s_and_saveexec_b32 s15, s10
	s_xor_b32 s10, exec_lo, s15
; %bb.239:                              ;   in Loop: Header=BB8_130 Depth=2
	v_bfe_u32 v32, v91, 16, 1
	s_delay_alu instid0(VALU_DEP_1)
	v_add3_u32 v32, v91, v32, 0x7fff
                                        ; implicit-def: $vgpr91
; %bb.240:                              ;   in Loop: Header=BB8_130 Depth=2
	s_and_not1_saveexec_b32 s15, s10
; %bb.241:                              ;   in Loop: Header=BB8_130 Depth=2
	v_and_b32_e32 v32, 0xffff, v91
	v_or_b32_e32 v92, 0x10000, v91
	s_delay_alu instid0(VALU_DEP_2) | instskip(NEXT) | instid1(VALU_DEP_1)
	v_cmp_eq_u32_e64 s10, 0, v32
	v_cndmask_b32_e64 v32, v92, v91, s10
; %bb.242:                              ;   in Loop: Header=BB8_130 Depth=2
	s_or_b32 exec_lo, exec_lo, s15
	v_and_b32_e32 v33, 0xffff0000, v33
	v_and_b32_e32 v27, 0xffff0000, v27
	s_delay_alu instid0(VALU_DEP_1) | instskip(NEXT) | instid1(VALU_DEP_1)
	v_dual_max_num_f32 v33, v33, v33 :: v_dual_max_num_f32 v27, v27, v27
	v_dual_min_num_f32 v91, v27, v33 :: v_dual_max_num_f32 v27, v27, v33
	s_delay_alu instid0(VALU_DEP_1) | instskip(NEXT) | instid1(VALU_DEP_1)
	v_cndmask_b32_e32 v33, v27, v91, vcc_lo
	v_and_b32_e32 v27, 0x7f800000, v33
	s_delay_alu instid0(VALU_DEP_1) | instskip(SKIP_1) | instid1(SALU_CYCLE_1)
	v_cmp_ne_u32_e64 s10, 0x7f800000, v27
                                        ; implicit-def: $vgpr27
	s_and_saveexec_b32 s15, s10
	s_xor_b32 s10, exec_lo, s15
; %bb.243:                              ;   in Loop: Header=BB8_130 Depth=2
	v_bfe_u32 v27, v33, 16, 1
	s_delay_alu instid0(VALU_DEP_1)
	v_add3_u32 v27, v33, v27, 0x7fff
                                        ; implicit-def: $vgpr33
; %bb.244:                              ;   in Loop: Header=BB8_130 Depth=2
	s_and_not1_saveexec_b32 s15, s10
; %bb.245:                              ;   in Loop: Header=BB8_130 Depth=2
	v_and_b32_e32 v27, 0xffff, v33
	v_or_b32_e32 v91, 0x10000, v33
	s_delay_alu instid0(VALU_DEP_2) | instskip(NEXT) | instid1(VALU_DEP_1)
	v_cmp_eq_u32_e64 s10, 0, v27
	v_cndmask_b32_e64 v27, v91, v33, s10
; %bb.246:                              ;   in Loop: Header=BB8_130 Depth=2
	s_or_b32 exec_lo, exec_lo, s15
	v_dual_lshlrev_b32 v33, 16, v34 :: v_dual_lshlrev_b32 v91, 16, v28
	s_delay_alu instid0(VALU_DEP_1) | instskip(NEXT) | instid1(VALU_DEP_1)
	v_dual_max_num_f32 v33, v33, v33 :: v_dual_max_num_f32 v91, v91, v91
	v_dual_min_num_f32 v92, v91, v33 :: v_dual_max_num_f32 v33, v91, v33
	s_delay_alu instid0(VALU_DEP_1) | instskip(NEXT) | instid1(VALU_DEP_1)
	v_cndmask_b32_e32 v91, v33, v92, vcc_lo
	v_and_b32_e32 v33, 0x7f800000, v91
	s_delay_alu instid0(VALU_DEP_1) | instskip(SKIP_1) | instid1(SALU_CYCLE_1)
	v_cmp_ne_u32_e64 s10, 0x7f800000, v33
                                        ; implicit-def: $vgpr33
	s_and_saveexec_b32 s15, s10
	s_xor_b32 s10, exec_lo, s15
; %bb.247:                              ;   in Loop: Header=BB8_130 Depth=2
	v_bfe_u32 v33, v91, 16, 1
	s_delay_alu instid0(VALU_DEP_1)
	v_add3_u32 v33, v91, v33, 0x7fff
                                        ; implicit-def: $vgpr91
; %bb.248:                              ;   in Loop: Header=BB8_130 Depth=2
	s_and_not1_saveexec_b32 s15, s10
; %bb.249:                              ;   in Loop: Header=BB8_130 Depth=2
	v_and_b32_e32 v33, 0xffff, v91
	v_or_b32_e32 v92, 0x10000, v91
	s_delay_alu instid0(VALU_DEP_2) | instskip(NEXT) | instid1(VALU_DEP_1)
	v_cmp_eq_u32_e64 s10, 0, v33
	v_cndmask_b32_e64 v33, v92, v91, s10
; %bb.250:                              ;   in Loop: Header=BB8_130 Depth=2
	s_or_b32 exec_lo, exec_lo, s15
	v_and_b32_e32 v34, 0xffff0000, v34
	v_and_b32_e32 v28, 0xffff0000, v28
	s_delay_alu instid0(VALU_DEP_1) | instskip(NEXT) | instid1(VALU_DEP_1)
	v_dual_max_num_f32 v34, v34, v34 :: v_dual_max_num_f32 v28, v28, v28
	v_dual_min_num_f32 v91, v28, v34 :: v_dual_max_num_f32 v28, v28, v34
	s_delay_alu instid0(VALU_DEP_1) | instskip(NEXT) | instid1(VALU_DEP_1)
	v_cndmask_b32_e32 v34, v28, v91, vcc_lo
	v_and_b32_e32 v28, 0x7f800000, v34
	s_delay_alu instid0(VALU_DEP_1) | instskip(SKIP_1) | instid1(SALU_CYCLE_1)
	v_cmp_ne_u32_e64 s10, 0x7f800000, v28
                                        ; implicit-def: $vgpr28
	s_and_saveexec_b32 s15, s10
	s_xor_b32 s10, exec_lo, s15
; %bb.251:                              ;   in Loop: Header=BB8_130 Depth=2
	v_bfe_u32 v28, v34, 16, 1
	s_delay_alu instid0(VALU_DEP_1)
	v_add3_u32 v28, v34, v28, 0x7fff
                                        ; implicit-def: $vgpr34
; %bb.252:                              ;   in Loop: Header=BB8_130 Depth=2
	s_and_not1_saveexec_b32 s15, s10
; %bb.253:                              ;   in Loop: Header=BB8_130 Depth=2
	v_and_b32_e32 v28, 0xffff, v34
	v_or_b32_e32 v91, 0x10000, v34
	s_delay_alu instid0(VALU_DEP_2) | instskip(NEXT) | instid1(VALU_DEP_1)
	v_cmp_eq_u32_e64 s10, 0, v28
	v_cndmask_b32_e64 v28, v91, v34, s10
; %bb.254:                              ;   in Loop: Header=BB8_130 Depth=2
	s_or_b32 exec_lo, exec_lo, s15
	v_dual_lshlrev_b32 v34, 16, v35 :: v_dual_lshlrev_b32 v91, 16, v29
	s_delay_alu instid0(VALU_DEP_1) | instskip(NEXT) | instid1(VALU_DEP_1)
	v_dual_max_num_f32 v34, v34, v34 :: v_dual_max_num_f32 v91, v91, v91
	v_dual_min_num_f32 v92, v91, v34 :: v_dual_max_num_f32 v34, v91, v34
	s_delay_alu instid0(VALU_DEP_1) | instskip(NEXT) | instid1(VALU_DEP_1)
	v_cndmask_b32_e32 v91, v34, v92, vcc_lo
	v_and_b32_e32 v34, 0x7f800000, v91
	s_delay_alu instid0(VALU_DEP_1) | instskip(SKIP_1) | instid1(SALU_CYCLE_1)
	v_cmp_ne_u32_e64 s10, 0x7f800000, v34
                                        ; implicit-def: $vgpr34
	s_and_saveexec_b32 s15, s10
	s_xor_b32 s10, exec_lo, s15
; %bb.255:                              ;   in Loop: Header=BB8_130 Depth=2
	v_bfe_u32 v34, v91, 16, 1
	s_delay_alu instid0(VALU_DEP_1)
	v_add3_u32 v34, v91, v34, 0x7fff
                                        ; implicit-def: $vgpr91
; %bb.256:                              ;   in Loop: Header=BB8_130 Depth=2
	s_and_not1_saveexec_b32 s15, s10
; %bb.257:                              ;   in Loop: Header=BB8_130 Depth=2
	v_and_b32_e32 v34, 0xffff, v91
	v_or_b32_e32 v92, 0x10000, v91
	s_delay_alu instid0(VALU_DEP_2) | instskip(NEXT) | instid1(VALU_DEP_1)
	v_cmp_eq_u32_e64 s10, 0, v34
	v_cndmask_b32_e64 v34, v92, v91, s10
; %bb.258:                              ;   in Loop: Header=BB8_130 Depth=2
	s_or_b32 exec_lo, exec_lo, s15
	v_and_b32_e32 v35, 0xffff0000, v35
	v_and_b32_e32 v29, 0xffff0000, v29
	s_delay_alu instid0(VALU_DEP_1) | instskip(NEXT) | instid1(VALU_DEP_1)
	v_dual_max_num_f32 v35, v35, v35 :: v_dual_max_num_f32 v29, v29, v29
	v_dual_min_num_f32 v91, v29, v35 :: v_dual_max_num_f32 v29, v29, v35
	s_delay_alu instid0(VALU_DEP_1) | instskip(NEXT) | instid1(VALU_DEP_1)
	v_cndmask_b32_e32 v35, v29, v91, vcc_lo
	v_and_b32_e32 v29, 0x7f800000, v35
	s_delay_alu instid0(VALU_DEP_1) | instskip(SKIP_1) | instid1(SALU_CYCLE_1)
	v_cmp_ne_u32_e64 s10, 0x7f800000, v29
                                        ; implicit-def: $vgpr29
	s_and_saveexec_b32 s15, s10
	s_xor_b32 s10, exec_lo, s15
; %bb.259:                              ;   in Loop: Header=BB8_130 Depth=2
	v_bfe_u32 v29, v35, 16, 1
	s_delay_alu instid0(VALU_DEP_1)
	v_add3_u32 v29, v35, v29, 0x7fff
                                        ; implicit-def: $vgpr35
; %bb.260:                              ;   in Loop: Header=BB8_130 Depth=2
	s_and_not1_saveexec_b32 s15, s10
	s_cbranch_execz .LBB8_129
; %bb.261:                              ;   in Loop: Header=BB8_130 Depth=2
	v_and_b32_e32 v29, 0xffff, v35
	v_or_b32_e32 v91, 0x10000, v35
	s_delay_alu instid0(VALU_DEP_2) | instskip(NEXT) | instid1(VALU_DEP_1)
	v_cmp_eq_u32_e64 s10, 0, v29
	v_cndmask_b32_e64 v29, v91, v35, s10
	s_branch .LBB8_129
.LBB8_262:                              ;   in Loop: Header=BB8_49 Depth=1
	v_dual_mov_b32 v10, v0 :: v_dual_mov_b32 v17, v73
	s_and_saveexec_b32 s13, s29
	s_cbranch_execnz .LBB8_446
	s_branch .LBB8_577
.LBB8_263:                              ;   in Loop: Header=BB8_49 Depth=1
	s_or_b32 exec_lo, exec_lo, s12
	s_delay_alu instid0(SALU_CYCLE_1)
	s_and_b32 s10, s13, exec_lo
.LBB8_264:                              ;   in Loop: Header=BB8_49 Depth=1
	s_or_b32 exec_lo, exec_lo, s11
	s_and_saveexec_b32 s11, s10
	s_cbranch_execz .LBB8_330
; %bb.265:                              ;   in Loop: Header=BB8_49 Depth=1
	v_lshlrev_b32_e32 v27, 16, v22
	v_lshlrev_b32_e32 v26, 16, v18
	s_and_b32 s10, 0xffff, s28
	s_delay_alu instid0(SALU_CYCLE_1) | instskip(NEXT) | instid1(VALU_DEP_1)
	s_cmp_eq_u32 s10, 0
	v_dual_max_num_f32 v27, v27, v27 :: v_dual_max_num_f32 v26, v26, v26
	s_cselect_b32 vcc_lo, -1, 0
	s_delay_alu instid0(VALU_DEP_1) | instskip(NEXT) | instid1(VALU_DEP_1)
	v_dual_min_num_f32 v28, v27, v26 :: v_dual_max_num_f32 v26, v27, v26
	v_cndmask_b32_e32 v27, v26, v28, vcc_lo
	s_delay_alu instid0(VALU_DEP_1) | instskip(NEXT) | instid1(VALU_DEP_1)
	v_and_b32_e32 v26, 0x7f800000, v27
	v_cmp_ne_u32_e64 s10, 0x7f800000, v26
                                        ; implicit-def: $vgpr26
	s_and_saveexec_b32 s12, s10
	s_delay_alu instid0(SALU_CYCLE_1)
	s_xor_b32 s10, exec_lo, s12
; %bb.266:                              ;   in Loop: Header=BB8_49 Depth=1
	v_bfe_u32 v26, v27, 16, 1
	s_delay_alu instid0(VALU_DEP_1)
	v_add3_u32 v26, v27, v26, 0x7fff
                                        ; implicit-def: $vgpr27
; %bb.267:                              ;   in Loop: Header=BB8_49 Depth=1
	s_and_not1_saveexec_b32 s12, s10
; %bb.268:                              ;   in Loop: Header=BB8_49 Depth=1
	v_and_b32_e32 v26, 0xffff, v27
	v_or_b32_e32 v28, 0x10000, v27
	s_delay_alu instid0(VALU_DEP_2) | instskip(NEXT) | instid1(VALU_DEP_1)
	v_cmp_eq_u32_e64 s10, 0, v26
	v_cndmask_b32_e64 v26, v28, v27, s10
; %bb.269:                              ;   in Loop: Header=BB8_49 Depth=1
	s_or_b32 exec_lo, exec_lo, s12
	v_and_b32_e32 v18, 0xffff0000, v18
	v_and_b32_e32 v22, 0xffff0000, v22
	s_delay_alu instid0(VALU_DEP_2) | instskip(NEXT) | instid1(VALU_DEP_2)
	v_max_num_f32_e32 v18, v18, v18
	v_max_num_f32_e32 v22, v22, v22
	s_delay_alu instid0(VALU_DEP_1) | instskip(NEXT) | instid1(VALU_DEP_1)
	v_dual_min_num_f32 v27, v22, v18 :: v_dual_max_num_f32 v18, v22, v18
	v_cndmask_b32_e32 v22, v18, v27, vcc_lo
	s_delay_alu instid0(VALU_DEP_1) | instskip(NEXT) | instid1(VALU_DEP_1)
	v_and_b32_e32 v18, 0x7f800000, v22
	v_cmp_ne_u32_e64 s10, 0x7f800000, v18
                                        ; implicit-def: $vgpr18
	s_and_saveexec_b32 s12, s10
	s_delay_alu instid0(SALU_CYCLE_1)
	s_xor_b32 s10, exec_lo, s12
; %bb.270:                              ;   in Loop: Header=BB8_49 Depth=1
	v_bfe_u32 v18, v22, 16, 1
	s_delay_alu instid0(VALU_DEP_1)
	v_add3_u32 v18, v22, v18, 0x7fff
                                        ; implicit-def: $vgpr22
; %bb.271:                              ;   in Loop: Header=BB8_49 Depth=1
	s_and_not1_saveexec_b32 s12, s10
; %bb.272:                              ;   in Loop: Header=BB8_49 Depth=1
	v_and_b32_e32 v18, 0xffff, v22
	v_or_b32_e32 v27, 0x10000, v22
	s_delay_alu instid0(VALU_DEP_2) | instskip(NEXT) | instid1(VALU_DEP_1)
	v_cmp_eq_u32_e64 s10, 0, v18
	v_cndmask_b32_e64 v18, v27, v22, s10
; %bb.273:                              ;   in Loop: Header=BB8_49 Depth=1
	s_or_b32 exec_lo, exec_lo, s12
	v_lshlrev_b32_e32 v22, 16, v19
	s_delay_alu instid0(VALU_DEP_1) | instskip(NEXT) | instid1(VALU_DEP_1)
	v_dual_max_num_f32 v22, v22, v22 :: v_dual_lshlrev_b32 v27, 16, v23
	v_max_num_f32_e32 v27, v27, v27
	s_delay_alu instid0(VALU_DEP_1) | instskip(NEXT) | instid1(VALU_DEP_1)
	v_dual_min_num_f32 v28, v27, v22 :: v_dual_max_num_f32 v22, v27, v22
	v_cndmask_b32_e32 v27, v22, v28, vcc_lo
	s_delay_alu instid0(VALU_DEP_1) | instskip(NEXT) | instid1(VALU_DEP_1)
	v_and_b32_e32 v22, 0x7f800000, v27
	v_cmp_ne_u32_e64 s10, 0x7f800000, v22
                                        ; implicit-def: $vgpr22
	s_and_saveexec_b32 s12, s10
	s_delay_alu instid0(SALU_CYCLE_1)
	s_xor_b32 s10, exec_lo, s12
; %bb.274:                              ;   in Loop: Header=BB8_49 Depth=1
	v_bfe_u32 v22, v27, 16, 1
	s_delay_alu instid0(VALU_DEP_1)
	v_add3_u32 v22, v27, v22, 0x7fff
                                        ; implicit-def: $vgpr27
; %bb.275:                              ;   in Loop: Header=BB8_49 Depth=1
	s_and_not1_saveexec_b32 s12, s10
; %bb.276:                              ;   in Loop: Header=BB8_49 Depth=1
	v_and_b32_e32 v22, 0xffff, v27
	v_or_b32_e32 v28, 0x10000, v27
	s_delay_alu instid0(VALU_DEP_2) | instskip(NEXT) | instid1(VALU_DEP_1)
	v_cmp_eq_u32_e64 s10, 0, v22
	v_cndmask_b32_e64 v22, v28, v27, s10
; %bb.277:                              ;   in Loop: Header=BB8_49 Depth=1
	s_or_b32 exec_lo, exec_lo, s12
	v_and_b32_e32 v19, 0xffff0000, v19
	v_and_b32_e32 v23, 0xffff0000, v23
	s_delay_alu instid0(VALU_DEP_2) | instskip(NEXT) | instid1(VALU_DEP_2)
	v_max_num_f32_e32 v19, v19, v19
	v_max_num_f32_e32 v23, v23, v23
	s_delay_alu instid0(VALU_DEP_1) | instskip(NEXT) | instid1(VALU_DEP_1)
	v_dual_min_num_f32 v27, v23, v19 :: v_dual_max_num_f32 v19, v23, v19
	v_cndmask_b32_e32 v23, v19, v27, vcc_lo
	s_delay_alu instid0(VALU_DEP_1) | instskip(NEXT) | instid1(VALU_DEP_1)
	v_and_b32_e32 v19, 0x7f800000, v23
	v_cmp_ne_u32_e64 s10, 0x7f800000, v19
                                        ; implicit-def: $vgpr19
	s_and_saveexec_b32 s12, s10
	s_delay_alu instid0(SALU_CYCLE_1)
	s_xor_b32 s10, exec_lo, s12
; %bb.278:                              ;   in Loop: Header=BB8_49 Depth=1
	v_bfe_u32 v19, v23, 16, 1
	s_delay_alu instid0(VALU_DEP_1)
	v_add3_u32 v19, v23, v19, 0x7fff
                                        ; implicit-def: $vgpr23
; %bb.279:                              ;   in Loop: Header=BB8_49 Depth=1
	s_and_not1_saveexec_b32 s12, s10
; %bb.280:                              ;   in Loop: Header=BB8_49 Depth=1
	v_and_b32_e32 v19, 0xffff, v23
	v_or_b32_e32 v27, 0x10000, v23
	s_delay_alu instid0(VALU_DEP_2) | instskip(NEXT) | instid1(VALU_DEP_1)
	v_cmp_eq_u32_e64 s10, 0, v19
	v_cndmask_b32_e64 v19, v27, v23, s10
; %bb.281:                              ;   in Loop: Header=BB8_49 Depth=1
	s_or_b32 exec_lo, exec_lo, s12
	v_lshlrev_b32_e32 v27, 16, v24
	s_delay_alu instid0(VALU_DEP_1) | instskip(NEXT) | instid1(VALU_DEP_1)
	v_dual_lshlrev_b32 v23, 16, v20 :: v_dual_max_num_f32 v27, v27, v27
	v_max_num_f32_e32 v23, v23, v23
	s_delay_alu instid0(VALU_DEP_1) | instskip(NEXT) | instid1(VALU_DEP_1)
	v_dual_min_num_f32 v28, v27, v23 :: v_dual_max_num_f32 v23, v27, v23
	v_cndmask_b32_e32 v27, v23, v28, vcc_lo
	s_delay_alu instid0(VALU_DEP_1) | instskip(NEXT) | instid1(VALU_DEP_1)
	v_and_b32_e32 v23, 0x7f800000, v27
	v_cmp_ne_u32_e64 s10, 0x7f800000, v23
                                        ; implicit-def: $vgpr23
	s_and_saveexec_b32 s12, s10
	s_delay_alu instid0(SALU_CYCLE_1)
	s_xor_b32 s10, exec_lo, s12
; %bb.282:                              ;   in Loop: Header=BB8_49 Depth=1
	v_bfe_u32 v23, v27, 16, 1
	s_delay_alu instid0(VALU_DEP_1)
	v_add3_u32 v23, v27, v23, 0x7fff
                                        ; implicit-def: $vgpr27
; %bb.283:                              ;   in Loop: Header=BB8_49 Depth=1
	s_and_not1_saveexec_b32 s12, s10
; %bb.284:                              ;   in Loop: Header=BB8_49 Depth=1
	v_and_b32_e32 v23, 0xffff, v27
	v_or_b32_e32 v28, 0x10000, v27
	s_delay_alu instid0(VALU_DEP_2) | instskip(NEXT) | instid1(VALU_DEP_1)
	v_cmp_eq_u32_e64 s10, 0, v23
	v_cndmask_b32_e64 v23, v28, v27, s10
; %bb.285:                              ;   in Loop: Header=BB8_49 Depth=1
	s_or_b32 exec_lo, exec_lo, s12
	v_and_b32_e32 v20, 0xffff0000, v20
	v_and_b32_e32 v24, 0xffff0000, v24
	s_delay_alu instid0(VALU_DEP_2) | instskip(NEXT) | instid1(VALU_DEP_2)
	v_max_num_f32_e32 v20, v20, v20
	v_max_num_f32_e32 v24, v24, v24
	s_delay_alu instid0(VALU_DEP_1) | instskip(NEXT) | instid1(VALU_DEP_1)
	v_dual_min_num_f32 v27, v24, v20 :: v_dual_max_num_f32 v20, v24, v20
	v_cndmask_b32_e32 v24, v20, v27, vcc_lo
	s_delay_alu instid0(VALU_DEP_1) | instskip(NEXT) | instid1(VALU_DEP_1)
	v_and_b32_e32 v20, 0x7f800000, v24
	v_cmp_ne_u32_e64 s10, 0x7f800000, v20
                                        ; implicit-def: $vgpr20
	s_and_saveexec_b32 s12, s10
	s_delay_alu instid0(SALU_CYCLE_1)
	s_xor_b32 s10, exec_lo, s12
; %bb.286:                              ;   in Loop: Header=BB8_49 Depth=1
	v_bfe_u32 v20, v24, 16, 1
	s_delay_alu instid0(VALU_DEP_1)
	v_add3_u32 v20, v24, v20, 0x7fff
                                        ; implicit-def: $vgpr24
; %bb.287:                              ;   in Loop: Header=BB8_49 Depth=1
	s_and_not1_saveexec_b32 s12, s10
; %bb.288:                              ;   in Loop: Header=BB8_49 Depth=1
	v_and_b32_e32 v20, 0xffff, v24
	v_or_b32_e32 v27, 0x10000, v24
	s_delay_alu instid0(VALU_DEP_2) | instskip(NEXT) | instid1(VALU_DEP_1)
	v_cmp_eq_u32_e64 s10, 0, v20
	v_cndmask_b32_e64 v20, v27, v24, s10
; %bb.289:                              ;   in Loop: Header=BB8_49 Depth=1
	s_or_b32 exec_lo, exec_lo, s12
	v_lshlrev_b32_e32 v27, 16, v25
	s_delay_alu instid0(VALU_DEP_1) | instskip(NEXT) | instid1(VALU_DEP_1)
	v_dual_max_num_f32 v27, v27, v27 :: v_dual_lshlrev_b32 v24, 16, v21
	v_max_num_f32_e32 v24, v24, v24
	s_delay_alu instid0(VALU_DEP_1) | instskip(NEXT) | instid1(VALU_DEP_1)
	v_dual_min_num_f32 v28, v27, v24 :: v_dual_max_num_f32 v24, v27, v24
	v_cndmask_b32_e32 v27, v24, v28, vcc_lo
	s_delay_alu instid0(VALU_DEP_1) | instskip(NEXT) | instid1(VALU_DEP_1)
	v_and_b32_e32 v24, 0x7f800000, v27
	v_cmp_ne_u32_e64 s10, 0x7f800000, v24
                                        ; implicit-def: $vgpr24
	s_and_saveexec_b32 s12, s10
	s_delay_alu instid0(SALU_CYCLE_1)
	s_xor_b32 s10, exec_lo, s12
; %bb.290:                              ;   in Loop: Header=BB8_49 Depth=1
	v_bfe_u32 v24, v27, 16, 1
	s_delay_alu instid0(VALU_DEP_1)
	v_add3_u32 v24, v27, v24, 0x7fff
                                        ; implicit-def: $vgpr27
; %bb.291:                              ;   in Loop: Header=BB8_49 Depth=1
	s_and_not1_saveexec_b32 s12, s10
; %bb.292:                              ;   in Loop: Header=BB8_49 Depth=1
	v_and_b32_e32 v24, 0xffff, v27
	v_or_b32_e32 v28, 0x10000, v27
	s_delay_alu instid0(VALU_DEP_2) | instskip(NEXT) | instid1(VALU_DEP_1)
	v_cmp_eq_u32_e64 s10, 0, v24
	v_cndmask_b32_e64 v24, v28, v27, s10
; %bb.293:                              ;   in Loop: Header=BB8_49 Depth=1
	s_or_b32 exec_lo, exec_lo, s12
	v_and_b32_e32 v21, 0xffff0000, v21
	v_and_b32_e32 v25, 0xffff0000, v25
	s_delay_alu instid0(VALU_DEP_2) | instskip(NEXT) | instid1(VALU_DEP_2)
	v_max_num_f32_e32 v21, v21, v21
	v_max_num_f32_e32 v25, v25, v25
	s_delay_alu instid0(VALU_DEP_1) | instskip(NEXT) | instid1(VALU_DEP_1)
	v_dual_min_num_f32 v27, v25, v21 :: v_dual_max_num_f32 v21, v25, v21
	v_cndmask_b32_e32 v25, v21, v27, vcc_lo
	s_delay_alu instid0(VALU_DEP_1) | instskip(NEXT) | instid1(VALU_DEP_1)
	v_and_b32_e32 v21, 0x7f800000, v25
	v_cmp_ne_u32_e64 s10, 0x7f800000, v21
                                        ; implicit-def: $vgpr21
	s_and_saveexec_b32 s12, s10
	s_delay_alu instid0(SALU_CYCLE_1)
	s_xor_b32 s10, exec_lo, s12
; %bb.294:                              ;   in Loop: Header=BB8_49 Depth=1
	v_bfe_u32 v21, v25, 16, 1
	s_delay_alu instid0(VALU_DEP_1)
	v_add3_u32 v21, v25, v21, 0x7fff
                                        ; implicit-def: $vgpr25
; %bb.295:                              ;   in Loop: Header=BB8_49 Depth=1
	s_and_not1_saveexec_b32 s12, s10
; %bb.296:                              ;   in Loop: Header=BB8_49 Depth=1
	v_and_b32_e32 v21, 0xffff, v25
	v_or_b32_e32 v27, 0x10000, v25
	s_delay_alu instid0(VALU_DEP_2) | instskip(NEXT) | instid1(VALU_DEP_1)
	v_cmp_eq_u32_e64 s10, 0, v21
	v_cndmask_b32_e64 v21, v27, v25, s10
; %bb.297:                              ;   in Loop: Header=BB8_49 Depth=1
	s_or_b32 exec_lo, exec_lo, s12
	v_lshlrev_b32_e32 v27, 16, v14
	s_delay_alu instid0(VALU_DEP_1) | instskip(NEXT) | instid1(VALU_DEP_1)
	v_dual_lshlrev_b32 v25, 16, v10 :: v_dual_max_num_f32 v27, v27, v27
	v_max_num_f32_e32 v25, v25, v25
	s_delay_alu instid0(VALU_DEP_1) | instskip(NEXT) | instid1(VALU_DEP_1)
	v_dual_min_num_f32 v28, v27, v25 :: v_dual_max_num_f32 v25, v27, v25
	v_cndmask_b32_e32 v27, v25, v28, vcc_lo
	s_delay_alu instid0(VALU_DEP_1) | instskip(NEXT) | instid1(VALU_DEP_1)
	v_and_b32_e32 v25, 0x7f800000, v27
	v_cmp_ne_u32_e64 s10, 0x7f800000, v25
                                        ; implicit-def: $vgpr25
	s_and_saveexec_b32 s12, s10
	s_delay_alu instid0(SALU_CYCLE_1)
	s_xor_b32 s10, exec_lo, s12
; %bb.298:                              ;   in Loop: Header=BB8_49 Depth=1
	v_bfe_u32 v25, v27, 16, 1
	s_delay_alu instid0(VALU_DEP_1)
	v_add3_u32 v25, v27, v25, 0x7fff
                                        ; implicit-def: $vgpr27
; %bb.299:                              ;   in Loop: Header=BB8_49 Depth=1
	s_and_not1_saveexec_b32 s12, s10
; %bb.300:                              ;   in Loop: Header=BB8_49 Depth=1
	v_and_b32_e32 v25, 0xffff, v27
	v_or_b32_e32 v28, 0x10000, v27
	s_delay_alu instid0(VALU_DEP_2) | instskip(NEXT) | instid1(VALU_DEP_1)
	v_cmp_eq_u32_e64 s10, 0, v25
	v_cndmask_b32_e64 v25, v28, v27, s10
; %bb.301:                              ;   in Loop: Header=BB8_49 Depth=1
	s_or_b32 exec_lo, exec_lo, s12
	v_and_b32_e32 v10, 0xffff0000, v10
	v_and_b32_e32 v14, 0xffff0000, v14
	s_delay_alu instid0(VALU_DEP_2) | instskip(NEXT) | instid1(VALU_DEP_2)
	v_max_num_f32_e32 v10, v10, v10
	v_max_num_f32_e32 v14, v14, v14
	s_delay_alu instid0(VALU_DEP_1) | instskip(NEXT) | instid1(VALU_DEP_1)
	v_dual_min_num_f32 v27, v14, v10 :: v_dual_max_num_f32 v10, v14, v10
	v_cndmask_b32_e32 v14, v10, v27, vcc_lo
	s_delay_alu instid0(VALU_DEP_1) | instskip(NEXT) | instid1(VALU_DEP_1)
	v_and_b32_e32 v10, 0x7f800000, v14
	v_cmp_ne_u32_e64 s10, 0x7f800000, v10
                                        ; implicit-def: $vgpr10
	s_and_saveexec_b32 s12, s10
	s_delay_alu instid0(SALU_CYCLE_1)
	s_xor_b32 s10, exec_lo, s12
; %bb.302:                              ;   in Loop: Header=BB8_49 Depth=1
	v_bfe_u32 v10, v14, 16, 1
	s_delay_alu instid0(VALU_DEP_1)
	v_add3_u32 v10, v14, v10, 0x7fff
                                        ; implicit-def: $vgpr14
; %bb.303:                              ;   in Loop: Header=BB8_49 Depth=1
	s_and_not1_saveexec_b32 s12, s10
; %bb.304:                              ;   in Loop: Header=BB8_49 Depth=1
	v_and_b32_e32 v10, 0xffff, v14
	v_or_b32_e32 v27, 0x10000, v14
	s_delay_alu instid0(VALU_DEP_2) | instskip(NEXT) | instid1(VALU_DEP_1)
	v_cmp_eq_u32_e64 s10, 0, v10
	v_cndmask_b32_e64 v10, v27, v14, s10
; %bb.305:                              ;   in Loop: Header=BB8_49 Depth=1
	s_or_b32 exec_lo, exec_lo, s12
	v_lshlrev_b32_e32 v14, 16, v11
	s_delay_alu instid0(VALU_DEP_1) | instskip(NEXT) | instid1(VALU_DEP_1)
	v_dual_max_num_f32 v14, v14, v14 :: v_dual_lshlrev_b32 v27, 16, v15
	v_max_num_f32_e32 v27, v27, v27
	s_delay_alu instid0(VALU_DEP_1) | instskip(NEXT) | instid1(VALU_DEP_1)
	v_dual_min_num_f32 v28, v27, v14 :: v_dual_max_num_f32 v14, v27, v14
	v_cndmask_b32_e32 v27, v14, v28, vcc_lo
	s_delay_alu instid0(VALU_DEP_1) | instskip(NEXT) | instid1(VALU_DEP_1)
	v_and_b32_e32 v14, 0x7f800000, v27
	v_cmp_ne_u32_e64 s10, 0x7f800000, v14
                                        ; implicit-def: $vgpr14
	s_and_saveexec_b32 s12, s10
	s_delay_alu instid0(SALU_CYCLE_1)
	s_xor_b32 s10, exec_lo, s12
; %bb.306:                              ;   in Loop: Header=BB8_49 Depth=1
	v_bfe_u32 v14, v27, 16, 1
	s_delay_alu instid0(VALU_DEP_1)
	v_add3_u32 v14, v27, v14, 0x7fff
                                        ; implicit-def: $vgpr27
; %bb.307:                              ;   in Loop: Header=BB8_49 Depth=1
	s_and_not1_saveexec_b32 s12, s10
; %bb.308:                              ;   in Loop: Header=BB8_49 Depth=1
	v_and_b32_e32 v14, 0xffff, v27
	v_or_b32_e32 v28, 0x10000, v27
	s_delay_alu instid0(VALU_DEP_2) | instskip(NEXT) | instid1(VALU_DEP_1)
	v_cmp_eq_u32_e64 s10, 0, v14
	v_cndmask_b32_e64 v14, v28, v27, s10
; %bb.309:                              ;   in Loop: Header=BB8_49 Depth=1
	s_or_b32 exec_lo, exec_lo, s12
	v_and_b32_e32 v11, 0xffff0000, v11
	v_and_b32_e32 v15, 0xffff0000, v15
	s_delay_alu instid0(VALU_DEP_2) | instskip(NEXT) | instid1(VALU_DEP_2)
	v_max_num_f32_e32 v11, v11, v11
	v_max_num_f32_e32 v15, v15, v15
	s_delay_alu instid0(VALU_DEP_1) | instskip(NEXT) | instid1(VALU_DEP_1)
	v_dual_min_num_f32 v27, v15, v11 :: v_dual_max_num_f32 v11, v15, v11
	v_cndmask_b32_e32 v15, v11, v27, vcc_lo
	s_delay_alu instid0(VALU_DEP_1) | instskip(NEXT) | instid1(VALU_DEP_1)
	v_and_b32_e32 v11, 0x7f800000, v15
	v_cmp_ne_u32_e64 s10, 0x7f800000, v11
                                        ; implicit-def: $vgpr11
	s_and_saveexec_b32 s12, s10
	s_delay_alu instid0(SALU_CYCLE_1)
	s_xor_b32 s10, exec_lo, s12
; %bb.310:                              ;   in Loop: Header=BB8_49 Depth=1
	v_bfe_u32 v11, v15, 16, 1
	s_delay_alu instid0(VALU_DEP_1)
	v_add3_u32 v11, v15, v11, 0x7fff
                                        ; implicit-def: $vgpr15
; %bb.311:                              ;   in Loop: Header=BB8_49 Depth=1
	s_and_not1_saveexec_b32 s12, s10
; %bb.312:                              ;   in Loop: Header=BB8_49 Depth=1
	v_and_b32_e32 v11, 0xffff, v15
	v_or_b32_e32 v27, 0x10000, v15
	s_delay_alu instid0(VALU_DEP_2) | instskip(NEXT) | instid1(VALU_DEP_1)
	v_cmp_eq_u32_e64 s10, 0, v11
	v_cndmask_b32_e64 v11, v27, v15, s10
; %bb.313:                              ;   in Loop: Header=BB8_49 Depth=1
	s_or_b32 exec_lo, exec_lo, s12
	v_lshlrev_b32_e32 v27, 16, v16
	s_delay_alu instid0(VALU_DEP_1) | instskip(NEXT) | instid1(VALU_DEP_1)
	v_dual_lshlrev_b32 v15, 16, v12 :: v_dual_max_num_f32 v27, v27, v27
	v_max_num_f32_e32 v15, v15, v15
	s_delay_alu instid0(VALU_DEP_1) | instskip(NEXT) | instid1(VALU_DEP_1)
	v_dual_min_num_f32 v28, v27, v15 :: v_dual_max_num_f32 v15, v27, v15
	v_cndmask_b32_e32 v27, v15, v28, vcc_lo
	s_delay_alu instid0(VALU_DEP_1) | instskip(NEXT) | instid1(VALU_DEP_1)
	v_and_b32_e32 v15, 0x7f800000, v27
	v_cmp_ne_u32_e64 s10, 0x7f800000, v15
                                        ; implicit-def: $vgpr15
	s_and_saveexec_b32 s12, s10
	s_delay_alu instid0(SALU_CYCLE_1)
	s_xor_b32 s10, exec_lo, s12
; %bb.314:                              ;   in Loop: Header=BB8_49 Depth=1
	v_bfe_u32 v15, v27, 16, 1
	s_delay_alu instid0(VALU_DEP_1)
	v_add3_u32 v15, v27, v15, 0x7fff
                                        ; implicit-def: $vgpr27
; %bb.315:                              ;   in Loop: Header=BB8_49 Depth=1
	s_and_not1_saveexec_b32 s12, s10
; %bb.316:                              ;   in Loop: Header=BB8_49 Depth=1
	v_and_b32_e32 v15, 0xffff, v27
	v_or_b32_e32 v28, 0x10000, v27
	s_delay_alu instid0(VALU_DEP_2) | instskip(NEXT) | instid1(VALU_DEP_1)
	v_cmp_eq_u32_e64 s10, 0, v15
	v_cndmask_b32_e64 v15, v28, v27, s10
; %bb.317:                              ;   in Loop: Header=BB8_49 Depth=1
	s_or_b32 exec_lo, exec_lo, s12
	v_and_b32_e32 v12, 0xffff0000, v12
	v_and_b32_e32 v16, 0xffff0000, v16
	s_delay_alu instid0(VALU_DEP_2) | instskip(NEXT) | instid1(VALU_DEP_2)
	v_max_num_f32_e32 v12, v12, v12
	v_max_num_f32_e32 v16, v16, v16
	s_delay_alu instid0(VALU_DEP_1) | instskip(NEXT) | instid1(VALU_DEP_1)
	v_dual_min_num_f32 v27, v16, v12 :: v_dual_max_num_f32 v12, v16, v12
	v_cndmask_b32_e32 v16, v12, v27, vcc_lo
	s_delay_alu instid0(VALU_DEP_1) | instskip(NEXT) | instid1(VALU_DEP_1)
	v_and_b32_e32 v12, 0x7f800000, v16
	v_cmp_ne_u32_e64 s10, 0x7f800000, v12
                                        ; implicit-def: $vgpr12
	s_and_saveexec_b32 s12, s10
	s_delay_alu instid0(SALU_CYCLE_1)
	s_xor_b32 s10, exec_lo, s12
; %bb.318:                              ;   in Loop: Header=BB8_49 Depth=1
	v_bfe_u32 v12, v16, 16, 1
	s_delay_alu instid0(VALU_DEP_1)
	v_add3_u32 v12, v16, v12, 0x7fff
                                        ; implicit-def: $vgpr16
; %bb.319:                              ;   in Loop: Header=BB8_49 Depth=1
	s_and_not1_saveexec_b32 s12, s10
; %bb.320:                              ;   in Loop: Header=BB8_49 Depth=1
	v_and_b32_e32 v12, 0xffff, v16
	v_or_b32_e32 v27, 0x10000, v16
	s_delay_alu instid0(VALU_DEP_2) | instskip(NEXT) | instid1(VALU_DEP_1)
	v_cmp_eq_u32_e64 s10, 0, v12
	v_cndmask_b32_e64 v12, v27, v16, s10
; %bb.321:                              ;   in Loop: Header=BB8_49 Depth=1
	s_or_b32 exec_lo, exec_lo, s12
	v_lshlrev_b32_e32 v27, 16, v17
	s_delay_alu instid0(VALU_DEP_1) | instskip(NEXT) | instid1(VALU_DEP_1)
	v_dual_max_num_f32 v27, v27, v27 :: v_dual_lshlrev_b32 v16, 16, v13
	v_max_num_f32_e32 v16, v16, v16
	s_delay_alu instid0(VALU_DEP_1) | instskip(NEXT) | instid1(VALU_DEP_1)
	v_dual_min_num_f32 v28, v27, v16 :: v_dual_max_num_f32 v16, v27, v16
	v_cndmask_b32_e32 v27, v16, v28, vcc_lo
	s_delay_alu instid0(VALU_DEP_1) | instskip(NEXT) | instid1(VALU_DEP_1)
	v_and_b32_e32 v16, 0x7f800000, v27
	v_cmp_ne_u32_e64 s10, 0x7f800000, v16
                                        ; implicit-def: $vgpr16
	s_and_saveexec_b32 s12, s10
	s_delay_alu instid0(SALU_CYCLE_1)
	s_xor_b32 s10, exec_lo, s12
; %bb.322:                              ;   in Loop: Header=BB8_49 Depth=1
	v_bfe_u32 v16, v27, 16, 1
	s_delay_alu instid0(VALU_DEP_1)
	v_add3_u32 v16, v27, v16, 0x7fff
                                        ; implicit-def: $vgpr27
; %bb.323:                              ;   in Loop: Header=BB8_49 Depth=1
	s_and_not1_saveexec_b32 s12, s10
; %bb.324:                              ;   in Loop: Header=BB8_49 Depth=1
	v_and_b32_e32 v16, 0xffff, v27
	v_or_b32_e32 v28, 0x10000, v27
	s_delay_alu instid0(VALU_DEP_2) | instskip(NEXT) | instid1(VALU_DEP_1)
	v_cmp_eq_u32_e64 s10, 0, v16
	v_cndmask_b32_e64 v16, v28, v27, s10
; %bb.325:                              ;   in Loop: Header=BB8_49 Depth=1
	s_or_b32 exec_lo, exec_lo, s12
	v_and_b32_e32 v13, 0xffff0000, v13
	v_and_b32_e32 v17, 0xffff0000, v17
	s_delay_alu instid0(VALU_DEP_2) | instskip(NEXT) | instid1(VALU_DEP_2)
	v_max_num_f32_e32 v13, v13, v13
	v_max_num_f32_e32 v17, v17, v17
	s_delay_alu instid0(VALU_DEP_1) | instskip(NEXT) | instid1(VALU_DEP_1)
	v_dual_min_num_f32 v27, v17, v13 :: v_dual_max_num_f32 v13, v17, v13
	v_cndmask_b32_e32 v17, v13, v27, vcc_lo
	s_delay_alu instid0(VALU_DEP_1) | instskip(NEXT) | instid1(VALU_DEP_1)
	v_and_b32_e32 v13, 0x7f800000, v17
	v_cmp_ne_u32_e32 vcc_lo, 0x7f800000, v13
                                        ; implicit-def: $vgpr13
	s_and_saveexec_b32 s10, vcc_lo
	s_delay_alu instid0(SALU_CYCLE_1)
	s_xor_b32 s10, exec_lo, s10
; %bb.326:                              ;   in Loop: Header=BB8_49 Depth=1
	v_bfe_u32 v13, v17, 16, 1
	s_delay_alu instid0(VALU_DEP_1)
	v_add3_u32 v13, v17, v13, 0x7fff
                                        ; implicit-def: $vgpr17
; %bb.327:                              ;   in Loop: Header=BB8_49 Depth=1
	s_and_not1_saveexec_b32 s10, s10
; %bb.328:                              ;   in Loop: Header=BB8_49 Depth=1
	v_and_b32_e32 v13, 0xffff, v17
	v_or_b32_e32 v27, 0x10000, v17
	s_delay_alu instid0(VALU_DEP_2) | instskip(NEXT) | instid1(VALU_DEP_2)
	v_cmp_eq_u32_e32 vcc_lo, 0, v13
	v_cndmask_b32_e32 v13, v27, v17, vcc_lo
; %bb.329:                              ;   in Loop: Header=BB8_49 Depth=1
	s_or_b32 exec_lo, exec_lo, s10
	v_dual_lshrrev_b32 v17, 16, v22 :: v_dual_lshrrev_b32 v23, 16, v23
	v_lshrrev_b32_e32 v22, 16, v26
	v_dual_lshrrev_b32 v14, 16, v14 :: v_dual_lshrrev_b32 v15, 16, v15
	v_lshrrev_b32_e32 v16, 16, v16
	s_delay_alu instid0(VALU_DEP_4)
	v_and_or_b32 v19, 0xffff0000, v19, v17
	v_lshrrev_b32_e32 v17, 16, v24
	v_and_or_b32 v18, 0xffff0000, v18, v22
	v_lshrrev_b32_e32 v22, 16, v25
	v_and_or_b32 v20, 0xffff0000, v20, v23
	v_and_or_b32 v11, 0xffff0000, v11, v14
	v_and_or_b32 v21, 0xffff0000, v21, v17
	v_and_or_b32 v12, 0xffff0000, v12, v15
	v_and_or_b32 v10, 0xffff0000, v10, v22
	v_and_or_b32 v13, 0xffff0000, v13, v16
	s_clause 0x1
	global_store_b128 v[58:59], v[18:21], off th:TH_STORE_NT
	global_store_b128 v[58:59], v[10:13], off offset:512 th:TH_STORE_NT
.LBB8_330:                              ;   in Loop: Header=BB8_49 Depth=1
	s_wait_xcnt 0x0
	s_or_b32 exec_lo, exec_lo, s11
	v_lshlrev_b32_e32 v24, 10, v88
	s_mov_b32 s40, exec_lo
                                        ; implicit-def: $vgpr16
                                        ; implicit-def: $vgpr10
                                        ; implicit-def: $vgpr17
	s_delay_alu instid0(VALU_DEP_1)
	v_cmpx_ne_u32_e64 v79, v24
	s_cbranch_execz .LBB8_445
; %bb.331:                              ;   in Loop: Header=BB8_49 Depth=1
	v_lshlrev_b32_e32 v10, 5, v89
	s_mov_b32 s11, 0
	s_mov_b32 s41, exec_lo
	s_delay_alu instid0(VALU_DEP_1) | instskip(NEXT) | instid1(VALU_DEP_1)
	v_dual_sub_nc_u32 v12, v79, v24 :: v_dual_sub_nc_u32 v10, v73, v10
	v_dual_ashrrev_i32 v14, 31, v12 :: v_dual_ashrrev_i32 v11, 31, v10
	s_delay_alu instid0(VALU_DEP_1) | instskip(NEXT) | instid1(VALU_DEP_1)
	v_lshrrev_b32_e32 v11, 27, v11
	v_add_nc_u32_e32 v11, v10, v11
	s_delay_alu instid0(VALU_DEP_1) | instskip(NEXT) | instid1(VALU_DEP_1)
	v_and_b32_e32 v13, 0xffffffe0, v11
	v_dual_sub_nc_u32 v25, v10, v13 :: v_dual_lshrrev_b32 v10, 23, v14
	s_delay_alu instid0(VALU_DEP_1) | instskip(NEXT) | instid1(VALU_DEP_2)
	v_dual_ashrrev_i32 v13, 5, v11 :: v_dual_lshlrev_b32 v11, 4, v25
	v_add_nc_u32_e32 v14, v12, v10
	s_delay_alu instid0(VALU_DEP_2) | instskip(NEXT) | instid1(VALU_DEP_2)
	v_lshl_add_u32 v15, v13, 9, v11
	v_and_b32_e32 v26, 0xfffffe00, v14
	s_delay_alu instid0(VALU_DEP_2) | instskip(NEXT) | instid1(VALU_DEP_2)
	v_dual_ashrrev_i32 v14, 9, v14 :: v_dual_sub_nc_u32 v29, v12, v15
	v_dual_add_nc_u32 v10, v15, v24 :: v_dual_sub_nc_u32 v27, v12, v26
	s_delay_alu instid0(VALU_DEP_1) | instskip(NEXT) | instid1(VALU_DEP_1)
	v_cmp_lt_i32_e64 s10, 15, v27
	v_add_co_ci_u32_e64 v14, null, 0, v14, s10
	s_delay_alu instid0(VALU_DEP_1) | instskip(NEXT) | instid1(VALU_DEP_1)
	v_dual_ashrrev_i32 v11, 31, v10 :: v_dual_sub_nc_u32 v28, v14, v13
	v_add_nc_u64_e32 v[18:19], v[10:11], v[56:57]
	v_cmpx_lt_i32_e32 15, v29
	s_cbranch_execz .LBB8_408
; %bb.332:                              ;   in Loop: Header=BB8_49 Depth=1
	s_trap 2
	ds_load_b64 v[12:13], v0
	v_add_nc_u64_e32 v[20:21], v[10:11], v[46:47]
	s_and_b32 s11, 0xffff, s28
	s_mov_b32 s44, 0
	s_cmp_eq_u32 s11, 0
	s_mov_b32 s42, 0
	s_cselect_b32 s11, -1, 0
                                        ; implicit-def: $sgpr43
	s_wait_dscnt 0x0
	v_add_nc_u64_e32 v[22:23], v[12:13], v[10:11]
	s_branch .LBB8_334
.LBB8_333:                              ;   in Loop: Header=BB8_334 Depth=2
	s_or_b32 exec_lo, exec_lo, s12
	s_delay_alu instid0(VALU_DEP_1) | instskip(SKIP_3) | instid1(SALU_CYCLE_1)
	v_cmp_gt_i32_e32 vcc_lo, 16, v29
	s_or_b32 s42, vcc_lo, s42
	s_and_not1_b32 s12, s43, exec_lo
	s_and_b32 s13, s44, exec_lo
	s_or_b32 s43, s12, s13
	s_and_not1_b32 exec_lo, exec_lo, s42
	s_cbranch_execz .LBB8_407
.LBB8_334:                              ;   Parent Loop BB8_49 Depth=1
                                        ; =>  This Loop Header: Depth=2
                                        ;       Child Loop BB8_335 Depth 3
                                        ;       Child Loop BB8_372 Depth 3
	s_add_co_i32 s12, s33, 0xa0
	s_mov_b64 s[14:15], 0
	s_mov_b32 s45, s12
	s_mov_b32 s46, -1
.LBB8_335:                              ;   Parent Loop BB8_49 Depth=1
                                        ;     Parent Loop BB8_334 Depth=2
                                        ; =>    This Inner Loop Header: Depth=3
	s_cmp_eq_u32 s14, 1
	s_cselect_b32 vcc_lo, -1, 0
	s_cmp_eq_u32 s14, 0
	v_dual_cndmask_b32 v15, v21, v23 :: v_dual_cndmask_b32 v14, v20, v22
	s_cselect_b32 s12, -1, 0
	s_and_b32 s13, exec_lo, s46
	s_mov_b64 s[14:15], 1
	s_mov_b32 s46, 0
	global_load_b128 v[10:13], v[14:15], off th:TH_LOAD_NT
	s_wait_xcnt 0x0
	v_add_nc_u64_e32 v[14:15], 0x200, v[14:15]
	s_delay_alu instid0(VALU_DEP_1)
	v_dual_cndmask_b32 v21, v21, v15, s12 :: v_dual_cndmask_b32 v20, v20, v14, s12
	v_dual_cndmask_b32 v23, v23, v15 :: v_dual_cndmask_b32 v22, v22, v14
	s_mov_b32 vcc_lo, s13
	s_wait_loadcnt 0x0
	scratch_store_b128 off, v[10:13], s45
	s_wait_xcnt 0x0
	s_mov_b32 s45, s24
	s_cbranch_vccnz .LBB8_335
; %bb.336:                              ;   in Loop: Header=BB8_334 Depth=2
	s_and_saveexec_b32 s12, s44
	s_cbranch_execz .LBB8_370
; %bb.337:                              ;   in Loop: Header=BB8_334 Depth=2
	s_clause 0x1
	scratch_load_b128 v[14:17], off, s33 offset:208
	scratch_load_b128 v[10:13], off, s33 offset:192
	s_wait_loadcnt 0x0
	v_lshlrev_b32_e32 v33, 16, v10
	s_delay_alu instid0(VALU_DEP_1) | instskip(NEXT) | instid1(VALU_DEP_1)
	v_dual_max_num_f32 v33, v33, v33 :: v_dual_lshlrev_b32 v32, 16, v14
	v_max_num_f32_e32 v32, v32, v32
	s_delay_alu instid0(VALU_DEP_1) | instskip(NEXT) | instid1(VALU_DEP_1)
	v_dual_min_num_f32 v34, v33, v32 :: v_dual_max_num_f32 v32, v33, v32
	v_cndmask_b32_e64 v33, v32, v34, s11
	s_delay_alu instid0(VALU_DEP_1) | instskip(NEXT) | instid1(VALU_DEP_1)
	v_and_b32_e32 v32, 0x7f800000, v33
	v_cmp_ne_u32_e32 vcc_lo, 0x7f800000, v32
                                        ; implicit-def: $vgpr32
	s_wait_xcnt 0x0
	s_and_saveexec_b32 s13, vcc_lo
	s_delay_alu instid0(SALU_CYCLE_1)
	s_xor_b32 s13, exec_lo, s13
; %bb.338:                              ;   in Loop: Header=BB8_334 Depth=2
	v_bfe_u32 v32, v33, 16, 1
	s_delay_alu instid0(VALU_DEP_1)
	v_add3_u32 v32, v33, v32, 0x7fff
                                        ; implicit-def: $vgpr33
; %bb.339:                              ;   in Loop: Header=BB8_334 Depth=2
	s_and_not1_saveexec_b32 s13, s13
; %bb.340:                              ;   in Loop: Header=BB8_334 Depth=2
	v_and_b32_e32 v32, 0xffff, v33
	v_or_b32_e32 v34, 0x10000, v33
	s_delay_alu instid0(VALU_DEP_2) | instskip(NEXT) | instid1(VALU_DEP_2)
	v_cmp_eq_u32_e32 vcc_lo, 0, v32
	v_cndmask_b32_e32 v32, v34, v33, vcc_lo
; %bb.341:                              ;   in Loop: Header=BB8_334 Depth=2
	s_or_b32 exec_lo, exec_lo, s13
	v_and_b32_e32 v14, 0xffff0000, v14
	v_and_b32_e32 v10, 0xffff0000, v10
	s_delay_alu instid0(VALU_DEP_2) | instskip(NEXT) | instid1(VALU_DEP_2)
	v_max_num_f32_e32 v14, v14, v14
	v_max_num_f32_e32 v10, v10, v10
	s_delay_alu instid0(VALU_DEP_1) | instskip(NEXT) | instid1(VALU_DEP_1)
	v_dual_min_num_f32 v33, v10, v14 :: v_dual_max_num_f32 v10, v10, v14
	v_cndmask_b32_e64 v14, v10, v33, s11
	s_delay_alu instid0(VALU_DEP_1) | instskip(NEXT) | instid1(VALU_DEP_1)
	v_and_b32_e32 v10, 0x7f800000, v14
	v_cmp_ne_u32_e32 vcc_lo, 0x7f800000, v10
                                        ; implicit-def: $vgpr10
	s_and_saveexec_b32 s13, vcc_lo
	s_delay_alu instid0(SALU_CYCLE_1)
	s_xor_b32 s13, exec_lo, s13
; %bb.342:                              ;   in Loop: Header=BB8_334 Depth=2
	v_bfe_u32 v10, v14, 16, 1
	s_delay_alu instid0(VALU_DEP_1)
	v_add3_u32 v10, v14, v10, 0x7fff
                                        ; implicit-def: $vgpr14
; %bb.343:                              ;   in Loop: Header=BB8_334 Depth=2
	s_and_not1_saveexec_b32 s13, s13
; %bb.344:                              ;   in Loop: Header=BB8_334 Depth=2
	v_and_b32_e32 v10, 0xffff, v14
	v_or_b32_e32 v33, 0x10000, v14
	s_delay_alu instid0(VALU_DEP_2) | instskip(NEXT) | instid1(VALU_DEP_2)
	v_cmp_eq_u32_e32 vcc_lo, 0, v10
	v_cndmask_b32_e32 v10, v33, v14, vcc_lo
; %bb.345:                              ;   in Loop: Header=BB8_334 Depth=2
	s_or_b32 exec_lo, exec_lo, s13
	v_lshlrev_b32_e32 v33, 16, v11
	s_delay_alu instid0(VALU_DEP_1) | instskip(NEXT) | instid1(VALU_DEP_1)
	v_dual_max_num_f32 v33, v33, v33 :: v_dual_lshlrev_b32 v14, 16, v15
	v_max_num_f32_e32 v14, v14, v14
	s_delay_alu instid0(VALU_DEP_1) | instskip(NEXT) | instid1(VALU_DEP_1)
	v_dual_min_num_f32 v34, v33, v14 :: v_dual_max_num_f32 v14, v33, v14
	v_cndmask_b32_e64 v33, v14, v34, s11
	s_delay_alu instid0(VALU_DEP_1) | instskip(NEXT) | instid1(VALU_DEP_1)
	v_and_b32_e32 v14, 0x7f800000, v33
	v_cmp_ne_u32_e32 vcc_lo, 0x7f800000, v14
                                        ; implicit-def: $vgpr14
	s_and_saveexec_b32 s13, vcc_lo
	s_delay_alu instid0(SALU_CYCLE_1)
	s_xor_b32 s13, exec_lo, s13
; %bb.346:                              ;   in Loop: Header=BB8_334 Depth=2
	v_bfe_u32 v14, v33, 16, 1
	s_delay_alu instid0(VALU_DEP_1)
	v_add3_u32 v14, v33, v14, 0x7fff
                                        ; implicit-def: $vgpr33
; %bb.347:                              ;   in Loop: Header=BB8_334 Depth=2
	s_and_not1_saveexec_b32 s13, s13
; %bb.348:                              ;   in Loop: Header=BB8_334 Depth=2
	v_and_b32_e32 v14, 0xffff, v33
	v_or_b32_e32 v34, 0x10000, v33
	s_delay_alu instid0(VALU_DEP_2) | instskip(NEXT) | instid1(VALU_DEP_2)
	v_cmp_eq_u32_e32 vcc_lo, 0, v14
	v_cndmask_b32_e32 v14, v34, v33, vcc_lo
; %bb.349:                              ;   in Loop: Header=BB8_334 Depth=2
	s_or_b32 exec_lo, exec_lo, s13
	v_and_b32_e32 v15, 0xffff0000, v15
	v_and_b32_e32 v11, 0xffff0000, v11
	s_delay_alu instid0(VALU_DEP_2) | instskip(NEXT) | instid1(VALU_DEP_2)
	v_max_num_f32_e32 v15, v15, v15
	v_max_num_f32_e32 v11, v11, v11
	s_delay_alu instid0(VALU_DEP_1) | instskip(NEXT) | instid1(VALU_DEP_1)
	v_dual_min_num_f32 v33, v11, v15 :: v_dual_max_num_f32 v11, v11, v15
	v_cndmask_b32_e64 v15, v11, v33, s11
	s_delay_alu instid0(VALU_DEP_1) | instskip(NEXT) | instid1(VALU_DEP_1)
	v_and_b32_e32 v11, 0x7f800000, v15
	v_cmp_ne_u32_e32 vcc_lo, 0x7f800000, v11
                                        ; implicit-def: $vgpr11
	s_and_saveexec_b32 s13, vcc_lo
	s_delay_alu instid0(SALU_CYCLE_1)
	s_xor_b32 s13, exec_lo, s13
; %bb.350:                              ;   in Loop: Header=BB8_334 Depth=2
	v_bfe_u32 v11, v15, 16, 1
	s_delay_alu instid0(VALU_DEP_1)
	v_add3_u32 v11, v15, v11, 0x7fff
                                        ; implicit-def: $vgpr15
; %bb.351:                              ;   in Loop: Header=BB8_334 Depth=2
	s_and_not1_saveexec_b32 s13, s13
; %bb.352:                              ;   in Loop: Header=BB8_334 Depth=2
	v_and_b32_e32 v11, 0xffff, v15
	v_or_b32_e32 v33, 0x10000, v15
	s_delay_alu instid0(VALU_DEP_2) | instskip(NEXT) | instid1(VALU_DEP_2)
	v_cmp_eq_u32_e32 vcc_lo, 0, v11
	v_cndmask_b32_e32 v11, v33, v15, vcc_lo
; %bb.353:                              ;   in Loop: Header=BB8_334 Depth=2
	s_or_b32 exec_lo, exec_lo, s13
	v_lshlrev_b32_e32 v33, 16, v12
	s_delay_alu instid0(VALU_DEP_1) | instskip(NEXT) | instid1(VALU_DEP_1)
	v_dual_lshlrev_b32 v15, 16, v16 :: v_dual_max_num_f32 v33, v33, v33
	v_max_num_f32_e32 v15, v15, v15
	s_delay_alu instid0(VALU_DEP_1) | instskip(NEXT) | instid1(VALU_DEP_1)
	v_dual_min_num_f32 v34, v33, v15 :: v_dual_max_num_f32 v15, v33, v15
	v_cndmask_b32_e64 v33, v15, v34, s11
	s_delay_alu instid0(VALU_DEP_1) | instskip(NEXT) | instid1(VALU_DEP_1)
	v_and_b32_e32 v15, 0x7f800000, v33
	v_cmp_ne_u32_e32 vcc_lo, 0x7f800000, v15
                                        ; implicit-def: $vgpr15
	s_and_saveexec_b32 s13, vcc_lo
	s_delay_alu instid0(SALU_CYCLE_1)
	s_xor_b32 s13, exec_lo, s13
; %bb.354:                              ;   in Loop: Header=BB8_334 Depth=2
	v_bfe_u32 v15, v33, 16, 1
	s_delay_alu instid0(VALU_DEP_1)
	v_add3_u32 v15, v33, v15, 0x7fff
                                        ; implicit-def: $vgpr33
; %bb.355:                              ;   in Loop: Header=BB8_334 Depth=2
	s_and_not1_saveexec_b32 s13, s13
; %bb.356:                              ;   in Loop: Header=BB8_334 Depth=2
	v_and_b32_e32 v15, 0xffff, v33
	v_or_b32_e32 v34, 0x10000, v33
	s_delay_alu instid0(VALU_DEP_2) | instskip(NEXT) | instid1(VALU_DEP_2)
	v_cmp_eq_u32_e32 vcc_lo, 0, v15
	v_cndmask_b32_e32 v15, v34, v33, vcc_lo
; %bb.357:                              ;   in Loop: Header=BB8_334 Depth=2
	s_or_b32 exec_lo, exec_lo, s13
	v_and_b32_e32 v16, 0xffff0000, v16
	v_and_b32_e32 v12, 0xffff0000, v12
	s_delay_alu instid0(VALU_DEP_2) | instskip(NEXT) | instid1(VALU_DEP_2)
	v_max_num_f32_e32 v16, v16, v16
	v_max_num_f32_e32 v12, v12, v12
	s_delay_alu instid0(VALU_DEP_1) | instskip(NEXT) | instid1(VALU_DEP_1)
	v_dual_min_num_f32 v33, v12, v16 :: v_dual_max_num_f32 v12, v12, v16
	v_cndmask_b32_e64 v16, v12, v33, s11
	s_delay_alu instid0(VALU_DEP_1) | instskip(NEXT) | instid1(VALU_DEP_1)
	v_and_b32_e32 v12, 0x7f800000, v16
	v_cmp_ne_u32_e32 vcc_lo, 0x7f800000, v12
                                        ; implicit-def: $vgpr12
	s_and_saveexec_b32 s13, vcc_lo
	s_delay_alu instid0(SALU_CYCLE_1)
	s_xor_b32 s13, exec_lo, s13
; %bb.358:                              ;   in Loop: Header=BB8_334 Depth=2
	v_bfe_u32 v12, v16, 16, 1
	s_delay_alu instid0(VALU_DEP_1)
	v_add3_u32 v12, v16, v12, 0x7fff
                                        ; implicit-def: $vgpr16
; %bb.359:                              ;   in Loop: Header=BB8_334 Depth=2
	s_and_not1_saveexec_b32 s13, s13
; %bb.360:                              ;   in Loop: Header=BB8_334 Depth=2
	v_and_b32_e32 v12, 0xffff, v16
	v_or_b32_e32 v33, 0x10000, v16
	s_delay_alu instid0(VALU_DEP_2) | instskip(NEXT) | instid1(VALU_DEP_2)
	v_cmp_eq_u32_e32 vcc_lo, 0, v12
	v_cndmask_b32_e32 v12, v33, v16, vcc_lo
; %bb.361:                              ;   in Loop: Header=BB8_334 Depth=2
	s_or_b32 exec_lo, exec_lo, s13
	v_lshlrev_b32_e32 v16, 16, v17
	s_delay_alu instid0(VALU_DEP_1) | instskip(NEXT) | instid1(VALU_DEP_1)
	v_dual_max_num_f32 v16, v16, v16 :: v_dual_lshlrev_b32 v33, 16, v13
	v_max_num_f32_e32 v33, v33, v33
	s_delay_alu instid0(VALU_DEP_1) | instskip(NEXT) | instid1(VALU_DEP_1)
	v_dual_min_num_f32 v34, v33, v16 :: v_dual_max_num_f32 v16, v33, v16
	v_cndmask_b32_e64 v33, v16, v34, s11
	s_delay_alu instid0(VALU_DEP_1) | instskip(NEXT) | instid1(VALU_DEP_1)
	v_and_b32_e32 v16, 0x7f800000, v33
	v_cmp_ne_u32_e32 vcc_lo, 0x7f800000, v16
                                        ; implicit-def: $vgpr16
	s_and_saveexec_b32 s13, vcc_lo
	s_delay_alu instid0(SALU_CYCLE_1)
	s_xor_b32 s13, exec_lo, s13
; %bb.362:                              ;   in Loop: Header=BB8_334 Depth=2
	v_bfe_u32 v16, v33, 16, 1
	s_delay_alu instid0(VALU_DEP_1)
	v_add3_u32 v16, v33, v16, 0x7fff
                                        ; implicit-def: $vgpr33
; %bb.363:                              ;   in Loop: Header=BB8_334 Depth=2
	s_and_not1_saveexec_b32 s13, s13
; %bb.364:                              ;   in Loop: Header=BB8_334 Depth=2
	v_and_b32_e32 v16, 0xffff, v33
	v_or_b32_e32 v34, 0x10000, v33
	s_delay_alu instid0(VALU_DEP_2) | instskip(NEXT) | instid1(VALU_DEP_2)
	v_cmp_eq_u32_e32 vcc_lo, 0, v16
	v_cndmask_b32_e32 v16, v34, v33, vcc_lo
; %bb.365:                              ;   in Loop: Header=BB8_334 Depth=2
	s_or_b32 exec_lo, exec_lo, s13
	v_and_b32_e32 v17, 0xffff0000, v17
	v_and_b32_e32 v13, 0xffff0000, v13
	s_delay_alu instid0(VALU_DEP_2) | instskip(NEXT) | instid1(VALU_DEP_2)
	v_max_num_f32_e32 v17, v17, v17
	v_max_num_f32_e32 v13, v13, v13
	s_delay_alu instid0(VALU_DEP_1) | instskip(NEXT) | instid1(VALU_DEP_1)
	v_dual_min_num_f32 v33, v13, v17 :: v_dual_max_num_f32 v13, v13, v17
	v_cndmask_b32_e64 v17, v13, v33, s11
	s_delay_alu instid0(VALU_DEP_1) | instskip(NEXT) | instid1(VALU_DEP_1)
	v_and_b32_e32 v13, 0x7f800000, v17
	v_cmp_ne_u32_e32 vcc_lo, 0x7f800000, v13
                                        ; implicit-def: $vgpr13
	s_and_saveexec_b32 s13, vcc_lo
	s_delay_alu instid0(SALU_CYCLE_1)
	s_xor_b32 s13, exec_lo, s13
; %bb.366:                              ;   in Loop: Header=BB8_334 Depth=2
	v_bfe_u32 v13, v17, 16, 1
	s_delay_alu instid0(VALU_DEP_1)
	v_add3_u32 v13, v17, v13, 0x7fff
                                        ; implicit-def: $vgpr17
; %bb.367:                              ;   in Loop: Header=BB8_334 Depth=2
	s_and_not1_saveexec_b32 s13, s13
; %bb.368:                              ;   in Loop: Header=BB8_334 Depth=2
	v_and_b32_e32 v13, 0xffff, v17
	v_or_b32_e32 v33, 0x10000, v17
	s_delay_alu instid0(VALU_DEP_2) | instskip(NEXT) | instid1(VALU_DEP_2)
	v_cmp_eq_u32_e32 vcc_lo, 0, v13
	v_cndmask_b32_e32 v13, v33, v17, vcc_lo
; %bb.369:                              ;   in Loop: Header=BB8_334 Depth=2
	s_or_b32 exec_lo, exec_lo, s13
	v_dual_lshrrev_b32 v14, 16, v14 :: v_dual_lshrrev_b32 v17, 16, v32
	v_dual_lshrrev_b32 v15, 16, v15 :: v_dual_lshrrev_b32 v16, 16, v16
	s_delay_alu instid0(VALU_DEP_2) | instskip(NEXT) | instid1(VALU_DEP_3)
	v_and_or_b32 v11, 0xffff0000, v11, v14
	v_and_or_b32 v10, 0xffff0000, v10, v17
	s_delay_alu instid0(VALU_DEP_3) | instskip(NEXT) | instid1(VALU_DEP_4)
	v_and_or_b32 v12, 0xffff0000, v12, v15
	v_and_or_b32 v13, 0xffff0000, v13, v16
	global_store_b128 v[18:19], v[10:13], off th:TH_STORE_NT
	s_wait_xcnt 0x0
	v_add_nc_u64_e32 v[18:19], v[116:117], v[18:19]
	scratch_store_b128 off, v[10:13], s33 offset:192
.LBB8_370:                              ;   in Loop: Header=BB8_334 Depth=2
	s_wait_xcnt 0x0
	s_or_b32 exec_lo, exec_lo, s12
	v_sub_nc_u32_e32 v29, v29, v74
	v_add_nc_u64_e32 v[20:21], v[20:21], v[100:101]
	v_add_nc_u64_e32 v[22:23], v[22:23], v[100:101]
	s_delay_alu instid0(VALU_DEP_3)
	v_cmp_lt_i32_e64 s44, 15, v29
	s_and_saveexec_b32 s45, s44
	s_cbranch_execz .LBB8_373
; %bb.371:                              ;   in Loop: Header=BB8_334 Depth=2
	s_add_co_i32 s12, s33, 0xc0
	s_mov_b64 s[14:15], 0
	s_mov_b32 s46, s12
	s_mov_b32 s47, -1
.LBB8_372:                              ;   Parent Loop BB8_49 Depth=1
                                        ;     Parent Loop BB8_334 Depth=2
                                        ; =>    This Inner Loop Header: Depth=3
	s_cmp_eq_u32 s14, 1
	s_cselect_b32 vcc_lo, -1, 0
	s_cmp_eq_u32 s14, 0
	v_dual_cndmask_b32 v15, v21, v23 :: v_dual_cndmask_b32 v14, v20, v22
	s_cselect_b32 s12, -1, 0
	s_and_b32 s13, exec_lo, s47
	s_mov_b64 s[14:15], 1
	s_mov_b32 s47, 0
	global_load_b128 v[10:13], v[14:15], off th:TH_LOAD_NT
	s_wait_xcnt 0x0
	v_add_nc_u64_e32 v[14:15], 0x200, v[14:15]
	s_delay_alu instid0(VALU_DEP_1)
	v_dual_cndmask_b32 v21, v21, v15, s12 :: v_dual_cndmask_b32 v20, v20, v14, s12
	v_dual_cndmask_b32 v23, v23, v15 :: v_dual_cndmask_b32 v22, v22, v14
	s_mov_b32 vcc_lo, s13
	s_wait_loadcnt 0x0
	scratch_store_b128 off, v[10:13], s46
	s_wait_xcnt 0x0
	s_mov_b32 s46, s23
	s_cbranch_vccnz .LBB8_372
.LBB8_373:                              ;   in Loop: Header=BB8_334 Depth=2
	s_or_b32 exec_lo, exec_lo, s45
	s_clause 0x1
	scratch_load_b128 v[14:17], off, s33 offset:176
	scratch_load_b128 v[10:13], off, s33 offset:160
	s_wait_loadcnt 0x0
	v_lshlrev_b32_e32 v33, 16, v10
	s_delay_alu instid0(VALU_DEP_1) | instskip(NEXT) | instid1(VALU_DEP_1)
	v_dual_max_num_f32 v33, v33, v33 :: v_dual_lshlrev_b32 v32, 16, v14
	v_max_num_f32_e32 v32, v32, v32
	s_delay_alu instid0(VALU_DEP_1) | instskip(NEXT) | instid1(VALU_DEP_1)
	v_dual_min_num_f32 v34, v33, v32 :: v_dual_max_num_f32 v32, v33, v32
	v_cndmask_b32_e64 v33, v32, v34, s11
	s_delay_alu instid0(VALU_DEP_1) | instskip(NEXT) | instid1(VALU_DEP_1)
	v_and_b32_e32 v32, 0x7f800000, v33
	v_cmp_ne_u32_e32 vcc_lo, 0x7f800000, v32
                                        ; implicit-def: $vgpr32
	s_wait_xcnt 0x0
	s_and_saveexec_b32 s12, vcc_lo
	s_delay_alu instid0(SALU_CYCLE_1)
	s_xor_b32 s12, exec_lo, s12
; %bb.374:                              ;   in Loop: Header=BB8_334 Depth=2
	v_bfe_u32 v32, v33, 16, 1
	s_delay_alu instid0(VALU_DEP_1)
	v_add3_u32 v32, v33, v32, 0x7fff
                                        ; implicit-def: $vgpr33
; %bb.375:                              ;   in Loop: Header=BB8_334 Depth=2
	s_and_not1_saveexec_b32 s12, s12
; %bb.376:                              ;   in Loop: Header=BB8_334 Depth=2
	v_and_b32_e32 v32, 0xffff, v33
	v_or_b32_e32 v34, 0x10000, v33
	s_delay_alu instid0(VALU_DEP_2) | instskip(NEXT) | instid1(VALU_DEP_2)
	v_cmp_eq_u32_e32 vcc_lo, 0, v32
	v_cndmask_b32_e32 v32, v34, v33, vcc_lo
; %bb.377:                              ;   in Loop: Header=BB8_334 Depth=2
	s_or_b32 exec_lo, exec_lo, s12
	v_and_b32_e32 v14, 0xffff0000, v14
	v_and_b32_e32 v10, 0xffff0000, v10
	s_delay_alu instid0(VALU_DEP_2) | instskip(NEXT) | instid1(VALU_DEP_2)
	v_max_num_f32_e32 v14, v14, v14
	v_max_num_f32_e32 v10, v10, v10
	s_delay_alu instid0(VALU_DEP_1) | instskip(NEXT) | instid1(VALU_DEP_1)
	v_dual_min_num_f32 v33, v10, v14 :: v_dual_max_num_f32 v10, v10, v14
	v_cndmask_b32_e64 v14, v10, v33, s11
	s_delay_alu instid0(VALU_DEP_1) | instskip(NEXT) | instid1(VALU_DEP_1)
	v_and_b32_e32 v10, 0x7f800000, v14
	v_cmp_ne_u32_e32 vcc_lo, 0x7f800000, v10
                                        ; implicit-def: $vgpr10
	s_and_saveexec_b32 s12, vcc_lo
	s_delay_alu instid0(SALU_CYCLE_1)
	s_xor_b32 s12, exec_lo, s12
; %bb.378:                              ;   in Loop: Header=BB8_334 Depth=2
	v_bfe_u32 v10, v14, 16, 1
	s_delay_alu instid0(VALU_DEP_1)
	v_add3_u32 v10, v14, v10, 0x7fff
                                        ; implicit-def: $vgpr14
; %bb.379:                              ;   in Loop: Header=BB8_334 Depth=2
	s_and_not1_saveexec_b32 s12, s12
; %bb.380:                              ;   in Loop: Header=BB8_334 Depth=2
	v_and_b32_e32 v10, 0xffff, v14
	v_or_b32_e32 v33, 0x10000, v14
	s_delay_alu instid0(VALU_DEP_2) | instskip(NEXT) | instid1(VALU_DEP_2)
	v_cmp_eq_u32_e32 vcc_lo, 0, v10
	v_cndmask_b32_e32 v10, v33, v14, vcc_lo
; %bb.381:                              ;   in Loop: Header=BB8_334 Depth=2
	s_or_b32 exec_lo, exec_lo, s12
	v_lshlrev_b32_e32 v33, 16, v11
	s_delay_alu instid0(VALU_DEP_1) | instskip(NEXT) | instid1(VALU_DEP_1)
	v_dual_max_num_f32 v33, v33, v33 :: v_dual_lshlrev_b32 v14, 16, v15
	v_max_num_f32_e32 v14, v14, v14
	s_delay_alu instid0(VALU_DEP_1) | instskip(NEXT) | instid1(VALU_DEP_1)
	v_dual_min_num_f32 v34, v33, v14 :: v_dual_max_num_f32 v14, v33, v14
	v_cndmask_b32_e64 v33, v14, v34, s11
	s_delay_alu instid0(VALU_DEP_1) | instskip(NEXT) | instid1(VALU_DEP_1)
	v_and_b32_e32 v14, 0x7f800000, v33
	v_cmp_ne_u32_e32 vcc_lo, 0x7f800000, v14
                                        ; implicit-def: $vgpr14
	s_and_saveexec_b32 s12, vcc_lo
	s_delay_alu instid0(SALU_CYCLE_1)
	s_xor_b32 s12, exec_lo, s12
; %bb.382:                              ;   in Loop: Header=BB8_334 Depth=2
	v_bfe_u32 v14, v33, 16, 1
	s_delay_alu instid0(VALU_DEP_1)
	v_add3_u32 v14, v33, v14, 0x7fff
                                        ; implicit-def: $vgpr33
; %bb.383:                              ;   in Loop: Header=BB8_334 Depth=2
	s_and_not1_saveexec_b32 s12, s12
; %bb.384:                              ;   in Loop: Header=BB8_334 Depth=2
	v_and_b32_e32 v14, 0xffff, v33
	v_or_b32_e32 v34, 0x10000, v33
	s_delay_alu instid0(VALU_DEP_2) | instskip(NEXT) | instid1(VALU_DEP_2)
	v_cmp_eq_u32_e32 vcc_lo, 0, v14
	v_cndmask_b32_e32 v14, v34, v33, vcc_lo
; %bb.385:                              ;   in Loop: Header=BB8_334 Depth=2
	s_or_b32 exec_lo, exec_lo, s12
	v_and_b32_e32 v15, 0xffff0000, v15
	v_and_b32_e32 v11, 0xffff0000, v11
	s_delay_alu instid0(VALU_DEP_2) | instskip(NEXT) | instid1(VALU_DEP_2)
	v_max_num_f32_e32 v15, v15, v15
	v_max_num_f32_e32 v11, v11, v11
	s_delay_alu instid0(VALU_DEP_1) | instskip(NEXT) | instid1(VALU_DEP_1)
	v_dual_min_num_f32 v33, v11, v15 :: v_dual_max_num_f32 v11, v11, v15
	v_cndmask_b32_e64 v15, v11, v33, s11
	s_delay_alu instid0(VALU_DEP_1) | instskip(NEXT) | instid1(VALU_DEP_1)
	v_and_b32_e32 v11, 0x7f800000, v15
	v_cmp_ne_u32_e32 vcc_lo, 0x7f800000, v11
                                        ; implicit-def: $vgpr11
	s_and_saveexec_b32 s12, vcc_lo
	s_delay_alu instid0(SALU_CYCLE_1)
	s_xor_b32 s12, exec_lo, s12
; %bb.386:                              ;   in Loop: Header=BB8_334 Depth=2
	v_bfe_u32 v11, v15, 16, 1
	s_delay_alu instid0(VALU_DEP_1)
	v_add3_u32 v11, v15, v11, 0x7fff
                                        ; implicit-def: $vgpr15
; %bb.387:                              ;   in Loop: Header=BB8_334 Depth=2
	s_and_not1_saveexec_b32 s12, s12
; %bb.388:                              ;   in Loop: Header=BB8_334 Depth=2
	v_and_b32_e32 v11, 0xffff, v15
	v_or_b32_e32 v33, 0x10000, v15
	s_delay_alu instid0(VALU_DEP_2) | instskip(NEXT) | instid1(VALU_DEP_2)
	v_cmp_eq_u32_e32 vcc_lo, 0, v11
	v_cndmask_b32_e32 v11, v33, v15, vcc_lo
; %bb.389:                              ;   in Loop: Header=BB8_334 Depth=2
	s_or_b32 exec_lo, exec_lo, s12
	v_lshlrev_b32_e32 v33, 16, v12
	s_delay_alu instid0(VALU_DEP_1) | instskip(NEXT) | instid1(VALU_DEP_1)
	v_dual_lshlrev_b32 v15, 16, v16 :: v_dual_max_num_f32 v33, v33, v33
	v_max_num_f32_e32 v15, v15, v15
	s_delay_alu instid0(VALU_DEP_1) | instskip(NEXT) | instid1(VALU_DEP_1)
	v_dual_min_num_f32 v34, v33, v15 :: v_dual_max_num_f32 v15, v33, v15
	v_cndmask_b32_e64 v33, v15, v34, s11
	s_delay_alu instid0(VALU_DEP_1) | instskip(NEXT) | instid1(VALU_DEP_1)
	v_and_b32_e32 v15, 0x7f800000, v33
	v_cmp_ne_u32_e32 vcc_lo, 0x7f800000, v15
                                        ; implicit-def: $vgpr15
	s_and_saveexec_b32 s12, vcc_lo
	s_delay_alu instid0(SALU_CYCLE_1)
	s_xor_b32 s12, exec_lo, s12
; %bb.390:                              ;   in Loop: Header=BB8_334 Depth=2
	v_bfe_u32 v15, v33, 16, 1
	s_delay_alu instid0(VALU_DEP_1)
	v_add3_u32 v15, v33, v15, 0x7fff
                                        ; implicit-def: $vgpr33
; %bb.391:                              ;   in Loop: Header=BB8_334 Depth=2
	s_and_not1_saveexec_b32 s12, s12
; %bb.392:                              ;   in Loop: Header=BB8_334 Depth=2
	v_and_b32_e32 v15, 0xffff, v33
	v_or_b32_e32 v34, 0x10000, v33
	s_delay_alu instid0(VALU_DEP_2) | instskip(NEXT) | instid1(VALU_DEP_2)
	v_cmp_eq_u32_e32 vcc_lo, 0, v15
	v_cndmask_b32_e32 v15, v34, v33, vcc_lo
; %bb.393:                              ;   in Loop: Header=BB8_334 Depth=2
	s_or_b32 exec_lo, exec_lo, s12
	v_and_b32_e32 v16, 0xffff0000, v16
	v_and_b32_e32 v12, 0xffff0000, v12
	s_delay_alu instid0(VALU_DEP_2) | instskip(NEXT) | instid1(VALU_DEP_2)
	v_max_num_f32_e32 v16, v16, v16
	v_max_num_f32_e32 v12, v12, v12
	s_delay_alu instid0(VALU_DEP_1) | instskip(NEXT) | instid1(VALU_DEP_1)
	v_dual_min_num_f32 v33, v12, v16 :: v_dual_max_num_f32 v12, v12, v16
	v_cndmask_b32_e64 v16, v12, v33, s11
	s_delay_alu instid0(VALU_DEP_1) | instskip(NEXT) | instid1(VALU_DEP_1)
	v_and_b32_e32 v12, 0x7f800000, v16
	v_cmp_ne_u32_e32 vcc_lo, 0x7f800000, v12
                                        ; implicit-def: $vgpr12
	s_and_saveexec_b32 s12, vcc_lo
	s_delay_alu instid0(SALU_CYCLE_1)
	s_xor_b32 s12, exec_lo, s12
; %bb.394:                              ;   in Loop: Header=BB8_334 Depth=2
	v_bfe_u32 v12, v16, 16, 1
	s_delay_alu instid0(VALU_DEP_1)
	v_add3_u32 v12, v16, v12, 0x7fff
                                        ; implicit-def: $vgpr16
; %bb.395:                              ;   in Loop: Header=BB8_334 Depth=2
	s_and_not1_saveexec_b32 s12, s12
; %bb.396:                              ;   in Loop: Header=BB8_334 Depth=2
	v_and_b32_e32 v12, 0xffff, v16
	v_or_b32_e32 v33, 0x10000, v16
	s_delay_alu instid0(VALU_DEP_2) | instskip(NEXT) | instid1(VALU_DEP_2)
	v_cmp_eq_u32_e32 vcc_lo, 0, v12
	v_cndmask_b32_e32 v12, v33, v16, vcc_lo
; %bb.397:                              ;   in Loop: Header=BB8_334 Depth=2
	s_or_b32 exec_lo, exec_lo, s12
	v_lshlrev_b32_e32 v16, 16, v17
	s_delay_alu instid0(VALU_DEP_1) | instskip(NEXT) | instid1(VALU_DEP_1)
	v_dual_max_num_f32 v16, v16, v16 :: v_dual_lshlrev_b32 v33, 16, v13
	v_max_num_f32_e32 v33, v33, v33
	s_delay_alu instid0(VALU_DEP_1) | instskip(NEXT) | instid1(VALU_DEP_1)
	v_dual_min_num_f32 v34, v33, v16 :: v_dual_max_num_f32 v16, v33, v16
	v_cndmask_b32_e64 v33, v16, v34, s11
	s_delay_alu instid0(VALU_DEP_1) | instskip(NEXT) | instid1(VALU_DEP_1)
	v_and_b32_e32 v16, 0x7f800000, v33
	v_cmp_ne_u32_e32 vcc_lo, 0x7f800000, v16
                                        ; implicit-def: $vgpr16
	s_and_saveexec_b32 s12, vcc_lo
	s_delay_alu instid0(SALU_CYCLE_1)
	s_xor_b32 s12, exec_lo, s12
; %bb.398:                              ;   in Loop: Header=BB8_334 Depth=2
	v_bfe_u32 v16, v33, 16, 1
	s_delay_alu instid0(VALU_DEP_1)
	v_add3_u32 v16, v33, v16, 0x7fff
                                        ; implicit-def: $vgpr33
; %bb.399:                              ;   in Loop: Header=BB8_334 Depth=2
	s_and_not1_saveexec_b32 s12, s12
; %bb.400:                              ;   in Loop: Header=BB8_334 Depth=2
	v_and_b32_e32 v16, 0xffff, v33
	v_or_b32_e32 v34, 0x10000, v33
	s_delay_alu instid0(VALU_DEP_2) | instskip(NEXT) | instid1(VALU_DEP_2)
	v_cmp_eq_u32_e32 vcc_lo, 0, v16
	v_cndmask_b32_e32 v16, v34, v33, vcc_lo
; %bb.401:                              ;   in Loop: Header=BB8_334 Depth=2
	s_or_b32 exec_lo, exec_lo, s12
	v_and_b32_e32 v17, 0xffff0000, v17
	v_and_b32_e32 v13, 0xffff0000, v13
	s_delay_alu instid0(VALU_DEP_2) | instskip(NEXT) | instid1(VALU_DEP_2)
	v_max_num_f32_e32 v17, v17, v17
	v_max_num_f32_e32 v13, v13, v13
	s_delay_alu instid0(VALU_DEP_1) | instskip(NEXT) | instid1(VALU_DEP_1)
	v_dual_min_num_f32 v33, v13, v17 :: v_dual_max_num_f32 v13, v13, v17
	v_cndmask_b32_e64 v17, v13, v33, s11
	s_delay_alu instid0(VALU_DEP_1) | instskip(NEXT) | instid1(VALU_DEP_1)
	v_and_b32_e32 v13, 0x7f800000, v17
	v_cmp_ne_u32_e32 vcc_lo, 0x7f800000, v13
                                        ; implicit-def: $vgpr13
	s_and_saveexec_b32 s12, vcc_lo
	s_delay_alu instid0(SALU_CYCLE_1)
	s_xor_b32 s12, exec_lo, s12
; %bb.402:                              ;   in Loop: Header=BB8_334 Depth=2
	v_bfe_u32 v13, v17, 16, 1
	s_delay_alu instid0(VALU_DEP_1)
	v_add3_u32 v13, v17, v13, 0x7fff
                                        ; implicit-def: $vgpr17
; %bb.403:                              ;   in Loop: Header=BB8_334 Depth=2
	s_and_not1_saveexec_b32 s12, s12
; %bb.404:                              ;   in Loop: Header=BB8_334 Depth=2
	v_and_b32_e32 v13, 0xffff, v17
	v_or_b32_e32 v33, 0x10000, v17
	s_delay_alu instid0(VALU_DEP_2) | instskip(NEXT) | instid1(VALU_DEP_2)
	v_cmp_eq_u32_e32 vcc_lo, 0, v13
	v_cndmask_b32_e32 v13, v33, v17, vcc_lo
; %bb.405:                              ;   in Loop: Header=BB8_334 Depth=2
	s_or_b32 exec_lo, exec_lo, s12
	v_dual_lshrrev_b32 v14, 16, v14 :: v_dual_lshrrev_b32 v17, 16, v32
	v_dual_lshrrev_b32 v15, 16, v15 :: v_dual_lshrrev_b32 v16, 16, v16
	v_sub_nc_u32_e32 v28, v28, v96
	s_delay_alu instid0(VALU_DEP_3) | instskip(NEXT) | instid1(VALU_DEP_4)
	v_and_or_b32 v11, 0xffff0000, v11, v14
	v_and_or_b32 v10, 0xffff0000, v10, v17
	s_delay_alu instid0(VALU_DEP_4)
	v_and_or_b32 v12, 0xffff0000, v12, v15
	v_and_or_b32 v13, 0xffff0000, v13, v16
	global_store_b128 v[18:19], v[10:13], off th:TH_STORE_NT
	s_wait_xcnt 0x0
	v_add_nc_u64_e32 v[18:19], 0x200, v[18:19]
	scratch_store_b128 off, v[10:13], s33 offset:160
	s_wait_xcnt 0x0
	s_and_saveexec_b32 s12, s44
	s_cbranch_execz .LBB8_333
; %bb.406:                              ;   in Loop: Header=BB8_334 Depth=2
	v_add_nc_u64_e32 v[20:21], v[20:21], v[100:101]
	v_add_nc_u64_e32 v[22:23], v[22:23], v[100:101]
	;; [unrolled: 1-line block ×3, first 2 shown]
	v_dual_sub_nc_u32 v29, v29, v74 :: v_dual_sub_nc_u32 v28, v28, v96
	s_branch .LBB8_333
.LBB8_407:                              ;   in Loop: Header=BB8_49 Depth=1
	s_or_b32 exec_lo, exec_lo, s42
	s_delay_alu instid0(SALU_CYCLE_1)
	s_and_b32 s11, s43, exec_lo
.LBB8_408:                              ;   in Loop: Header=BB8_49 Depth=1
	s_or_b32 exec_lo, exec_lo, s41
	s_and_saveexec_b32 s12, s11
	s_cbranch_execz .LBB8_442
; %bb.409:                              ;   in Loop: Header=BB8_49 Depth=1
	s_clause 0x1
	scratch_load_b128 v[14:17], off, s33 offset:208
	scratch_load_b128 v[10:13], off, s33 offset:192
	s_and_b32 s11, 0xffff, s28
	s_delay_alu instid0(SALU_CYCLE_1) | instskip(SKIP_3) | instid1(VALU_DEP_1)
	s_cmp_eq_u32 s11, 0
	s_cselect_b32 vcc_lo, -1, 0
	s_wait_loadcnt 0x0
	v_lshlrev_b32_e32 v21, 16, v10
	v_dual_max_num_f32 v21, v21, v21 :: v_dual_lshlrev_b32 v20, 16, v14
	s_delay_alu instid0(VALU_DEP_1) | instskip(NEXT) | instid1(VALU_DEP_1)
	v_max_num_f32_e32 v20, v20, v20
	v_dual_min_num_f32 v22, v21, v20 :: v_dual_max_num_f32 v20, v21, v20
	s_delay_alu instid0(VALU_DEP_1) | instskip(NEXT) | instid1(VALU_DEP_1)
	v_cndmask_b32_e32 v21, v20, v22, vcc_lo
	v_and_b32_e32 v20, 0x7f800000, v21
	s_delay_alu instid0(VALU_DEP_1) | instskip(SKIP_2) | instid1(SALU_CYCLE_1)
	v_cmp_ne_u32_e64 s11, 0x7f800000, v20
                                        ; implicit-def: $vgpr20
	s_wait_xcnt 0x0
	s_and_saveexec_b32 s13, s11
	s_xor_b32 s11, exec_lo, s13
; %bb.410:                              ;   in Loop: Header=BB8_49 Depth=1
	v_bfe_u32 v20, v21, 16, 1
	s_delay_alu instid0(VALU_DEP_1)
	v_add3_u32 v20, v21, v20, 0x7fff
                                        ; implicit-def: $vgpr21
; %bb.411:                              ;   in Loop: Header=BB8_49 Depth=1
	s_and_not1_saveexec_b32 s13, s11
; %bb.412:                              ;   in Loop: Header=BB8_49 Depth=1
	v_and_b32_e32 v20, 0xffff, v21
	v_or_b32_e32 v22, 0x10000, v21
	s_delay_alu instid0(VALU_DEP_2) | instskip(NEXT) | instid1(VALU_DEP_1)
	v_cmp_eq_u32_e64 s11, 0, v20
	v_cndmask_b32_e64 v20, v22, v21, s11
; %bb.413:                              ;   in Loop: Header=BB8_49 Depth=1
	s_or_b32 exec_lo, exec_lo, s13
	v_and_b32_e32 v14, 0xffff0000, v14
	v_and_b32_e32 v10, 0xffff0000, v10
	s_delay_alu instid0(VALU_DEP_2) | instskip(NEXT) | instid1(VALU_DEP_2)
	v_max_num_f32_e32 v14, v14, v14
	v_max_num_f32_e32 v10, v10, v10
	s_delay_alu instid0(VALU_DEP_1) | instskip(NEXT) | instid1(VALU_DEP_1)
	v_dual_min_num_f32 v21, v10, v14 :: v_dual_max_num_f32 v10, v10, v14
	v_cndmask_b32_e32 v14, v10, v21, vcc_lo
	s_delay_alu instid0(VALU_DEP_1) | instskip(NEXT) | instid1(VALU_DEP_1)
	v_and_b32_e32 v10, 0x7f800000, v14
	v_cmp_ne_u32_e64 s11, 0x7f800000, v10
                                        ; implicit-def: $vgpr10
	s_and_saveexec_b32 s13, s11
	s_delay_alu instid0(SALU_CYCLE_1)
	s_xor_b32 s11, exec_lo, s13
; %bb.414:                              ;   in Loop: Header=BB8_49 Depth=1
	v_bfe_u32 v10, v14, 16, 1
	s_delay_alu instid0(VALU_DEP_1)
	v_add3_u32 v10, v14, v10, 0x7fff
                                        ; implicit-def: $vgpr14
; %bb.415:                              ;   in Loop: Header=BB8_49 Depth=1
	s_and_not1_saveexec_b32 s13, s11
; %bb.416:                              ;   in Loop: Header=BB8_49 Depth=1
	v_and_b32_e32 v10, 0xffff, v14
	v_or_b32_e32 v21, 0x10000, v14
	s_delay_alu instid0(VALU_DEP_2) | instskip(NEXT) | instid1(VALU_DEP_1)
	v_cmp_eq_u32_e64 s11, 0, v10
	v_cndmask_b32_e64 v10, v21, v14, s11
; %bb.417:                              ;   in Loop: Header=BB8_49 Depth=1
	s_or_b32 exec_lo, exec_lo, s13
	v_lshlrev_b32_e32 v21, 16, v11
	s_delay_alu instid0(VALU_DEP_1) | instskip(NEXT) | instid1(VALU_DEP_1)
	v_dual_max_num_f32 v21, v21, v21 :: v_dual_lshlrev_b32 v14, 16, v15
	v_max_num_f32_e32 v14, v14, v14
	s_delay_alu instid0(VALU_DEP_1) | instskip(NEXT) | instid1(VALU_DEP_1)
	v_dual_min_num_f32 v22, v21, v14 :: v_dual_max_num_f32 v14, v21, v14
	v_cndmask_b32_e32 v21, v14, v22, vcc_lo
	s_delay_alu instid0(VALU_DEP_1) | instskip(NEXT) | instid1(VALU_DEP_1)
	v_and_b32_e32 v14, 0x7f800000, v21
	v_cmp_ne_u32_e64 s11, 0x7f800000, v14
                                        ; implicit-def: $vgpr14
	s_and_saveexec_b32 s13, s11
	s_delay_alu instid0(SALU_CYCLE_1)
	s_xor_b32 s11, exec_lo, s13
; %bb.418:                              ;   in Loop: Header=BB8_49 Depth=1
	v_bfe_u32 v14, v21, 16, 1
	s_delay_alu instid0(VALU_DEP_1)
	v_add3_u32 v14, v21, v14, 0x7fff
                                        ; implicit-def: $vgpr21
; %bb.419:                              ;   in Loop: Header=BB8_49 Depth=1
	s_and_not1_saveexec_b32 s13, s11
; %bb.420:                              ;   in Loop: Header=BB8_49 Depth=1
	v_and_b32_e32 v14, 0xffff, v21
	v_or_b32_e32 v22, 0x10000, v21
	s_delay_alu instid0(VALU_DEP_2) | instskip(NEXT) | instid1(VALU_DEP_1)
	v_cmp_eq_u32_e64 s11, 0, v14
	v_cndmask_b32_e64 v14, v22, v21, s11
; %bb.421:                              ;   in Loop: Header=BB8_49 Depth=1
	s_or_b32 exec_lo, exec_lo, s13
	v_and_b32_e32 v15, 0xffff0000, v15
	v_and_b32_e32 v11, 0xffff0000, v11
	s_delay_alu instid0(VALU_DEP_2) | instskip(NEXT) | instid1(VALU_DEP_2)
	v_max_num_f32_e32 v15, v15, v15
	v_max_num_f32_e32 v11, v11, v11
	s_delay_alu instid0(VALU_DEP_1) | instskip(NEXT) | instid1(VALU_DEP_1)
	v_dual_min_num_f32 v21, v11, v15 :: v_dual_max_num_f32 v11, v11, v15
	v_cndmask_b32_e32 v15, v11, v21, vcc_lo
	s_delay_alu instid0(VALU_DEP_1) | instskip(NEXT) | instid1(VALU_DEP_1)
	v_and_b32_e32 v11, 0x7f800000, v15
	v_cmp_ne_u32_e64 s11, 0x7f800000, v11
                                        ; implicit-def: $vgpr11
	s_and_saveexec_b32 s13, s11
	s_delay_alu instid0(SALU_CYCLE_1)
	s_xor_b32 s11, exec_lo, s13
; %bb.422:                              ;   in Loop: Header=BB8_49 Depth=1
	v_bfe_u32 v11, v15, 16, 1
	s_delay_alu instid0(VALU_DEP_1)
	v_add3_u32 v11, v15, v11, 0x7fff
                                        ; implicit-def: $vgpr15
; %bb.423:                              ;   in Loop: Header=BB8_49 Depth=1
	s_and_not1_saveexec_b32 s13, s11
; %bb.424:                              ;   in Loop: Header=BB8_49 Depth=1
	v_and_b32_e32 v11, 0xffff, v15
	v_or_b32_e32 v21, 0x10000, v15
	s_delay_alu instid0(VALU_DEP_2) | instskip(NEXT) | instid1(VALU_DEP_1)
	v_cmp_eq_u32_e64 s11, 0, v11
	v_cndmask_b32_e64 v11, v21, v15, s11
; %bb.425:                              ;   in Loop: Header=BB8_49 Depth=1
	s_or_b32 exec_lo, exec_lo, s13
	v_lshlrev_b32_e32 v21, 16, v12
	s_delay_alu instid0(VALU_DEP_1) | instskip(NEXT) | instid1(VALU_DEP_1)
	v_dual_lshlrev_b32 v15, 16, v16 :: v_dual_max_num_f32 v21, v21, v21
	v_max_num_f32_e32 v15, v15, v15
	s_delay_alu instid0(VALU_DEP_1) | instskip(NEXT) | instid1(VALU_DEP_1)
	v_dual_min_num_f32 v22, v21, v15 :: v_dual_max_num_f32 v15, v21, v15
	v_cndmask_b32_e32 v21, v15, v22, vcc_lo
	s_delay_alu instid0(VALU_DEP_1) | instskip(NEXT) | instid1(VALU_DEP_1)
	v_and_b32_e32 v15, 0x7f800000, v21
	v_cmp_ne_u32_e64 s11, 0x7f800000, v15
                                        ; implicit-def: $vgpr15
	s_and_saveexec_b32 s13, s11
	s_delay_alu instid0(SALU_CYCLE_1)
	s_xor_b32 s11, exec_lo, s13
; %bb.426:                              ;   in Loop: Header=BB8_49 Depth=1
	v_bfe_u32 v15, v21, 16, 1
	s_delay_alu instid0(VALU_DEP_1)
	v_add3_u32 v15, v21, v15, 0x7fff
                                        ; implicit-def: $vgpr21
; %bb.427:                              ;   in Loop: Header=BB8_49 Depth=1
	s_and_not1_saveexec_b32 s13, s11
; %bb.428:                              ;   in Loop: Header=BB8_49 Depth=1
	v_and_b32_e32 v15, 0xffff, v21
	v_or_b32_e32 v22, 0x10000, v21
	s_delay_alu instid0(VALU_DEP_2) | instskip(NEXT) | instid1(VALU_DEP_1)
	v_cmp_eq_u32_e64 s11, 0, v15
	v_cndmask_b32_e64 v15, v22, v21, s11
; %bb.429:                              ;   in Loop: Header=BB8_49 Depth=1
	s_or_b32 exec_lo, exec_lo, s13
	v_and_b32_e32 v16, 0xffff0000, v16
	v_and_b32_e32 v12, 0xffff0000, v12
	s_delay_alu instid0(VALU_DEP_2) | instskip(NEXT) | instid1(VALU_DEP_2)
	v_max_num_f32_e32 v16, v16, v16
	v_max_num_f32_e32 v12, v12, v12
	s_delay_alu instid0(VALU_DEP_1) | instskip(NEXT) | instid1(VALU_DEP_1)
	v_dual_min_num_f32 v21, v12, v16 :: v_dual_max_num_f32 v12, v12, v16
	v_cndmask_b32_e32 v16, v12, v21, vcc_lo
	s_delay_alu instid0(VALU_DEP_1) | instskip(NEXT) | instid1(VALU_DEP_1)
	v_and_b32_e32 v12, 0x7f800000, v16
	v_cmp_ne_u32_e64 s11, 0x7f800000, v12
                                        ; implicit-def: $vgpr12
	s_and_saveexec_b32 s13, s11
	s_delay_alu instid0(SALU_CYCLE_1)
	s_xor_b32 s11, exec_lo, s13
; %bb.430:                              ;   in Loop: Header=BB8_49 Depth=1
	v_bfe_u32 v12, v16, 16, 1
	s_delay_alu instid0(VALU_DEP_1)
	v_add3_u32 v12, v16, v12, 0x7fff
                                        ; implicit-def: $vgpr16
; %bb.431:                              ;   in Loop: Header=BB8_49 Depth=1
	s_and_not1_saveexec_b32 s13, s11
; %bb.432:                              ;   in Loop: Header=BB8_49 Depth=1
	v_and_b32_e32 v12, 0xffff, v16
	v_or_b32_e32 v21, 0x10000, v16
	s_delay_alu instid0(VALU_DEP_2) | instskip(NEXT) | instid1(VALU_DEP_1)
	v_cmp_eq_u32_e64 s11, 0, v12
	v_cndmask_b32_e64 v12, v21, v16, s11
; %bb.433:                              ;   in Loop: Header=BB8_49 Depth=1
	s_or_b32 exec_lo, exec_lo, s13
	v_lshlrev_b32_e32 v16, 16, v17
	s_delay_alu instid0(VALU_DEP_1) | instskip(NEXT) | instid1(VALU_DEP_1)
	v_dual_max_num_f32 v16, v16, v16 :: v_dual_lshlrev_b32 v21, 16, v13
	v_max_num_f32_e32 v21, v21, v21
	s_delay_alu instid0(VALU_DEP_1) | instskip(NEXT) | instid1(VALU_DEP_1)
	v_dual_min_num_f32 v22, v21, v16 :: v_dual_max_num_f32 v16, v21, v16
	v_cndmask_b32_e32 v21, v16, v22, vcc_lo
	s_delay_alu instid0(VALU_DEP_1) | instskip(NEXT) | instid1(VALU_DEP_1)
	v_and_b32_e32 v16, 0x7f800000, v21
	v_cmp_ne_u32_e64 s11, 0x7f800000, v16
                                        ; implicit-def: $vgpr16
	s_and_saveexec_b32 s13, s11
	s_delay_alu instid0(SALU_CYCLE_1)
	s_xor_b32 s11, exec_lo, s13
; %bb.434:                              ;   in Loop: Header=BB8_49 Depth=1
	v_bfe_u32 v16, v21, 16, 1
	s_delay_alu instid0(VALU_DEP_1)
	v_add3_u32 v16, v21, v16, 0x7fff
                                        ; implicit-def: $vgpr21
; %bb.435:                              ;   in Loop: Header=BB8_49 Depth=1
	s_and_not1_saveexec_b32 s13, s11
; %bb.436:                              ;   in Loop: Header=BB8_49 Depth=1
	v_and_b32_e32 v16, 0xffff, v21
	v_or_b32_e32 v22, 0x10000, v21
	s_delay_alu instid0(VALU_DEP_2) | instskip(NEXT) | instid1(VALU_DEP_1)
	v_cmp_eq_u32_e64 s11, 0, v16
	v_cndmask_b32_e64 v16, v22, v21, s11
; %bb.437:                              ;   in Loop: Header=BB8_49 Depth=1
	s_or_b32 exec_lo, exec_lo, s13
	v_and_b32_e32 v17, 0xffff0000, v17
	v_and_b32_e32 v13, 0xffff0000, v13
	s_delay_alu instid0(VALU_DEP_2) | instskip(NEXT) | instid1(VALU_DEP_2)
	v_max_num_f32_e32 v17, v17, v17
	v_max_num_f32_e32 v13, v13, v13
	s_delay_alu instid0(VALU_DEP_1) | instskip(NEXT) | instid1(VALU_DEP_1)
	v_dual_min_num_f32 v21, v13, v17 :: v_dual_max_num_f32 v13, v13, v17
	v_cndmask_b32_e32 v17, v13, v21, vcc_lo
	s_delay_alu instid0(VALU_DEP_1) | instskip(NEXT) | instid1(VALU_DEP_1)
	v_and_b32_e32 v13, 0x7f800000, v17
	v_cmp_ne_u32_e32 vcc_lo, 0x7f800000, v13
                                        ; implicit-def: $vgpr13
	s_and_saveexec_b32 s11, vcc_lo
	s_delay_alu instid0(SALU_CYCLE_1)
	s_xor_b32 s11, exec_lo, s11
; %bb.438:                              ;   in Loop: Header=BB8_49 Depth=1
	v_bfe_u32 v13, v17, 16, 1
	s_delay_alu instid0(VALU_DEP_1)
	v_add3_u32 v13, v17, v13, 0x7fff
                                        ; implicit-def: $vgpr17
; %bb.439:                              ;   in Loop: Header=BB8_49 Depth=1
	s_and_not1_saveexec_b32 s11, s11
; %bb.440:                              ;   in Loop: Header=BB8_49 Depth=1
	v_and_b32_e32 v13, 0xffff, v17
	v_or_b32_e32 v21, 0x10000, v17
	s_delay_alu instid0(VALU_DEP_2) | instskip(NEXT) | instid1(VALU_DEP_2)
	v_cmp_eq_u32_e32 vcc_lo, 0, v13
	v_cndmask_b32_e32 v13, v21, v17, vcc_lo
; %bb.441:                              ;   in Loop: Header=BB8_49 Depth=1
	s_or_b32 exec_lo, exec_lo, s11
	v_dual_lshrrev_b32 v14, 16, v14 :: v_dual_lshrrev_b32 v17, 16, v20
	v_dual_lshrrev_b32 v15, 16, v15 :: v_dual_lshrrev_b32 v16, 16, v16
	s_delay_alu instid0(VALU_DEP_2) | instskip(NEXT) | instid1(VALU_DEP_3)
	v_and_or_b32 v11, 0xffff0000, v11, v14
	v_and_or_b32 v10, 0xffff0000, v10, v17
	s_delay_alu instid0(VALU_DEP_3) | instskip(NEXT) | instid1(VALU_DEP_4)
	v_and_or_b32 v12, 0xffff0000, v12, v15
	v_and_or_b32 v13, 0xffff0000, v13, v16
	global_store_b128 v[18:19], v[10:13], off th:TH_STORE_NT
.LBB8_442:                              ;   in Loop: Header=BB8_49 Depth=1
	s_wait_xcnt 0x0
	s_or_b32 exec_lo, exec_lo, s12
	v_and_b32_e32 v11, 14, v79
	s_mov_b32 s12, s29
	s_mov_b32 s11, exec_lo
                                        ; implicit-def: $vgpr16
                                        ; implicit-def: $vgpr10
                                        ; implicit-def: $vgpr17
	s_delay_alu instid0(VALU_DEP_1) | instskip(NEXT) | instid1(VALU_DEP_1)
	v_cndmask_b32_e64 v79, v27, v11, s10
	v_cmpx_ne_u32_e32 0, v79
	s_cbranch_execz .LBB8_444
; %bb.443:                              ;   in Loop: Header=BB8_49 Depth=1
	v_cmp_lt_i32_e32 vcc_lo, 0, v28
	s_or_b32 s12, s29, exec_lo
	v_dual_cndmask_b32 v10, 0, v96 :: v_dual_sub_nc_u32 v11, v27, v11
	s_delay_alu instid0(VALU_DEP_1) | instskip(NEXT) | instid1(VALU_DEP_1)
	v_dual_cndmask_b32 v11, 0, v11, s10 :: v_dual_sub_nc_u32 v10, v10, v28
	v_add3_u32 v16, v26, v24, v11
	s_delay_alu instid0(VALU_DEP_2) | instskip(NEXT) | instid1(VALU_DEP_1)
	v_lshl_add_u32 v10, v10, 5, v25
	v_ashrrev_i32_e32 v12, 31, v10
	s_delay_alu instid0(VALU_DEP_1) | instskip(NEXT) | instid1(VALU_DEP_1)
	v_lshrrev_b32_e32 v12, 27, v12
	v_add_nc_u32_e32 v12, v10, v12
	s_delay_alu instid0(VALU_DEP_1) | instskip(NEXT) | instid1(VALU_DEP_1)
	v_and_b32_e32 v12, 0xffffffe0, v12
	v_sub_nc_u32_e32 v17, v10, v12
.LBB8_444:                              ;   in Loop: Header=BB8_49 Depth=1
	s_or_b32 exec_lo, exec_lo, s11
	s_delay_alu instid0(SALU_CYCLE_1) | instskip(SKIP_1) | instid1(SALU_CYCLE_1)
	s_and_not1_b32 s10, s29, exec_lo
	s_and_b32 s11, s12, exec_lo
	s_or_b32 s29, s10, s11
.LBB8_445:                              ;   in Loop: Header=BB8_49 Depth=1
	s_or_b32 exec_lo, exec_lo, s40
	s_and_saveexec_b32 s13, s29
	s_cbranch_execz .LBB8_577
.LBB8_446:                              ;   in Loop: Header=BB8_49 Depth=1
	s_delay_alu instid0(VALU_DEP_1) | instskip(SKIP_2) | instid1(VALU_DEP_3)
	v_dual_ashrrev_i32 v11, 31, v10 :: v_dual_ashrrev_i32 v12, 31, v79
	v_dual_mov_b32 v48, 0 :: v_dual_mov_b32 v37, 0
	v_dual_mov_b32 v22, 0 :: v_dual_mov_b32 v20, 0
	v_dual_lshrrev_b32 v11, 27, v11 :: v_dual_mov_b32 v51, 0
	v_dual_mov_b32 v59, 0 :: v_dual_mov_b32 v50, 0
	v_dual_mov_b32 v24, 0 :: v_dual_mov_b32 v23, 0
	s_delay_alu instid0(VALU_DEP_3) | instskip(SKIP_2) | instid1(VALU_DEP_2)
	v_dual_add_nc_u32 v10, v10, v11 :: v_dual_lshlrev_b32 v11, 1, v17
	v_dual_mov_b32 v21, 0 :: v_dual_lshrrev_b32 v12, 23, v12
	s_mov_b32 s10, 0
	v_dual_mov_b32 v35, 0 :: v_dual_ashrrev_i32 v10, 5, v10
	s_delay_alu instid0(VALU_DEP_2) | instskip(SKIP_1) | instid1(VALU_DEP_2)
	v_dual_mov_b32 v33, 0 :: v_dual_add_nc_u32 v12, v79, v12
	s_mov_b32 s11, exec_lo
	v_dual_lshlrev_b32 v13, 9, v10 :: v_dual_mov_b32 v39, 0
	s_delay_alu instid0(VALU_DEP_2) | instskip(SKIP_1) | instid1(VALU_DEP_3)
	v_dual_ashrrev_i32 v18, 9, v12 :: v_dual_mov_b32 v12, 0
	v_mov_b32_e32 v36, 0
	v_add3_u32 v14, v16, v11, v13
	s_delay_alu instid0(VALU_DEP_3) | instskip(NEXT) | instid1(VALU_DEP_2)
	v_dual_mov_b32 v13, 0 :: v_dual_sub_nc_u32 v19, v18, v10
	v_ashrrev_i32_e32 v15, 31, v14
	s_delay_alu instid0(VALU_DEP_1) | instskip(NEXT) | instid1(VALU_DEP_3)
	v_add_nc_u64_e32 v[10:11], v[56:57], v[14:15]
	v_cmpx_lt_i32_e32 0, v19
	s_cbranch_execz .LBB8_518
; %bb.447:                              ;   in Loop: Header=BB8_49 Depth=1
	s_trap 2
	ds_load_b64 v[20:21], v0
	v_add_nc_u64_e32 v[12:13], v[14:15], v[46:47]
	s_and_b32 s10, s28, 0xff
	s_mov_b32 s15, 0
	s_cmp_eq_u32 s10, 0
	s_mov_b32 s14, 0
	s_cselect_b32 vcc_lo, -1, 0
                                        ; implicit-def: $sgpr12
                                        ; implicit-def: $vgpr61
                                        ; implicit-def: $vgpr58
                                        ; implicit-def: $vgpr49
                                        ; implicit-def: $vgpr38
                                        ; implicit-def: $vgpr34
                                        ; implicit-def: $vgpr32
                                        ; implicit-def: $vgpr29
                                        ; implicit-def: $vgpr28
                                        ; implicit-def: $vgpr22
                                        ; implicit-def: $vgpr23
                                        ; implicit-def: $vgpr24
                                        ; implicit-def: $vgpr25
                                        ; implicit-def: $vgpr26
                                        ; implicit-def: $vgpr27
	s_wait_dscnt 0x0
	v_add_nc_u64_e32 v[14:15], v[20:21], v[14:15]
                                        ; implicit-def: $vgpr20
                                        ; implicit-def: $vgpr21
	s_branch .LBB8_449
.LBB8_448:                              ;   in Loop: Header=BB8_449 Depth=2
	s_or_b32 exec_lo, exec_lo, s29
	v_dual_cndmask_b32 v35, 0, v96, s15 :: v_dual_cndmask_b32 v105, 0, v117, s15
	v_add_nc_u64_e32 v[92:93], v[12:13], v[100:101]
	v_add_nc_u64_e32 v[94:95], v[14:15], v[100:101]
	v_cndmask_b32_e64 v104, 0x200, v116, s15
	s_delay_alu instid0(VALU_DEP_4)
	v_sub_nc_u32_e32 v19, v19, v35
	s_clause 0x7
	flat_store_d16_hi_b16 v[10:11], v90 th:TH_STORE_NT
	flat_store_d16_hi_b16 v[10:11], v88 offset:64 th:TH_STORE_NT
	flat_store_d16_hi_b16 v[10:11], v62 offset:128 th:TH_STORE_NT
	;; [unrolled: 1-line block ×7, first 2 shown]
	v_cndmask_b32_e64 v13, v13, v93, s15
	v_cmp_gt_i32_e64 s10, 1, v19
	s_wait_xcnt 0x0
	v_add_nc_u64_e32 v[10:11], v[10:11], v[104:105]
	v_dual_cndmask_b32 v12, v12, v92, s15 :: v_dual_cndmask_b32 v15, v15, v95, s15
	v_cndmask_b32_e64 v14, v14, v94, s15
	s_or_b32 s14, s10, s14
	s_and_not1_b32 s10, s12, exec_lo
	s_and_b32 s12, s15, exec_lo
	s_delay_alu instid0(SALU_CYCLE_1)
	s_or_b32 s12, s10, s12
	s_and_not1_b32 exec_lo, exec_lo, s14
	s_cbranch_execz .LBB8_517
.LBB8_449:                              ;   Parent Loop BB8_49 Depth=1
                                        ; =>  This Inner Loop Header: Depth=2
	s_clause 0x7
	flat_load_u16 v90, v[12:13] th:TH_LOAD_NT
	flat_load_u16 v88, v[12:13] offset:64 th:TH_LOAD_NT
	flat_load_u16 v62, v[12:13] offset:128 th:TH_LOAD_NT
	;; [unrolled: 1-line block ×7, first 2 shown]
	s_clause 0x7
	flat_load_u16 v91, v[14:15] th:TH_LOAD_NT
	flat_load_u16 v89, v[14:15] offset:64 th:TH_LOAD_NT
	flat_load_u16 v63, v[14:15] offset:128 th:TH_LOAD_NT
	;; [unrolled: 1-line block ×7, first 2 shown]
	s_wait_xcnt 0x0
	s_and_saveexec_b32 s29, s15
	s_cbranch_execz .LBB8_483
; %bb.450:                              ;   in Loop: Header=BB8_449 Depth=2
	v_dual_lshlrev_b32 v92, 16, v20 :: v_dual_lshlrev_b32 v61, 16, v61
	s_delay_alu instid0(VALU_DEP_1) | instskip(NEXT) | instid1(VALU_DEP_1)
	v_dual_max_num_f32 v92, v92, v92 :: v_dual_max_num_f32 v61, v61, v61
	v_dual_min_num_f32 v93, v61, v92 :: v_dual_max_num_f32 v61, v61, v92
	s_delay_alu instid0(VALU_DEP_1) | instskip(NEXT) | instid1(VALU_DEP_1)
	v_cndmask_b32_e32 v92, v61, v93, vcc_lo
	v_and_b32_e32 v61, 0x7f800000, v92
	s_delay_alu instid0(VALU_DEP_1) | instskip(SKIP_1) | instid1(SALU_CYCLE_1)
	v_cmp_ne_u32_e64 s10, 0x7f800000, v61
                                        ; implicit-def: $vgpr61
	s_and_saveexec_b32 s15, s10
	s_xor_b32 s10, exec_lo, s15
; %bb.451:                              ;   in Loop: Header=BB8_449 Depth=2
	v_bfe_u32 v61, v92, 16, 1
	s_delay_alu instid0(VALU_DEP_1)
	v_add3_u32 v61, v92, v61, 0x7fff
                                        ; implicit-def: $vgpr92
; %bb.452:                              ;   in Loop: Header=BB8_449 Depth=2
	s_and_not1_saveexec_b32 s15, s10
; %bb.453:                              ;   in Loop: Header=BB8_449 Depth=2
	v_and_b32_e32 v61, 0xffff, v92
	v_or_b32_e32 v93, 0x10000, v92
	s_delay_alu instid0(VALU_DEP_2) | instskip(NEXT) | instid1(VALU_DEP_1)
	v_cmp_eq_u32_e64 s10, 0, v61
	v_cndmask_b32_e64 v61, v93, v92, s10
; %bb.454:                              ;   in Loop: Header=BB8_449 Depth=2
	s_or_b32 exec_lo, exec_lo, s15
	v_dual_lshlrev_b32 v92, 16, v21 :: v_dual_lshlrev_b32 v58, 16, v58
	s_delay_alu instid0(VALU_DEP_1) | instskip(NEXT) | instid1(VALU_DEP_1)
	v_dual_max_num_f32 v92, v92, v92 :: v_dual_max_num_f32 v58, v58, v58
	v_dual_min_num_f32 v93, v58, v92 :: v_dual_max_num_f32 v58, v58, v92
	s_delay_alu instid0(VALU_DEP_1) | instskip(NEXT) | instid1(VALU_DEP_1)
	v_cndmask_b32_e32 v92, v58, v93, vcc_lo
	v_and_b32_e32 v58, 0x7f800000, v92
	s_delay_alu instid0(VALU_DEP_1) | instskip(SKIP_1) | instid1(SALU_CYCLE_1)
	v_cmp_ne_u32_e64 s10, 0x7f800000, v58
                                        ; implicit-def: $vgpr58
	s_and_saveexec_b32 s15, s10
	s_xor_b32 s10, exec_lo, s15
; %bb.455:                              ;   in Loop: Header=BB8_449 Depth=2
	v_bfe_u32 v58, v92, 16, 1
	s_delay_alu instid0(VALU_DEP_1)
	v_add3_u32 v58, v92, v58, 0x7fff
                                        ; implicit-def: $vgpr92
; %bb.456:                              ;   in Loop: Header=BB8_449 Depth=2
	s_and_not1_saveexec_b32 s15, s10
; %bb.457:                              ;   in Loop: Header=BB8_449 Depth=2
	v_and_b32_e32 v58, 0xffff, v92
	v_or_b32_e32 v93, 0x10000, v92
	s_delay_alu instid0(VALU_DEP_2) | instskip(NEXT) | instid1(VALU_DEP_1)
	v_cmp_eq_u32_e64 s10, 0, v58
	v_cndmask_b32_e64 v58, v93, v92, s10
; %bb.458:                              ;   in Loop: Header=BB8_449 Depth=2
	s_or_b32 exec_lo, exec_lo, s15
	v_dual_lshlrev_b32 v92, 16, v22 :: v_dual_lshlrev_b32 v49, 16, v49
	s_delay_alu instid0(VALU_DEP_1) | instskip(NEXT) | instid1(VALU_DEP_1)
	v_dual_max_num_f32 v92, v92, v92 :: v_dual_max_num_f32 v49, v49, v49
	v_dual_min_num_f32 v93, v49, v92 :: v_dual_max_num_f32 v49, v49, v92
	s_delay_alu instid0(VALU_DEP_1) | instskip(NEXT) | instid1(VALU_DEP_1)
	v_cndmask_b32_e32 v92, v49, v93, vcc_lo
	v_and_b32_e32 v49, 0x7f800000, v92
	s_delay_alu instid0(VALU_DEP_1) | instskip(SKIP_1) | instid1(SALU_CYCLE_1)
	v_cmp_ne_u32_e64 s10, 0x7f800000, v49
                                        ; implicit-def: $vgpr49
	s_and_saveexec_b32 s15, s10
	s_xor_b32 s10, exec_lo, s15
; %bb.459:                              ;   in Loop: Header=BB8_449 Depth=2
	v_bfe_u32 v49, v92, 16, 1
	s_delay_alu instid0(VALU_DEP_1)
	v_add3_u32 v49, v92, v49, 0x7fff
                                        ; implicit-def: $vgpr92
; %bb.460:                              ;   in Loop: Header=BB8_449 Depth=2
	s_and_not1_saveexec_b32 s15, s10
; %bb.461:                              ;   in Loop: Header=BB8_449 Depth=2
	v_and_b32_e32 v49, 0xffff, v92
	v_or_b32_e32 v93, 0x10000, v92
	s_delay_alu instid0(VALU_DEP_2) | instskip(NEXT) | instid1(VALU_DEP_1)
	v_cmp_eq_u32_e64 s10, 0, v49
	v_cndmask_b32_e64 v49, v93, v92, s10
; %bb.462:                              ;   in Loop: Header=BB8_449 Depth=2
	s_or_b32 exec_lo, exec_lo, s15
	v_dual_lshlrev_b32 v92, 16, v23 :: v_dual_lshlrev_b32 v38, 16, v38
	s_delay_alu instid0(VALU_DEP_1) | instskip(NEXT) | instid1(VALU_DEP_1)
	v_dual_max_num_f32 v92, v92, v92 :: v_dual_max_num_f32 v38, v38, v38
	v_dual_min_num_f32 v93, v38, v92 :: v_dual_max_num_f32 v38, v38, v92
	s_delay_alu instid0(VALU_DEP_1) | instskip(NEXT) | instid1(VALU_DEP_1)
	v_cndmask_b32_e32 v92, v38, v93, vcc_lo
	v_and_b32_e32 v38, 0x7f800000, v92
	s_delay_alu instid0(VALU_DEP_1) | instskip(SKIP_1) | instid1(SALU_CYCLE_1)
	v_cmp_ne_u32_e64 s10, 0x7f800000, v38
                                        ; implicit-def: $vgpr38
	s_and_saveexec_b32 s15, s10
	s_xor_b32 s10, exec_lo, s15
; %bb.463:                              ;   in Loop: Header=BB8_449 Depth=2
	v_bfe_u32 v38, v92, 16, 1
	s_delay_alu instid0(VALU_DEP_1)
	v_add3_u32 v38, v92, v38, 0x7fff
                                        ; implicit-def: $vgpr92
; %bb.464:                              ;   in Loop: Header=BB8_449 Depth=2
	s_and_not1_saveexec_b32 s15, s10
; %bb.465:                              ;   in Loop: Header=BB8_449 Depth=2
	v_and_b32_e32 v38, 0xffff, v92
	v_or_b32_e32 v93, 0x10000, v92
	s_delay_alu instid0(VALU_DEP_2) | instskip(NEXT) | instid1(VALU_DEP_1)
	v_cmp_eq_u32_e64 s10, 0, v38
	v_cndmask_b32_e64 v38, v93, v92, s10
; %bb.466:                              ;   in Loop: Header=BB8_449 Depth=2
	s_or_b32 exec_lo, exec_lo, s15
	v_dual_lshlrev_b32 v92, 16, v24 :: v_dual_lshlrev_b32 v34, 16, v34
	s_delay_alu instid0(VALU_DEP_1) | instskip(NEXT) | instid1(VALU_DEP_1)
	v_dual_max_num_f32 v92, v92, v92 :: v_dual_max_num_f32 v34, v34, v34
	v_dual_min_num_f32 v93, v34, v92 :: v_dual_max_num_f32 v34, v34, v92
	s_delay_alu instid0(VALU_DEP_1) | instskip(NEXT) | instid1(VALU_DEP_1)
	v_cndmask_b32_e32 v92, v34, v93, vcc_lo
	v_and_b32_e32 v34, 0x7f800000, v92
	s_delay_alu instid0(VALU_DEP_1) | instskip(SKIP_1) | instid1(SALU_CYCLE_1)
	v_cmp_ne_u32_e64 s10, 0x7f800000, v34
                                        ; implicit-def: $vgpr34
	s_and_saveexec_b32 s15, s10
	s_xor_b32 s10, exec_lo, s15
; %bb.467:                              ;   in Loop: Header=BB8_449 Depth=2
	v_bfe_u32 v34, v92, 16, 1
	s_delay_alu instid0(VALU_DEP_1)
	v_add3_u32 v34, v92, v34, 0x7fff
                                        ; implicit-def: $vgpr92
; %bb.468:                              ;   in Loop: Header=BB8_449 Depth=2
	s_and_not1_saveexec_b32 s15, s10
; %bb.469:                              ;   in Loop: Header=BB8_449 Depth=2
	v_and_b32_e32 v34, 0xffff, v92
	v_or_b32_e32 v93, 0x10000, v92
	s_delay_alu instid0(VALU_DEP_2) | instskip(NEXT) | instid1(VALU_DEP_1)
	v_cmp_eq_u32_e64 s10, 0, v34
	v_cndmask_b32_e64 v34, v93, v92, s10
; %bb.470:                              ;   in Loop: Header=BB8_449 Depth=2
	s_or_b32 exec_lo, exec_lo, s15
	v_dual_lshlrev_b32 v92, 16, v25 :: v_dual_lshlrev_b32 v32, 16, v32
	s_delay_alu instid0(VALU_DEP_1) | instskip(NEXT) | instid1(VALU_DEP_2)
	v_max_num_f32_e32 v92, v92, v92
	v_max_num_f32_e32 v32, v32, v32
	s_delay_alu instid0(VALU_DEP_1) | instskip(NEXT) | instid1(VALU_DEP_1)
	v_dual_min_num_f32 v93, v32, v92 :: v_dual_max_num_f32 v32, v32, v92
	v_cndmask_b32_e32 v92, v32, v93, vcc_lo
	s_delay_alu instid0(VALU_DEP_1) | instskip(NEXT) | instid1(VALU_DEP_1)
	v_and_b32_e32 v32, 0x7f800000, v92
	v_cmp_ne_u32_e64 s10, 0x7f800000, v32
                                        ; implicit-def: $vgpr32
	s_and_saveexec_b32 s15, s10
	s_delay_alu instid0(SALU_CYCLE_1)
	s_xor_b32 s10, exec_lo, s15
; %bb.471:                              ;   in Loop: Header=BB8_449 Depth=2
	v_bfe_u32 v32, v92, 16, 1
	s_delay_alu instid0(VALU_DEP_1)
	v_add3_u32 v32, v92, v32, 0x7fff
                                        ; implicit-def: $vgpr92
; %bb.472:                              ;   in Loop: Header=BB8_449 Depth=2
	s_and_not1_saveexec_b32 s15, s10
; %bb.473:                              ;   in Loop: Header=BB8_449 Depth=2
	v_and_b32_e32 v32, 0xffff, v92
	v_or_b32_e32 v93, 0x10000, v92
	s_delay_alu instid0(VALU_DEP_2) | instskip(NEXT) | instid1(VALU_DEP_1)
	v_cmp_eq_u32_e64 s10, 0, v32
	v_cndmask_b32_e64 v32, v93, v92, s10
; %bb.474:                              ;   in Loop: Header=BB8_449 Depth=2
	s_or_b32 exec_lo, exec_lo, s15
	v_dual_lshlrev_b32 v92, 16, v26 :: v_dual_lshlrev_b32 v29, 16, v29
	s_delay_alu instid0(VALU_DEP_1) | instskip(NEXT) | instid1(VALU_DEP_1)
	v_dual_max_num_f32 v92, v92, v92 :: v_dual_max_num_f32 v29, v29, v29
	v_dual_min_num_f32 v93, v29, v92 :: v_dual_max_num_f32 v29, v29, v92
	s_delay_alu instid0(VALU_DEP_1) | instskip(NEXT) | instid1(VALU_DEP_1)
	v_cndmask_b32_e32 v92, v29, v93, vcc_lo
	v_and_b32_e32 v29, 0x7f800000, v92
	s_delay_alu instid0(VALU_DEP_1) | instskip(SKIP_1) | instid1(SALU_CYCLE_1)
	v_cmp_ne_u32_e64 s10, 0x7f800000, v29
                                        ; implicit-def: $vgpr29
	s_and_saveexec_b32 s15, s10
	s_xor_b32 s10, exec_lo, s15
; %bb.475:                              ;   in Loop: Header=BB8_449 Depth=2
	v_bfe_u32 v29, v92, 16, 1
	s_delay_alu instid0(VALU_DEP_1)
	v_add3_u32 v29, v92, v29, 0x7fff
                                        ; implicit-def: $vgpr92
; %bb.476:                              ;   in Loop: Header=BB8_449 Depth=2
	s_and_not1_saveexec_b32 s15, s10
; %bb.477:                              ;   in Loop: Header=BB8_449 Depth=2
	v_and_b32_e32 v29, 0xffff, v92
	v_or_b32_e32 v93, 0x10000, v92
	s_delay_alu instid0(VALU_DEP_2) | instskip(NEXT) | instid1(VALU_DEP_1)
	v_cmp_eq_u32_e64 s10, 0, v29
	v_cndmask_b32_e64 v29, v93, v92, s10
; %bb.478:                              ;   in Loop: Header=BB8_449 Depth=2
	s_or_b32 exec_lo, exec_lo, s15
	v_dual_lshlrev_b32 v92, 16, v27 :: v_dual_lshlrev_b32 v28, 16, v28
	s_delay_alu instid0(VALU_DEP_1) | instskip(NEXT) | instid1(VALU_DEP_2)
	v_max_num_f32_e32 v92, v92, v92
	v_max_num_f32_e32 v28, v28, v28
	s_delay_alu instid0(VALU_DEP_1) | instskip(NEXT) | instid1(VALU_DEP_1)
	v_dual_min_num_f32 v93, v28, v92 :: v_dual_max_num_f32 v28, v28, v92
	v_cndmask_b32_e32 v92, v28, v93, vcc_lo
	s_delay_alu instid0(VALU_DEP_1) | instskip(NEXT) | instid1(VALU_DEP_1)
	v_and_b32_e32 v28, 0x7f800000, v92
	v_cmp_ne_u32_e64 s10, 0x7f800000, v28
                                        ; implicit-def: $vgpr28
	s_and_saveexec_b32 s15, s10
	s_delay_alu instid0(SALU_CYCLE_1)
	s_xor_b32 s10, exec_lo, s15
; %bb.479:                              ;   in Loop: Header=BB8_449 Depth=2
	v_bfe_u32 v28, v92, 16, 1
	s_delay_alu instid0(VALU_DEP_1)
	v_add3_u32 v28, v92, v28, 0x7fff
                                        ; implicit-def: $vgpr92
; %bb.480:                              ;   in Loop: Header=BB8_449 Depth=2
	s_and_not1_saveexec_b32 s15, s10
; %bb.481:                              ;   in Loop: Header=BB8_449 Depth=2
	v_and_b32_e32 v28, 0xffff, v92
	v_or_b32_e32 v93, 0x10000, v92
	s_delay_alu instid0(VALU_DEP_2) | instskip(NEXT) | instid1(VALU_DEP_1)
	v_cmp_eq_u32_e64 s10, 0, v28
	v_cndmask_b32_e64 v28, v93, v92, s10
; %bb.482:                              ;   in Loop: Header=BB8_449 Depth=2
	s_or_b32 exec_lo, exec_lo, s15
	v_dual_lshrrev_b32 v34, 16, v34 :: v_dual_lshrrev_b32 v61, 16, v61
	v_dual_lshrrev_b32 v58, 16, v58 :: v_dual_lshrrev_b32 v49, 16, v49
	s_delay_alu instid0(VALU_DEP_3)
	v_dual_lshrrev_b32 v38, 16, v38 :: v_dual_lshrrev_b32 v28, 16, v28
	v_dual_lshrrev_b32 v29, 16, v29 :: v_dual_lshrrev_b32 v32, 16, v32
	s_clause 0x7
	flat_store_b16 v[10:11], v61 th:TH_STORE_NT
	flat_store_b16 v[10:11], v58 offset:64 th:TH_STORE_NT
	flat_store_b16 v[10:11], v49 offset:128 th:TH_STORE_NT
	;; [unrolled: 1-line block ×7, first 2 shown]
	s_wait_xcnt 0x0
	v_add_nc_u64_e32 v[10:11], v[10:11], v[116:117]
.LBB8_483:                              ;   in Loop: Header=BB8_449 Depth=2
	s_or_b32 exec_lo, exec_lo, s29
	v_sub_nc_u32_e32 v19, v19, v96
	v_add_nc_u64_e32 v[12:13], v[12:13], v[116:117]
	v_add_nc_u64_e32 v[14:15], v[14:15], v[116:117]
	s_delay_alu instid0(VALU_DEP_3)
	v_cmp_lt_i32_e64 s15, 0, v19
	s_and_saveexec_b32 s10, s15
	s_cbranch_execz .LBB8_485
; %bb.484:                              ;   in Loop: Header=BB8_449 Depth=2
	s_clause 0x7
	flat_load_u16 v61, v[12:13] th:TH_LOAD_NT
	flat_load_u16 v58, v[12:13] offset:64 th:TH_LOAD_NT
	flat_load_u16 v49, v[12:13] offset:128 th:TH_LOAD_NT
	flat_load_u16 v38, v[12:13] offset:192 th:TH_LOAD_NT
	flat_load_u16 v34, v[12:13] offset:256 th:TH_LOAD_NT
	flat_load_u16 v32, v[12:13] offset:320 th:TH_LOAD_NT
	flat_load_u16 v29, v[12:13] offset:384 th:TH_LOAD_NT
	flat_load_u16 v28, v[12:13] offset:448 th:TH_LOAD_NT
	s_clause 0x7
	flat_load_u16 v20, v[14:15] th:TH_LOAD_NT
	flat_load_u16 v21, v[14:15] offset:64 th:TH_LOAD_NT
	flat_load_u16 v22, v[14:15] offset:128 th:TH_LOAD_NT
	;; [unrolled: 1-line block ×7, first 2 shown]
	s_wait_xcnt 0x8
	v_add_nc_u64_e32 v[12:13], 0x200, v[12:13]
	s_wait_xcnt 0x0
	v_add_nc_u64_e32 v[14:15], 0x200, v[14:15]
.LBB8_485:                              ;   in Loop: Header=BB8_449 Depth=2
	s_or_b32 exec_lo, exec_lo, s10
	s_wait_loadcnt_dscnt 0x707
	v_dual_lshlrev_b32 v91, 16, v91 :: v_dual_lshlrev_b32 v90, 16, v90
	s_delay_alu instid0(VALU_DEP_1) | instskip(NEXT) | instid1(VALU_DEP_1)
	v_dual_max_num_f32 v91, v91, v91 :: v_dual_max_num_f32 v90, v90, v90
	v_dual_min_num_f32 v92, v90, v91 :: v_dual_max_num_f32 v90, v90, v91
	s_delay_alu instid0(VALU_DEP_1) | instskip(NEXT) | instid1(VALU_DEP_1)
	v_cndmask_b32_e32 v91, v90, v92, vcc_lo
	v_and_b32_e32 v90, 0x7f800000, v91
	s_delay_alu instid0(VALU_DEP_1) | instskip(SKIP_1) | instid1(SALU_CYCLE_1)
	v_cmp_ne_u32_e64 s10, 0x7f800000, v90
                                        ; implicit-def: $vgpr90
	s_and_saveexec_b32 s29, s10
	s_xor_b32 s10, exec_lo, s29
; %bb.486:                              ;   in Loop: Header=BB8_449 Depth=2
	v_bfe_u32 v90, v91, 16, 1
	s_delay_alu instid0(VALU_DEP_1)
	v_add3_u32 v90, v91, v90, 0x7fff
                                        ; implicit-def: $vgpr91
; %bb.487:                              ;   in Loop: Header=BB8_449 Depth=2
	s_and_not1_saveexec_b32 s29, s10
; %bb.488:                              ;   in Loop: Header=BB8_449 Depth=2
	v_and_b32_e32 v90, 0xffff, v91
	v_or_b32_e32 v92, 0x10000, v91
	s_delay_alu instid0(VALU_DEP_2) | instskip(NEXT) | instid1(VALU_DEP_1)
	v_cmp_eq_u32_e64 s10, 0, v90
	v_cndmask_b32_e64 v90, v92, v91, s10
; %bb.489:                              ;   in Loop: Header=BB8_449 Depth=2
	s_or_b32 exec_lo, exec_lo, s29
	s_wait_loadcnt_dscnt 0x606
	v_dual_lshlrev_b32 v89, 16, v89 :: v_dual_lshlrev_b32 v88, 16, v88
	s_delay_alu instid0(VALU_DEP_1) | instskip(NEXT) | instid1(VALU_DEP_1)
	v_dual_max_num_f32 v89, v89, v89 :: v_dual_max_num_f32 v88, v88, v88
	v_dual_min_num_f32 v91, v88, v89 :: v_dual_max_num_f32 v88, v88, v89
	s_delay_alu instid0(VALU_DEP_1) | instskip(NEXT) | instid1(VALU_DEP_1)
	v_cndmask_b32_e32 v89, v88, v91, vcc_lo
	v_and_b32_e32 v88, 0x7f800000, v89
	s_delay_alu instid0(VALU_DEP_1) | instskip(SKIP_1) | instid1(SALU_CYCLE_1)
	v_cmp_ne_u32_e64 s10, 0x7f800000, v88
                                        ; implicit-def: $vgpr88
	s_and_saveexec_b32 s29, s10
	s_xor_b32 s10, exec_lo, s29
; %bb.490:                              ;   in Loop: Header=BB8_449 Depth=2
	v_bfe_u32 v88, v89, 16, 1
	s_delay_alu instid0(VALU_DEP_1)
	v_add3_u32 v88, v89, v88, 0x7fff
                                        ; implicit-def: $vgpr89
; %bb.491:                              ;   in Loop: Header=BB8_449 Depth=2
	s_and_not1_saveexec_b32 s29, s10
; %bb.492:                              ;   in Loop: Header=BB8_449 Depth=2
	v_and_b32_e32 v88, 0xffff, v89
	v_or_b32_e32 v91, 0x10000, v89
	s_delay_alu instid0(VALU_DEP_2) | instskip(NEXT) | instid1(VALU_DEP_1)
	v_cmp_eq_u32_e64 s10, 0, v88
	v_cndmask_b32_e64 v88, v91, v89, s10
; %bb.493:                              ;   in Loop: Header=BB8_449 Depth=2
	s_or_b32 exec_lo, exec_lo, s29
	s_wait_loadcnt_dscnt 0x505
	v_dual_lshlrev_b32 v63, 16, v63 :: v_dual_lshlrev_b32 v62, 16, v62
	s_delay_alu instid0(VALU_DEP_1) | instskip(NEXT) | instid1(VALU_DEP_1)
	v_dual_max_num_f32 v63, v63, v63 :: v_dual_max_num_f32 v62, v62, v62
	v_dual_min_num_f32 v89, v62, v63 :: v_dual_max_num_f32 v62, v62, v63
	s_delay_alu instid0(VALU_DEP_1) | instskip(NEXT) | instid1(VALU_DEP_1)
	v_cndmask_b32_e32 v63, v62, v89, vcc_lo
	v_and_b32_e32 v62, 0x7f800000, v63
	s_delay_alu instid0(VALU_DEP_1) | instskip(SKIP_1) | instid1(SALU_CYCLE_1)
	v_cmp_ne_u32_e64 s10, 0x7f800000, v62
                                        ; implicit-def: $vgpr62
	s_and_saveexec_b32 s29, s10
	s_xor_b32 s10, exec_lo, s29
; %bb.494:                              ;   in Loop: Header=BB8_449 Depth=2
	v_bfe_u32 v62, v63, 16, 1
	s_delay_alu instid0(VALU_DEP_1)
	v_add3_u32 v62, v63, v62, 0x7fff
                                        ; implicit-def: $vgpr63
; %bb.495:                              ;   in Loop: Header=BB8_449 Depth=2
	s_and_not1_saveexec_b32 s29, s10
; %bb.496:                              ;   in Loop: Header=BB8_449 Depth=2
	v_and_b32_e32 v62, 0xffff, v63
	v_or_b32_e32 v89, 0x10000, v63
	s_delay_alu instid0(VALU_DEP_2) | instskip(NEXT) | instid1(VALU_DEP_1)
	v_cmp_eq_u32_e64 s10, 0, v62
	v_cndmask_b32_e64 v62, v89, v63, s10
; %bb.497:                              ;   in Loop: Header=BB8_449 Depth=2
	s_or_b32 exec_lo, exec_lo, s29
	s_wait_loadcnt_dscnt 0x404
	v_dual_lshlrev_b32 v60, 16, v60 :: v_dual_lshlrev_b32 v59, 16, v59
	s_delay_alu instid0(VALU_DEP_1) | instskip(NEXT) | instid1(VALU_DEP_1)
	v_dual_max_num_f32 v60, v60, v60 :: v_dual_max_num_f32 v59, v59, v59
	v_dual_min_num_f32 v63, v59, v60 :: v_dual_max_num_f32 v59, v59, v60
	s_delay_alu instid0(VALU_DEP_1) | instskip(NEXT) | instid1(VALU_DEP_1)
	v_cndmask_b32_e32 v60, v59, v63, vcc_lo
	v_and_b32_e32 v59, 0x7f800000, v60
	s_delay_alu instid0(VALU_DEP_1) | instskip(SKIP_1) | instid1(SALU_CYCLE_1)
	v_cmp_ne_u32_e64 s10, 0x7f800000, v59
                                        ; implicit-def: $vgpr59
	s_and_saveexec_b32 s29, s10
	s_xor_b32 s10, exec_lo, s29
; %bb.498:                              ;   in Loop: Header=BB8_449 Depth=2
	v_bfe_u32 v59, v60, 16, 1
	s_delay_alu instid0(VALU_DEP_1)
	v_add3_u32 v59, v60, v59, 0x7fff
                                        ; implicit-def: $vgpr60
; %bb.499:                              ;   in Loop: Header=BB8_449 Depth=2
	s_and_not1_saveexec_b32 s29, s10
; %bb.500:                              ;   in Loop: Header=BB8_449 Depth=2
	v_and_b32_e32 v59, 0xffff, v60
	v_or_b32_e32 v63, 0x10000, v60
	s_delay_alu instid0(VALU_DEP_2) | instskip(NEXT) | instid1(VALU_DEP_1)
	v_cmp_eq_u32_e64 s10, 0, v59
	v_cndmask_b32_e64 v59, v63, v60, s10
; %bb.501:                              ;   in Loop: Header=BB8_449 Depth=2
	s_or_b32 exec_lo, exec_lo, s29
	s_wait_loadcnt_dscnt 0x303
	v_dual_lshlrev_b32 v51, 16, v51 :: v_dual_lshlrev_b32 v50, 16, v50
	s_delay_alu instid0(VALU_DEP_1) | instskip(NEXT) | instid1(VALU_DEP_1)
	v_dual_max_num_f32 v51, v51, v51 :: v_dual_max_num_f32 v50, v50, v50
	v_dual_min_num_f32 v60, v50, v51 :: v_dual_max_num_f32 v50, v50, v51
	s_delay_alu instid0(VALU_DEP_1) | instskip(NEXT) | instid1(VALU_DEP_1)
	v_cndmask_b32_e32 v51, v50, v60, vcc_lo
	v_and_b32_e32 v50, 0x7f800000, v51
	s_delay_alu instid0(VALU_DEP_1) | instskip(SKIP_1) | instid1(SALU_CYCLE_1)
	v_cmp_ne_u32_e64 s10, 0x7f800000, v50
                                        ; implicit-def: $vgpr50
	s_and_saveexec_b32 s29, s10
	s_xor_b32 s10, exec_lo, s29
; %bb.502:                              ;   in Loop: Header=BB8_449 Depth=2
	v_bfe_u32 v50, v51, 16, 1
	s_delay_alu instid0(VALU_DEP_1)
	v_add3_u32 v50, v51, v50, 0x7fff
                                        ; implicit-def: $vgpr51
; %bb.503:                              ;   in Loop: Header=BB8_449 Depth=2
	s_and_not1_saveexec_b32 s29, s10
; %bb.504:                              ;   in Loop: Header=BB8_449 Depth=2
	v_and_b32_e32 v50, 0xffff, v51
	v_or_b32_e32 v60, 0x10000, v51
	s_delay_alu instid0(VALU_DEP_2) | instskip(NEXT) | instid1(VALU_DEP_1)
	v_cmp_eq_u32_e64 s10, 0, v50
	v_cndmask_b32_e64 v50, v60, v51, s10
; %bb.505:                              ;   in Loop: Header=BB8_449 Depth=2
	s_or_b32 exec_lo, exec_lo, s29
	s_wait_loadcnt_dscnt 0x202
	v_dual_lshlrev_b32 v48, 16, v48 :: v_dual_lshlrev_b32 v39, 16, v39
	s_delay_alu instid0(VALU_DEP_1) | instskip(NEXT) | instid1(VALU_DEP_1)
	v_dual_max_num_f32 v48, v48, v48 :: v_dual_max_num_f32 v39, v39, v39
	v_dual_min_num_f32 v51, v39, v48 :: v_dual_max_num_f32 v39, v39, v48
	s_delay_alu instid0(VALU_DEP_1) | instskip(NEXT) | instid1(VALU_DEP_1)
	v_cndmask_b32_e32 v48, v39, v51, vcc_lo
	v_and_b32_e32 v39, 0x7f800000, v48
	s_delay_alu instid0(VALU_DEP_1) | instskip(SKIP_1) | instid1(SALU_CYCLE_1)
	v_cmp_ne_u32_e64 s10, 0x7f800000, v39
                                        ; implicit-def: $vgpr39
	s_and_saveexec_b32 s29, s10
	s_xor_b32 s10, exec_lo, s29
; %bb.506:                              ;   in Loop: Header=BB8_449 Depth=2
	v_bfe_u32 v39, v48, 16, 1
	s_delay_alu instid0(VALU_DEP_1)
	v_add3_u32 v39, v48, v39, 0x7fff
                                        ; implicit-def: $vgpr48
; %bb.507:                              ;   in Loop: Header=BB8_449 Depth=2
	s_and_not1_saveexec_b32 s29, s10
; %bb.508:                              ;   in Loop: Header=BB8_449 Depth=2
	v_and_b32_e32 v39, 0xffff, v48
	v_or_b32_e32 v51, 0x10000, v48
	s_delay_alu instid0(VALU_DEP_2) | instskip(NEXT) | instid1(VALU_DEP_1)
	v_cmp_eq_u32_e64 s10, 0, v39
	v_cndmask_b32_e64 v39, v51, v48, s10
; %bb.509:                              ;   in Loop: Header=BB8_449 Depth=2
	s_or_b32 exec_lo, exec_lo, s29
	s_wait_loadcnt_dscnt 0x101
	v_dual_lshlrev_b32 v37, 16, v37 :: v_dual_lshlrev_b32 v36, 16, v36
	s_delay_alu instid0(VALU_DEP_1) | instskip(NEXT) | instid1(VALU_DEP_1)
	v_dual_max_num_f32 v37, v37, v37 :: v_dual_max_num_f32 v36, v36, v36
	v_dual_min_num_f32 v48, v36, v37 :: v_dual_max_num_f32 v36, v36, v37
	s_delay_alu instid0(VALU_DEP_1) | instskip(NEXT) | instid1(VALU_DEP_1)
	v_cndmask_b32_e32 v37, v36, v48, vcc_lo
	v_and_b32_e32 v36, 0x7f800000, v37
	s_delay_alu instid0(VALU_DEP_1) | instskip(SKIP_1) | instid1(SALU_CYCLE_1)
	v_cmp_ne_u32_e64 s10, 0x7f800000, v36
                                        ; implicit-def: $vgpr36
	s_and_saveexec_b32 s29, s10
	s_xor_b32 s10, exec_lo, s29
; %bb.510:                              ;   in Loop: Header=BB8_449 Depth=2
	v_bfe_u32 v36, v37, 16, 1
	s_delay_alu instid0(VALU_DEP_1)
	v_add3_u32 v36, v37, v36, 0x7fff
                                        ; implicit-def: $vgpr37
; %bb.511:                              ;   in Loop: Header=BB8_449 Depth=2
	s_and_not1_saveexec_b32 s29, s10
; %bb.512:                              ;   in Loop: Header=BB8_449 Depth=2
	v_and_b32_e32 v36, 0xffff, v37
	v_or_b32_e32 v48, 0x10000, v37
	s_delay_alu instid0(VALU_DEP_2) | instskip(NEXT) | instid1(VALU_DEP_1)
	v_cmp_eq_u32_e64 s10, 0, v36
	v_cndmask_b32_e64 v36, v48, v37, s10
; %bb.513:                              ;   in Loop: Header=BB8_449 Depth=2
	s_or_b32 exec_lo, exec_lo, s29
	s_wait_loadcnt_dscnt 0x0
	v_dual_lshlrev_b32 v35, 16, v35 :: v_dual_lshlrev_b32 v33, 16, v33
	s_delay_alu instid0(VALU_DEP_1) | instskip(NEXT) | instid1(VALU_DEP_1)
	v_dual_max_num_f32 v35, v35, v35 :: v_dual_max_num_f32 v33, v33, v33
	v_dual_min_num_f32 v37, v33, v35 :: v_dual_max_num_f32 v33, v33, v35
	s_delay_alu instid0(VALU_DEP_1) | instskip(NEXT) | instid1(VALU_DEP_1)
	v_cndmask_b32_e32 v35, v33, v37, vcc_lo
	v_and_b32_e32 v33, 0x7f800000, v35
	s_delay_alu instid0(VALU_DEP_1) | instskip(SKIP_1) | instid1(SALU_CYCLE_1)
	v_cmp_ne_u32_e64 s10, 0x7f800000, v33
                                        ; implicit-def: $vgpr33
	s_and_saveexec_b32 s29, s10
	s_xor_b32 s10, exec_lo, s29
; %bb.514:                              ;   in Loop: Header=BB8_449 Depth=2
	v_bfe_u32 v33, v35, 16, 1
	s_delay_alu instid0(VALU_DEP_1)
	v_add3_u32 v33, v35, v33, 0x7fff
                                        ; implicit-def: $vgpr35
; %bb.515:                              ;   in Loop: Header=BB8_449 Depth=2
	s_and_not1_saveexec_b32 s29, s10
	s_cbranch_execz .LBB8_448
; %bb.516:                              ;   in Loop: Header=BB8_449 Depth=2
	v_and_b32_e32 v33, 0xffff, v35
	v_or_b32_e32 v37, 0x10000, v35
	s_delay_alu instid0(VALU_DEP_2) | instskip(NEXT) | instid1(VALU_DEP_1)
	v_cmp_eq_u32_e64 s10, 0, v33
	v_cndmask_b32_e64 v33, v37, v35, s10
	s_branch .LBB8_448
.LBB8_517:                              ;   in Loop: Header=BB8_49 Depth=1
	s_or_b32 exec_lo, exec_lo, s14
	v_dual_lshlrev_b32 v51, 16, v61 :: v_dual_lshlrev_b32 v59, 16, v20
	v_dual_lshlrev_b32 v48, 16, v58 :: v_dual_lshlrev_b32 v50, 16, v21
	;; [unrolled: 1-line block ×8, first 2 shown]
	s_and_b32 s10, s12, exec_lo
.LBB8_518:                              ;   in Loop: Header=BB8_49 Depth=1
	s_or_b32 exec_lo, exec_lo, s11
	s_and_saveexec_b32 s11, s10
	s_cbranch_execz .LBB8_552
; %bb.519:                              ;   in Loop: Header=BB8_49 Depth=1
	v_max_num_f32_e32 v14, v59, v59
	v_max_num_f32_e32 v15, v51, v51
	s_and_b32 s10, s28, 0xff
	s_delay_alu instid0(SALU_CYCLE_1) | instskip(NEXT) | instid1(VALU_DEP_1)
	s_cmp_eq_u32 s10, 0
	v_dual_min_num_f32 v25, v15, v14 :: v_dual_max_num_f32 v14, v15, v14
	s_cselect_b32 vcc_lo, -1, 0
	s_delay_alu instid0(VALU_DEP_1) | instskip(NEXT) | instid1(VALU_DEP_1)
	v_cndmask_b32_e32 v15, v14, v25, vcc_lo
	v_and_b32_e32 v14, 0x7f800000, v15
	s_delay_alu instid0(VALU_DEP_1) | instskip(SKIP_1) | instid1(SALU_CYCLE_1)
	v_cmp_ne_u32_e64 s10, 0x7f800000, v14
                                        ; implicit-def: $vgpr14
	s_and_saveexec_b32 s12, s10
	s_xor_b32 s10, exec_lo, s12
; %bb.520:                              ;   in Loop: Header=BB8_49 Depth=1
	v_bfe_u32 v14, v15, 16, 1
	s_delay_alu instid0(VALU_DEP_1)
	v_add3_u32 v14, v15, v14, 0x7fff
                                        ; implicit-def: $vgpr15
; %bb.521:                              ;   in Loop: Header=BB8_49 Depth=1
	s_and_not1_saveexec_b32 s12, s10
; %bb.522:                              ;   in Loop: Header=BB8_49 Depth=1
	v_and_b32_e32 v14, 0xffff, v15
	v_or_b32_e32 v25, 0x10000, v15
	s_delay_alu instid0(VALU_DEP_2) | instskip(NEXT) | instid1(VALU_DEP_1)
	v_cmp_eq_u32_e64 s10, 0, v14
	v_cndmask_b32_e64 v14, v25, v15, s10
; %bb.523:                              ;   in Loop: Header=BB8_49 Depth=1
	s_or_b32 exec_lo, exec_lo, s12
	v_dual_max_num_f32 v15, v50, v50 :: v_dual_max_num_f32 v25, v48, v48
	s_delay_alu instid0(VALU_DEP_1) | instskip(NEXT) | instid1(VALU_DEP_1)
	v_dual_min_num_f32 v26, v25, v15 :: v_dual_max_num_f32 v15, v25, v15
	v_cndmask_b32_e32 v25, v15, v26, vcc_lo
	s_delay_alu instid0(VALU_DEP_1) | instskip(NEXT) | instid1(VALU_DEP_1)
	v_and_b32_e32 v15, 0x7f800000, v25
	v_cmp_ne_u32_e64 s10, 0x7f800000, v15
                                        ; implicit-def: $vgpr15
	s_and_saveexec_b32 s12, s10
	s_delay_alu instid0(SALU_CYCLE_1)
	s_xor_b32 s10, exec_lo, s12
; %bb.524:                              ;   in Loop: Header=BB8_49 Depth=1
	v_bfe_u32 v15, v25, 16, 1
	s_delay_alu instid0(VALU_DEP_1)
	v_add3_u32 v15, v25, v15, 0x7fff
                                        ; implicit-def: $vgpr25
; %bb.525:                              ;   in Loop: Header=BB8_49 Depth=1
	s_and_not1_saveexec_b32 s12, s10
; %bb.526:                              ;   in Loop: Header=BB8_49 Depth=1
	v_and_b32_e32 v15, 0xffff, v25
	v_or_b32_e32 v26, 0x10000, v25
	s_delay_alu instid0(VALU_DEP_2) | instskip(NEXT) | instid1(VALU_DEP_1)
	v_cmp_eq_u32_e64 s10, 0, v15
	v_cndmask_b32_e64 v15, v26, v25, s10
; %bb.527:                              ;   in Loop: Header=BB8_49 Depth=1
	s_or_b32 exec_lo, exec_lo, s12
	v_dual_max_num_f32 v25, v39, v39 :: v_dual_max_num_f32 v26, v37, v37
	s_delay_alu instid0(VALU_DEP_1) | instskip(NEXT) | instid1(VALU_DEP_1)
	v_dual_min_num_f32 v27, v26, v25 :: v_dual_max_num_f32 v25, v26, v25
	v_cndmask_b32_e32 v26, v25, v27, vcc_lo
	s_delay_alu instid0(VALU_DEP_1) | instskip(NEXT) | instid1(VALU_DEP_1)
	v_and_b32_e32 v25, 0x7f800000, v26
	v_cmp_ne_u32_e64 s10, 0x7f800000, v25
                                        ; implicit-def: $vgpr25
	s_and_saveexec_b32 s12, s10
	s_delay_alu instid0(SALU_CYCLE_1)
	s_xor_b32 s10, exec_lo, s12
; %bb.528:                              ;   in Loop: Header=BB8_49 Depth=1
	v_bfe_u32 v25, v26, 16, 1
	s_delay_alu instid0(VALU_DEP_1)
	v_add3_u32 v25, v26, v25, 0x7fff
                                        ; implicit-def: $vgpr26
; %bb.529:                              ;   in Loop: Header=BB8_49 Depth=1
	s_and_not1_saveexec_b32 s12, s10
; %bb.530:                              ;   in Loop: Header=BB8_49 Depth=1
	v_and_b32_e32 v25, 0xffff, v26
	v_or_b32_e32 v27, 0x10000, v26
	s_delay_alu instid0(VALU_DEP_2) | instskip(NEXT) | instid1(VALU_DEP_1)
	v_cmp_eq_u32_e64 s10, 0, v25
	v_cndmask_b32_e64 v25, v27, v26, s10
; %bb.531:                              ;   in Loop: Header=BB8_49 Depth=1
	s_or_b32 exec_lo, exec_lo, s12
	v_dual_max_num_f32 v26, v36, v36 :: v_dual_max_num_f32 v27, v35, v35
	s_delay_alu instid0(VALU_DEP_1) | instskip(NEXT) | instid1(VALU_DEP_1)
	v_dual_min_num_f32 v28, v27, v26 :: v_dual_max_num_f32 v26, v27, v26
	v_cndmask_b32_e32 v27, v26, v28, vcc_lo
	s_delay_alu instid0(VALU_DEP_1) | instskip(NEXT) | instid1(VALU_DEP_1)
	v_and_b32_e32 v26, 0x7f800000, v27
	v_cmp_ne_u32_e64 s10, 0x7f800000, v26
                                        ; implicit-def: $vgpr26
	s_and_saveexec_b32 s12, s10
	s_delay_alu instid0(SALU_CYCLE_1)
	s_xor_b32 s10, exec_lo, s12
; %bb.532:                              ;   in Loop: Header=BB8_49 Depth=1
	v_bfe_u32 v26, v27, 16, 1
	s_delay_alu instid0(VALU_DEP_1)
	v_add3_u32 v26, v27, v26, 0x7fff
                                        ; implicit-def: $vgpr27
; %bb.533:                              ;   in Loop: Header=BB8_49 Depth=1
	s_and_not1_saveexec_b32 s12, s10
; %bb.534:                              ;   in Loop: Header=BB8_49 Depth=1
	v_and_b32_e32 v26, 0xffff, v27
	v_or_b32_e32 v28, 0x10000, v27
	s_delay_alu instid0(VALU_DEP_2) | instskip(NEXT) | instid1(VALU_DEP_1)
	v_cmp_eq_u32_e64 s10, 0, v26
	v_cndmask_b32_e64 v26, v28, v27, s10
; %bb.535:                              ;   in Loop: Header=BB8_49 Depth=1
	s_or_b32 exec_lo, exec_lo, s12
	v_dual_max_num_f32 v24, v24, v24 :: v_dual_max_num_f32 v27, v33, v33
	s_delay_alu instid0(VALU_DEP_1) | instskip(NEXT) | instid1(VALU_DEP_1)
	v_dual_min_num_f32 v28, v27, v24 :: v_dual_max_num_f32 v24, v27, v24
	v_cndmask_b32_e32 v27, v24, v28, vcc_lo
	s_delay_alu instid0(VALU_DEP_1) | instskip(NEXT) | instid1(VALU_DEP_1)
	v_and_b32_e32 v24, 0x7f800000, v27
	v_cmp_ne_u32_e64 s10, 0x7f800000, v24
                                        ; implicit-def: $vgpr24
	s_and_saveexec_b32 s12, s10
	s_delay_alu instid0(SALU_CYCLE_1)
	s_xor_b32 s10, exec_lo, s12
; %bb.536:                              ;   in Loop: Header=BB8_49 Depth=1
	v_bfe_u32 v24, v27, 16, 1
	s_delay_alu instid0(VALU_DEP_1)
	v_add3_u32 v24, v27, v24, 0x7fff
                                        ; implicit-def: $vgpr27
; %bb.537:                              ;   in Loop: Header=BB8_49 Depth=1
	s_and_not1_saveexec_b32 s12, s10
; %bb.538:                              ;   in Loop: Header=BB8_49 Depth=1
	v_and_b32_e32 v24, 0xffff, v27
	v_or_b32_e32 v28, 0x10000, v27
	s_delay_alu instid0(VALU_DEP_2) | instskip(NEXT) | instid1(VALU_DEP_1)
	v_cmp_eq_u32_e64 s10, 0, v24
	v_cndmask_b32_e64 v24, v28, v27, s10
; %bb.539:                              ;   in Loop: Header=BB8_49 Depth=1
	s_or_b32 exec_lo, exec_lo, s12
	v_dual_max_num_f32 v23, v23, v23 :: v_dual_max_num_f32 v22, v22, v22
	s_delay_alu instid0(VALU_DEP_1) | instskip(NEXT) | instid1(VALU_DEP_1)
	v_dual_min_num_f32 v27, v22, v23 :: v_dual_max_num_f32 v22, v22, v23
	v_cndmask_b32_e32 v23, v22, v27, vcc_lo
	s_delay_alu instid0(VALU_DEP_1) | instskip(NEXT) | instid1(VALU_DEP_1)
	v_and_b32_e32 v22, 0x7f800000, v23
	v_cmp_ne_u32_e64 s10, 0x7f800000, v22
                                        ; implicit-def: $vgpr22
	s_and_saveexec_b32 s12, s10
	s_delay_alu instid0(SALU_CYCLE_1)
	s_xor_b32 s10, exec_lo, s12
; %bb.540:                              ;   in Loop: Header=BB8_49 Depth=1
	v_bfe_u32 v22, v23, 16, 1
	s_delay_alu instid0(VALU_DEP_1)
	v_add3_u32 v22, v23, v22, 0x7fff
                                        ; implicit-def: $vgpr23
; %bb.541:                              ;   in Loop: Header=BB8_49 Depth=1
	s_and_not1_saveexec_b32 s12, s10
; %bb.542:                              ;   in Loop: Header=BB8_49 Depth=1
	v_and_b32_e32 v22, 0xffff, v23
	v_or_b32_e32 v27, 0x10000, v23
	s_delay_alu instid0(VALU_DEP_2) | instskip(NEXT) | instid1(VALU_DEP_1)
	v_cmp_eq_u32_e64 s10, 0, v22
	v_cndmask_b32_e64 v22, v27, v23, s10
; %bb.543:                              ;   in Loop: Header=BB8_49 Depth=1
	s_or_b32 exec_lo, exec_lo, s12
	v_dual_max_num_f32 v21, v21, v21 :: v_dual_max_num_f32 v20, v20, v20
	s_delay_alu instid0(VALU_DEP_1) | instskip(NEXT) | instid1(VALU_DEP_1)
	v_dual_min_num_f32 v23, v20, v21 :: v_dual_max_num_f32 v20, v20, v21
	v_cndmask_b32_e32 v21, v20, v23, vcc_lo
	s_delay_alu instid0(VALU_DEP_1) | instskip(NEXT) | instid1(VALU_DEP_1)
	v_and_b32_e32 v20, 0x7f800000, v21
	v_cmp_ne_u32_e64 s10, 0x7f800000, v20
                                        ; implicit-def: $vgpr20
	s_and_saveexec_b32 s12, s10
	s_delay_alu instid0(SALU_CYCLE_1)
	s_xor_b32 s10, exec_lo, s12
; %bb.544:                              ;   in Loop: Header=BB8_49 Depth=1
	v_bfe_u32 v20, v21, 16, 1
	s_delay_alu instid0(VALU_DEP_1)
	v_add3_u32 v20, v21, v20, 0x7fff
                                        ; implicit-def: $vgpr21
; %bb.545:                              ;   in Loop: Header=BB8_49 Depth=1
	s_and_not1_saveexec_b32 s12, s10
; %bb.546:                              ;   in Loop: Header=BB8_49 Depth=1
	v_and_b32_e32 v20, 0xffff, v21
	v_or_b32_e32 v23, 0x10000, v21
	s_delay_alu instid0(VALU_DEP_2) | instskip(NEXT) | instid1(VALU_DEP_1)
	v_cmp_eq_u32_e64 s10, 0, v20
	v_cndmask_b32_e64 v20, v23, v21, s10
; %bb.547:                              ;   in Loop: Header=BB8_49 Depth=1
	s_or_b32 exec_lo, exec_lo, s12
	v_dual_max_num_f32 v13, v13, v13 :: v_dual_max_num_f32 v12, v12, v12
	s_delay_alu instid0(VALU_DEP_1) | instskip(NEXT) | instid1(VALU_DEP_1)
	v_dual_min_num_f32 v21, v12, v13 :: v_dual_max_num_f32 v12, v12, v13
	v_cndmask_b32_e32 v13, v12, v21, vcc_lo
	s_delay_alu instid0(VALU_DEP_1) | instskip(NEXT) | instid1(VALU_DEP_1)
	v_and_b32_e32 v12, 0x7f800000, v13
	v_cmp_ne_u32_e32 vcc_lo, 0x7f800000, v12
                                        ; implicit-def: $vgpr12
	s_and_saveexec_b32 s10, vcc_lo
	s_delay_alu instid0(SALU_CYCLE_1)
	s_xor_b32 s10, exec_lo, s10
; %bb.548:                              ;   in Loop: Header=BB8_49 Depth=1
	v_bfe_u32 v12, v13, 16, 1
	s_delay_alu instid0(VALU_DEP_1)
	v_add3_u32 v12, v13, v12, 0x7fff
                                        ; implicit-def: $vgpr13
; %bb.549:                              ;   in Loop: Header=BB8_49 Depth=1
	s_and_not1_saveexec_b32 s10, s10
; %bb.550:                              ;   in Loop: Header=BB8_49 Depth=1
	v_and_b32_e32 v12, 0xffff, v13
	v_or_b32_e32 v21, 0x10000, v13
	s_delay_alu instid0(VALU_DEP_2) | instskip(NEXT) | instid1(VALU_DEP_2)
	v_cmp_eq_u32_e32 vcc_lo, 0, v12
	v_cndmask_b32_e32 v12, v21, v13, vcc_lo
; %bb.551:                              ;   in Loop: Header=BB8_49 Depth=1
	s_or_b32 exec_lo, exec_lo, s10
	s_clause 0x7
	flat_store_d16_hi_b16 v[10:11], v14 th:TH_STORE_NT
	flat_store_d16_hi_b16 v[10:11], v15 offset:64 th:TH_STORE_NT
	flat_store_d16_hi_b16 v[10:11], v25 offset:128 th:TH_STORE_NT
	;; [unrolled: 1-line block ×7, first 2 shown]
.LBB8_552:                              ;   in Loop: Header=BB8_49 Depth=1
	s_wait_xcnt 0x0
	s_or_b32 exec_lo, exec_lo, s11
	v_lshlrev_b32_e32 v10, 9, v18
	s_delay_alu instid0(VALU_DEP_1)
	v_cmp_ne_u32_e32 vcc_lo, v79, v10
	s_and_b32 exec_lo, exec_lo, vcc_lo
	s_cbranch_execz .LBB8_577
; %bb.553:                              ;   in Loop: Header=BB8_49 Depth=1
	v_lshlrev_b32_e32 v11, 5, v19
	s_delay_alu instid0(VALU_DEP_1) | instskip(NEXT) | instid1(VALU_DEP_1)
	v_sub_nc_u32_e32 v11, v17, v11
	v_ashrrev_i32_e32 v12, 31, v11
	s_delay_alu instid0(VALU_DEP_1) | instskip(NEXT) | instid1(VALU_DEP_1)
	v_lshrrev_b32_e32 v12, 27, v12
	v_add_nc_u32_e32 v12, v11, v12
	s_delay_alu instid0(VALU_DEP_1) | instskip(NEXT) | instid1(VALU_DEP_1)
	v_and_b32_e32 v13, 0x7fffffe0, v12
	v_dual_lshlrev_b32 v12, 1, v12 :: v_dual_sub_nc_u32 v11, v11, v13
	s_delay_alu instid0(VALU_DEP_1) | instskip(NEXT) | instid1(VALU_DEP_2)
	v_and_b32_e32 v12, 0xffffffc0, v12
	v_lshlrev_b32_e32 v11, 1, v11
	s_delay_alu instid0(VALU_DEP_1) | instskip(NEXT) | instid1(VALU_DEP_1)
	v_add3_u32 v10, v12, v11, v10
	v_sub_nc_u32_e32 v17, v79, v10
	s_delay_alu instid0(VALU_DEP_1)
	v_cmp_lt_i32_e32 vcc_lo, 1, v17
	s_and_b32 exec_lo, exec_lo, vcc_lo
	s_cbranch_execz .LBB8_577
; %bb.554:                              ;   in Loop: Header=BB8_49 Depth=1
	s_trap 2
	ds_load_b64 v[12:13], v0
	v_add_nc_u32_e32 v18, v10, v16
	s_and_b32 s10, s28, 0xff
	s_mov_b32 s40, 0
	s_cmp_eq_u32 s10, 0
	s_mov_b32 s28, 0
	v_ashrrev_i32_e32 v19, 31, v18
	s_cselect_b32 s10, -1, 0
                                        ; implicit-def: $sgpr29
	s_delay_alu instid0(VALU_DEP_1)
	v_add_nc_u64_e32 v[10:11], v[56:57], v[18:19]
	v_add_nc_u64_e32 v[14:15], v[18:19], v[46:47]
	s_wait_dscnt 0x0
	v_add_nc_u64_e32 v[12:13], v[12:13], v[18:19]
	s_branch .LBB8_556
.LBB8_555:                              ;   in Loop: Header=BB8_556 Depth=2
	s_or_b32 exec_lo, exec_lo, s11
	s_delay_alu instid0(VALU_DEP_1) | instskip(SKIP_2) | instid1(VALU_DEP_3)
	v_dual_cndmask_b32 v22, 0, v76, s40 :: v_dual_lshrrev_b32 v24, 16, v17
	v_add_nc_u64_e32 v[18:19], v[12:13], v[102:103]
	v_dual_cndmask_b32 v21, 0, v41, s40 :: v_dual_cndmask_b32 v20, 64, v40, s40
	v_sub_nc_u32_e32 v17, v16, v22
	v_add_nc_u64_e32 v[22:23], v[14:15], v[102:103]
	flat_store_b16 v[10:11], v24 th:TH_STORE_NT
	scratch_store_b16 off, v24, s33 offset:160
	v_cndmask_b32_e64 v13, v13, v19, s40
	v_cmp_gt_i32_e32 vcc_lo, 2, v17
	s_wait_xcnt 0x1
	v_add_nc_u64_e32 v[10:11], v[10:11], v[20:21]
	v_dual_cndmask_b32 v12, v12, v18, s40 :: v_dual_cndmask_b32 v15, v15, v23, s40
	v_cndmask_b32_e64 v14, v14, v22, s40
	s_or_b32 s28, vcc_lo, s28
	s_and_not1_b32 s11, s29, exec_lo
	s_and_b32 s12, s40, exec_lo
	s_delay_alu instid0(SALU_CYCLE_1)
	s_or_b32 s29, s11, s12
	s_wait_xcnt 0x0
	s_and_not1_b32 exec_lo, exec_lo, s28
	s_cbranch_execz .LBB8_571
.LBB8_556:                              ;   Parent Loop BB8_49 Depth=1
                                        ; =>  This Loop Header: Depth=2
                                        ;       Child Loop BB8_557 Depth 3
                                        ;       Child Loop BB8_566 Depth 3
	s_add_co_i32 s11, s33, 0xa0
	s_mov_b64 s[14:15], 0
	s_mov_b32 s41, s11
	s_mov_b32 s42, -1
.LBB8_557:                              ;   Parent Loop BB8_49 Depth=1
                                        ;     Parent Loop BB8_556 Depth=2
                                        ; =>    This Inner Loop Header: Depth=3
	s_cmp_eq_u32 s14, 1
	s_cselect_b32 vcc_lo, -1, 0
	s_cmp_eq_u32 s14, 0
	v_dual_cndmask_b32 v19, v15, v13 :: v_dual_cndmask_b32 v18, v14, v12
	s_cselect_b32 s11, -1, 0
	s_and_b32 s12, exec_lo, s42
	s_mov_b64 s[14:15], 1
	s_mov_b32 s42, 0
	flat_load_u16 v16, v[18:19] th:TH_LOAD_NT
	s_wait_xcnt 0x0
	v_add_nc_u64_e32 v[18:19], 64, v[18:19]
	s_delay_alu instid0(VALU_DEP_1)
	v_dual_cndmask_b32 v13, v13, v19 :: v_dual_cndmask_b32 v12, v12, v18
	v_dual_cndmask_b32 v15, v15, v19, s11 :: v_dual_cndmask_b32 v14, v14, v18, s11
	s_add_co_i32 s11, s33, 0xc0
	s_mov_b32 vcc_lo, s12
	s_wait_loadcnt_dscnt 0x0
	scratch_store_b16 off, v16, s41
	s_wait_xcnt 0x0
	s_mov_b32 s41, s11
	s_cbranch_vccnz .LBB8_557
; %bb.558:                              ;   in Loop: Header=BB8_556 Depth=2
	s_and_saveexec_b32 s11, s40
	s_cbranch_execz .LBB8_564
; %bb.559:                              ;   in Loop: Header=BB8_556 Depth=2
	s_clause 0x1
	scratch_load_u16 v16, off, s33 offset:146
	scratch_load_u16 v18, off, s33 offset:144
	s_wait_loadcnt 0x0
	v_dual_lshlrev_b32 v16, 16, v16 :: v_dual_lshlrev_b32 v18, 16, v18
	s_delay_alu instid0(VALU_DEP_1) | instskip(NEXT) | instid1(VALU_DEP_1)
	v_dual_max_num_f32 v16, v16, v16 :: v_dual_max_num_f32 v18, v18, v18
	v_dual_min_num_f32 v19, v18, v16 :: v_dual_max_num_f32 v16, v18, v16
	s_delay_alu instid0(VALU_DEP_1) | instskip(NEXT) | instid1(VALU_DEP_1)
	v_cndmask_b32_e64 v16, v16, v19, s10
	v_and_b32_e32 v18, 0x7f800000, v16
	s_delay_alu instid0(VALU_DEP_1) | instskip(SKIP_2) | instid1(SALU_CYCLE_1)
	v_cmp_ne_u32_e32 vcc_lo, 0x7f800000, v18
                                        ; implicit-def: $vgpr18
	s_wait_xcnt 0x0
	s_and_saveexec_b32 s12, vcc_lo
	s_xor_b32 s12, exec_lo, s12
; %bb.560:                              ;   in Loop: Header=BB8_556 Depth=2
	v_bfe_u32 v18, v16, 16, 1
	s_delay_alu instid0(VALU_DEP_1)
	v_add3_u32 v18, v16, v18, 0x7fff
                                        ; implicit-def: $vgpr16
; %bb.561:                              ;   in Loop: Header=BB8_556 Depth=2
	s_and_not1_saveexec_b32 s12, s12
; %bb.562:                              ;   in Loop: Header=BB8_556 Depth=2
	v_and_b32_e32 v18, 0xffff, v16
	v_or_b32_e32 v19, 0x10000, v16
	s_delay_alu instid0(VALU_DEP_2) | instskip(NEXT) | instid1(VALU_DEP_2)
	v_cmp_eq_u32_e32 vcc_lo, 0, v18
	v_cndmask_b32_e32 v18, v19, v16, vcc_lo
; %bb.563:                              ;   in Loop: Header=BB8_556 Depth=2
	s_or_b32 exec_lo, exec_lo, s12
	s_delay_alu instid0(VALU_DEP_1)
	v_lshrrev_b32_e32 v16, 16, v18
	flat_store_b16 v[10:11], v16 th:TH_STORE_NT
	s_wait_xcnt 0x0
	v_add_nc_u64_e32 v[10:11], v[10:11], v[40:41]
	scratch_store_b16 off, v16, s33 offset:144
.LBB8_564:                              ;   in Loop: Header=BB8_556 Depth=2
	s_wait_xcnt 0x0
	s_or_b32 exec_lo, exec_lo, s11
	v_sub_nc_u32_e32 v16, v17, v76
	v_add_nc_u64_e32 v[14:15], v[14:15], v[102:103]
	v_add_nc_u64_e32 v[12:13], v[12:13], v[102:103]
	s_delay_alu instid0(VALU_DEP_3)
	v_cmp_lt_i32_e64 s40, 1, v16
	s_and_saveexec_b32 s41, s40
	s_cbranch_execz .LBB8_567
; %bb.565:                              ;   in Loop: Header=BB8_556 Depth=2
	s_add_co_i32 s11, s33, 0x90
	s_mov_b64 s[14:15], 0
	s_mov_b32 s42, s11
	s_mov_b32 s43, -1
.LBB8_566:                              ;   Parent Loop BB8_49 Depth=1
                                        ;     Parent Loop BB8_556 Depth=2
                                        ; =>    This Inner Loop Header: Depth=3
	s_cmp_eq_u32 s14, 1
	s_cselect_b32 vcc_lo, -1, 0
	s_cmp_eq_u32 s14, 0
	v_dual_cndmask_b32 v19, v15, v13 :: v_dual_cndmask_b32 v18, v14, v12
	s_cselect_b32 s11, -1, 0
	s_and_b32 s12, exec_lo, s43
	s_mov_b64 s[14:15], 1
	s_mov_b32 s43, 0
	flat_load_u16 v17, v[18:19] th:TH_LOAD_NT
	s_wait_xcnt 0x0
	v_add_nc_u64_e32 v[18:19], 64, v[18:19]
	s_delay_alu instid0(VALU_DEP_1)
	v_dual_cndmask_b32 v15, v15, v19, s11 :: v_dual_cndmask_b32 v14, v14, v18, s11
	v_dual_cndmask_b32 v13, v13, v19 :: v_dual_cndmask_b32 v12, v12, v18
	s_add_co_i32 s11, s33, 0x92
	s_mov_b32 vcc_lo, s12
	s_wait_loadcnt_dscnt 0x0
	scratch_store_b16 off, v17, s42
	s_wait_xcnt 0x0
	s_mov_b32 s42, s11
	s_cbranch_vccnz .LBB8_566
.LBB8_567:                              ;   in Loop: Header=BB8_556 Depth=2
	s_or_b32 exec_lo, exec_lo, s41
	s_clause 0x1
	scratch_load_u16 v17, off, s33 offset:192
	scratch_load_u16 v18, off, s33 offset:160
	s_wait_loadcnt 0x0
	v_dual_lshlrev_b32 v17, 16, v17 :: v_dual_lshlrev_b32 v18, 16, v18
	s_delay_alu instid0(VALU_DEP_1) | instskip(NEXT) | instid1(VALU_DEP_1)
	v_dual_max_num_f32 v17, v17, v17 :: v_dual_max_num_f32 v18, v18, v18
	v_dual_min_num_f32 v19, v18, v17 :: v_dual_max_num_f32 v17, v18, v17
	s_delay_alu instid0(VALU_DEP_1) | instskip(NEXT) | instid1(VALU_DEP_1)
	v_cndmask_b32_e64 v18, v17, v19, s10
	v_and_b32_e32 v17, 0x7f800000, v18
	s_delay_alu instid0(VALU_DEP_1) | instskip(SKIP_2) | instid1(SALU_CYCLE_1)
	v_cmp_ne_u32_e32 vcc_lo, 0x7f800000, v17
                                        ; implicit-def: $vgpr17
	s_wait_xcnt 0x0
	s_and_saveexec_b32 s11, vcc_lo
	s_xor_b32 s11, exec_lo, s11
; %bb.568:                              ;   in Loop: Header=BB8_556 Depth=2
	v_bfe_u32 v17, v18, 16, 1
	s_delay_alu instid0(VALU_DEP_1)
	v_add3_u32 v17, v18, v17, 0x7fff
                                        ; implicit-def: $vgpr18
; %bb.569:                              ;   in Loop: Header=BB8_556 Depth=2
	s_and_not1_saveexec_b32 s11, s11
	s_cbranch_execz .LBB8_555
; %bb.570:                              ;   in Loop: Header=BB8_556 Depth=2
	v_and_b32_e32 v17, 0xffff, v18
	v_or_b32_e32 v19, 0x10000, v18
	s_delay_alu instid0(VALU_DEP_2) | instskip(NEXT) | instid1(VALU_DEP_2)
	v_cmp_eq_u32_e32 vcc_lo, 0, v17
	v_cndmask_b32_e32 v17, v19, v18, vcc_lo
	s_branch .LBB8_555
.LBB8_571:                              ;   in Loop: Header=BB8_49 Depth=1
	s_or_b32 exec_lo, exec_lo, s28
	s_delay_alu instid0(SALU_CYCLE_1)
	s_and_b32 exec_lo, exec_lo, s29
	s_cbranch_execz .LBB8_577
; %bb.572:                              ;   in Loop: Header=BB8_49 Depth=1
	s_clause 0x1
	scratch_load_u16 v12, off, s33 offset:146
	scratch_load_u16 v13, off, s33 offset:144
	s_wait_loadcnt 0x0
	v_dual_lshlrev_b32 v12, 16, v12 :: v_dual_lshlrev_b32 v13, 16, v13
	s_delay_alu instid0(VALU_DEP_1) | instskip(NEXT) | instid1(VALU_DEP_1)
	v_dual_max_num_f32 v12, v12, v12 :: v_dual_max_num_f32 v13, v13, v13
	v_dual_min_num_f32 v14, v13, v12 :: v_dual_max_num_f32 v12, v13, v12
	s_delay_alu instid0(VALU_DEP_1) | instskip(NEXT) | instid1(VALU_DEP_1)
	v_cndmask_b32_e64 v12, v12, v14, s10
	v_and_b32_e32 v13, 0x7f800000, v12
	s_delay_alu instid0(VALU_DEP_1) | instskip(SKIP_2) | instid1(SALU_CYCLE_1)
	v_cmp_ne_u32_e32 vcc_lo, 0x7f800000, v13
                                        ; implicit-def: $vgpr13
	s_wait_xcnt 0x0
	s_and_saveexec_b32 s10, vcc_lo
	s_xor_b32 s10, exec_lo, s10
; %bb.573:                              ;   in Loop: Header=BB8_49 Depth=1
	v_bfe_u32 v13, v12, 16, 1
	s_delay_alu instid0(VALU_DEP_1)
	v_add3_u32 v13, v12, v13, 0x7fff
                                        ; implicit-def: $vgpr12
; %bb.574:                              ;   in Loop: Header=BB8_49 Depth=1
	s_and_not1_saveexec_b32 s10, s10
; %bb.575:                              ;   in Loop: Header=BB8_49 Depth=1
	v_and_b32_e32 v13, 0xffff, v12
	v_or_b32_e32 v14, 0x10000, v12
	s_delay_alu instid0(VALU_DEP_2) | instskip(NEXT) | instid1(VALU_DEP_2)
	v_cmp_eq_u32_e32 vcc_lo, 0, v13
	v_cndmask_b32_e32 v13, v14, v12, vcc_lo
; %bb.576:                              ;   in Loop: Header=BB8_49 Depth=1
	s_or_b32 exec_lo, exec_lo, s10
	flat_store_d16_hi_b16 v[10:11], v13 th:TH_STORE_NT
.LBB8_577:                              ;   in Loop: Header=BB8_49 Depth=1
	s_wait_xcnt 0x0
	s_or_b32 exec_lo, exec_lo, s13
	v_cmp_ne_u32_e64 s10, 0, v86
	s_and_saveexec_b32 s11, s2
	s_cbranch_execz .LBB8_596
.LBB8_578:                              ;   in Loop: Header=BB8_49 Depth=1
	s_and_saveexec_b32 s12, s3
	s_delay_alu instid0(SALU_CYCLE_1)
	s_xor_b32 s12, exec_lo, s12
	s_cbranch_execz .LBB8_593
; %bb.579:                              ;   in Loop: Header=BB8_49 Depth=1
	s_and_saveexec_b32 s13, s4
	s_cbranch_execz .LBB8_592
; %bb.580:                              ;   in Loop: Header=BB8_49 Depth=1
	s_mov_b32 s15, exec_lo
	s_mov_b32 s14, exec_lo
	v_mbcnt_lo_u32_b32 v10, s15, 0
	global_wb scope:SCOPE_DEV
	s_wait_storecnt 0x0
	s_wait_loadcnt_dscnt 0x0
	global_inv scope:SCOPE_DEV
	v_cmpx_eq_u32_e32 0, v10
	s_cbranch_execz .LBB8_582
; %bb.581:                              ;   in Loop: Header=BB8_49 Depth=1
	s_bcnt1_i32_b32 s15, s15
	s_delay_alu instid0(SALU_CYCLE_1)
	v_mov_b32_e32 v86, s15
	s_wait_loadcnt 0x0
	ds_add_u64 v0, v[86:87]
	s_trap 2
.LBB8_582:                              ;   in Loop: Header=BB8_49 Depth=1
	s_or_b32 exec_lo, exec_lo, s14
	s_trap 2
	ds_load_b64 v[10:11], v0
	s_wait_dscnt 0x0
	v_add_nc_u64_e32 v[80:81], v[80:81], v[96:97]
	s_mov_b32 s14, exec_lo
	s_delay_alu instid0(VALU_DEP_1)
	v_cmpx_lt_u64_e64 v[10:11], v[80:81]
	s_cbranch_execz .LBB8_591
; %bb.583:                              ;   in Loop: Header=BB8_49 Depth=1
	s_mov_b32 s15, 0
	s_mov_b32 s40, 0
                                        ; implicit-def: $sgpr28
                                        ; implicit-def: $sgpr29
	s_branch .LBB8_585
.LBB8_584:                              ;   in Loop: Header=BB8_585 Depth=2
	s_or_b32 exec_lo, exec_lo, s42
	s_delay_alu instid0(SALU_CYCLE_1) | instskip(NEXT) | instid1(SALU_CYCLE_1)
	s_and_b32 s41, exec_lo, s43
	s_or_b32 s15, s41, s15
	s_and_not1_b32 s28, s28, exec_lo
	s_and_b32 s41, s29, exec_lo
	s_delay_alu instid0(SALU_CYCLE_1)
	s_or_b32 s28, s28, s41
	s_and_not1_b32 exec_lo, exec_lo, s15
	s_cbranch_execz .LBB8_589
.LBB8_585:                              ;   Parent Loop BB8_49 Depth=1
                                        ; =>  This Inner Loop Header: Depth=2
	s_add_co_i32 s40, s40, 1
	s_delay_alu instid0(SALU_CYCLE_1) | instskip(SKIP_1) | instid1(SALU_CYCLE_1)
	s_cmp_lg_u32 s40, 0x2710
	s_cselect_b32 s41, -1, 0
	s_and_b32 vcc_lo, exec_lo, s41
	s_cbranch_vccz .LBB8_587
; %bb.586:                              ;   in Loop: Header=BB8_585 Depth=2
	s_mov_b32 s43, -1
	s_or_b32 s29, s29, exec_lo
	s_and_saveexec_b32 s42, s41
	s_cbranch_execz .LBB8_584
	s_branch .LBB8_588
.LBB8_587:                              ;   in Loop: Header=BB8_585 Depth=2
	s_trap 2
	ds_load_b64 v[10:11], v0
	s_and_not1_b32 s41, s41, exec_lo
	s_mov_b32 s40, 0
	s_wait_loadcnt_dscnt 0x0
	flat_load_b32 v10, v[10:11] scope:SCOPE_SYS
	s_wait_loadcnt_dscnt 0x0
	global_inv scope:SCOPE_SYS
	v_cmp_eq_u32_e32 vcc_lo, 0, v10
	s_and_b32 s42, vcc_lo, exec_lo
	s_delay_alu instid0(SALU_CYCLE_1)
	s_or_b32 s41, s41, s42
	s_mov_b32 s43, -1
	s_or_b32 s29, s29, exec_lo
	s_and_saveexec_b32 s42, s41
	s_cbranch_execz .LBB8_584
.LBB8_588:                              ;   in Loop: Header=BB8_585 Depth=2
	s_sleep 1
	s_trap 2
	ds_load_b64 v[10:11], v0
	s_wait_dscnt 0x0
	s_and_not1_b32 s29, s29, exec_lo
	v_cmp_ge_u64_e32 vcc_lo, v[10:11], v[80:81]
	s_or_not1_b32 s43, vcc_lo, exec_lo
	s_branch .LBB8_584
.LBB8_589:                              ;   in Loop: Header=BB8_49 Depth=1
	s_or_b32 exec_lo, exec_lo, s15
	s_and_saveexec_b32 s15, s28
	s_delay_alu instid0(SALU_CYCLE_1)
	s_xor_b32 s15, exec_lo, s15
	s_cbranch_execz .LBB8_591
; %bb.590:                              ;   in Loop: Header=BB8_49 Depth=1
	ds_store_b32 v0, v77
	s_trap 2
.LBB8_591:                              ;   in Loop: Header=BB8_49 Depth=1
	s_or_b32 exec_lo, exec_lo, s14
	;;#ASMSTART
	s_wakeup
	;;#ASMEND
.LBB8_592:                              ;   in Loop: Header=BB8_49 Depth=1
	s_or_b32 exec_lo, exec_lo, s13
.LBB8_593:                              ;   in Loop: Header=BB8_49 Depth=1
	s_and_not1_saveexec_b32 s12, s12
	s_cbranch_execz .LBB8_595
; %bb.594:                              ;   in Loop: Header=BB8_49 Depth=1
	global_wb scope:SCOPE_DEV
	s_wait_storecnt 0x0
	s_wait_loadcnt_dscnt 0x0
	global_inv scope:SCOPE_DEV
	s_barrier_signal -1
	s_barrier_wait -1
.LBB8_595:                              ;   in Loop: Header=BB8_49 Depth=1
	s_or_b32 exec_lo, exec_lo, s12
.LBB8_596:                              ;   in Loop: Header=BB8_49 Depth=1
	s_delay_alu instid0(SALU_CYCLE_1) | instskip(SKIP_1) | instid1(VALU_DEP_1)
	s_or_b32 exec_lo, exec_lo, s11
	v_and_b32_e32 v10, 16, v30
	v_cmp_ne_u32_e32 vcc_lo, 0, v10
	s_and_b32 s11, vcc_lo, s10
	s_delay_alu instid0(SALU_CYCLE_1)
	s_and_saveexec_b32 s10, s11
	s_cbranch_execz .LBB8_598
; %bb.597:                              ;   in Loop: Header=BB8_49 Depth=1
	global_wb scope:SCOPE_SYS
	s_wait_storecnt 0x0
	s_wait_loadcnt_dscnt 0x0
	global_inv scope:SCOPE_SYS
.LBB8_598:                              ;   in Loop: Header=BB8_49 Depth=1
	s_or_b32 exec_lo, exec_lo, s10
	v_cmp_ne_u32_e32 vcc_lo, 0, v10
	s_xor_b32 s10, s7, -1
	s_delay_alu instid0(SALU_CYCLE_1) | instskip(NEXT) | instid1(SALU_CYCLE_1)
	s_and_b32 s11, vcc_lo, s10
	s_and_saveexec_b32 s10, s11
	s_cbranch_execz .LBB8_600
; %bb.599:                              ;   in Loop: Header=BB8_49 Depth=1
	global_wb scope:SCOPE_SYS
	s_wait_storecnt 0x0
	s_wait_loadcnt_dscnt 0x0
	flat_store_b32 v[84:85], v77 scope:SCOPE_SYS
.LBB8_600:                              ;   in Loop: Header=BB8_49 Depth=1
	s_wait_xcnt 0x0
	s_or_b32 exec_lo, exec_lo, s10
	v_and_b32_e32 v10, 48, v30
	s_mov_b32 s10, exec_lo
	s_delay_alu instid0(VALU_DEP_1)
	v_cmpx_ne_u32_e32 0, v10
	s_cbranch_execz .LBB8_602
; %bb.601:                              ;   in Loop: Header=BB8_49 Depth=1
	v_add_nc_u64_e32 v[8:9], 1, v[8:9]
	global_wb scope:SCOPE_SYS
	s_wait_storecnt 0x0
	s_wait_loadcnt_dscnt 0x0
	flat_store_b64 v[64:65], v[8:9] scope:SCOPE_SYS
.LBB8_602:                              ;   in Loop: Header=BB8_49 Depth=1
	s_wait_xcnt 0x0
	s_or_b32 exec_lo, exec_lo, s10
	v_mov_b32_e32 v10, v45
.LBB8_603:                              ;   in Loop: Header=BB8_49 Depth=1
	s_or_b32 exec_lo, exec_lo, s27
	s_and_saveexec_b32 s11, s26
	s_cbranch_execz .LBB8_48
; %bb.604:                              ;   in Loop: Header=BB8_49 Depth=1
	s_delay_alu instid0(VALU_DEP_1) | instskip(SKIP_2) | instid1(VALU_DEP_2)
	v_sub_nc_u32_e32 v10, v44, v10
	v_and_b32_e32 v11, 12, v30
	s_mov_b32 s12, exec_lo
	v_min_i32_e32 v10, v45, v10
	s_delay_alu instid0(VALU_DEP_2)
	v_cmpx_ne_u32_e32 0, v11
	s_cbranch_execz .LBB8_630
; %bb.605:                              ;   in Loop: Header=BB8_49 Depth=1
	v_and_b32_e32 v86, 8, v30
	s_wait_dscnt 0x0
	v_add_nc_u64_e32 v[12:13], 1, v[8:9]
	s_mov_b32 s13, exec_lo
	s_wait_loadcnt 0x0
	v_add_nc_u64_e32 v[14:15], v[70:71], v[86:87]
	s_delay_alu instid0(VALU_DEP_1)
	v_cmpx_lt_u64_e64 v[14:15], v[12:13]
	s_cbranch_execz .LBB8_617
; %bb.606:                              ;   in Loop: Header=BB8_49 Depth=1
	v_and_b32_e32 v9, 64, v30
	s_mov_b32 s14, 0
	s_mov_b32 s28, 0
                                        ; implicit-def: $sgpr15
                                        ; implicit-def: $sgpr26
                                        ; implicit-def: $sgpr27
	s_delay_alu instid0(VALU_DEP_1)
	v_cmp_eq_u32_e32 vcc_lo, 0, v9
	s_branch .LBB8_610
.LBB8_607:                              ;   in Loop: Header=BB8_610 Depth=2
	s_wait_loadcnt_dscnt 0x0
	v_add_nc_u64_e32 v[14:15], v[70:71], v[86:87]
	s_or_b32 s41, s41, exec_lo
	s_delay_alu instid0(VALU_DEP_1)
	v_cmp_ge_u64_e64 s10, v[14:15], v[12:13]
	s_or_not1_b32 s40, s10, exec_lo
.LBB8_608:                              ;   in Loop: Header=BB8_610 Depth=2
	s_or_b32 exec_lo, exec_lo, s43
	s_delay_alu instid0(SALU_CYCLE_1)
	s_and_not1_b32 s10, s27, exec_lo
	s_and_b32 s27, s41, exec_lo
	s_and_not1_b32 s26, s26, exec_lo
	s_and_b32 s40, s40, exec_lo
	s_or_b32 s27, s10, s27
	s_or_b32 s26, s26, s40
.LBB8_609:                              ;   in Loop: Header=BB8_610 Depth=2
	s_or_b32 exec_lo, exec_lo, s29
	s_delay_alu instid0(SALU_CYCLE_1) | instskip(NEXT) | instid1(SALU_CYCLE_1)
	s_and_b32 s10, exec_lo, s26
	s_or_b32 s14, s10, s14
	s_and_not1_b32 s10, s15, exec_lo
	s_and_b32 s15, s27, exec_lo
	s_delay_alu instid0(SALU_CYCLE_1)
	s_or_b32 s15, s10, s15
	s_and_not1_b32 exec_lo, exec_lo, s14
	s_cbranch_execz .LBB8_614
.LBB8_610:                              ;   Parent Loop BB8_49 Depth=1
                                        ; =>  This Inner Loop Header: Depth=2
	s_sleep 1
	s_wait_loadcnt_dscnt 0x0
	flat_load_b64 v[70:71], v[64:65] scope:SCOPE_SYS
	s_or_b32 s27, s27, exec_lo
	s_or_b32 s26, s26, exec_lo
                                        ; implicit-def: $vgpr9
	s_wait_xcnt 0x0
	s_and_saveexec_b32 s29, vcc_lo
	s_cbranch_execz .LBB8_609
; %bb.611:                              ;   in Loop: Header=BB8_610 Depth=2
	s_cmp_lt_i32 s28, 0x270f
	s_mov_b32 s40, -1
	s_cselect_b32 s42, -1, 0
	s_cmp_gt_i32 s28, 0x270e
	s_cbranch_scc0 .LBB8_613
; %bb.612:                              ;   in Loop: Header=BB8_610 Depth=2
	s_trap 2
	ds_load_b64 v[14:15], v0
	s_and_not1_b32 s28, s42, exec_lo
	s_mov_b32 s41, 0
	s_wait_storecnt 0x0
	s_wait_loadcnt_dscnt 0x0
	flat_load_b32 v9, v[14:15] scope:SCOPE_SYS
	s_wait_loadcnt_dscnt 0x0
	global_inv scope:SCOPE_SYS
	v_cmp_eq_u32_e64 s10, 0, v9
	s_and_b32 s10, s10, exec_lo
	s_delay_alu instid0(SALU_CYCLE_1)
	s_or_b32 s42, s28, s10
	s_mov_b32 s28, 0
	s_and_saveexec_b32 s43, s42
	s_cbranch_execz .LBB8_608
	s_branch .LBB8_607
.LBB8_613:                              ;   in Loop: Header=BB8_610 Depth=2
	s_add_co_i32 s28, s28, 1
	s_mov_b32 s41, -1
                                        ; implicit-def: $vgpr9
	s_and_saveexec_b32 s43, s42
	s_cbranch_execz .LBB8_608
	s_branch .LBB8_607
.LBB8_614:                              ;   in Loop: Header=BB8_49 Depth=1
	s_or_b32 exec_lo, exec_lo, s14
	s_xor_b32 s10, s15, -1
	s_delay_alu instid0(SALU_CYCLE_1) | instskip(NEXT) | instid1(SALU_CYCLE_1)
	s_and_saveexec_b32 s14, s10
	s_xor_b32 s10, exec_lo, s14
	s_cbranch_execz .LBB8_616
; %bb.615:                              ;   in Loop: Header=BB8_49 Depth=1
	v_or_b32_e32 v30, 64, v30
	s_wait_storecnt 0x0
	s_wait_loadcnt_dscnt 0x0
	ds_store_b32 v0, v9
	s_trap 2
.LBB8_616:                              ;   in Loop: Header=BB8_49 Depth=1
	s_or_b32 exec_lo, exec_lo, s10
.LBB8_617:                              ;   in Loop: Header=BB8_49 Depth=1
	s_delay_alu instid0(SALU_CYCLE_1) | instskip(SKIP_3) | instid1(VALU_DEP_1)
	s_or_b32 exec_lo, exec_lo, s13
	v_and_b32_e32 v9, 0x108, v30
	s_mov_b32 s10, exec_lo
	;;#ASMSTART
	s_wakeup
	;;#ASMEND
                                        ; implicit-def: $vgpr14_vgpr15
	v_cmpx_ne_u32_e32 0x108, v9
	s_xor_b32 s10, exec_lo, s10
; %bb.618:                              ;   in Loop: Header=BB8_49 Depth=1
	v_dual_mov_b32 v15, v87 :: v_dual_bitop2_b32 v14, 7, v8 bitop3:0x40
; %bb.619:                              ;   in Loop: Header=BB8_49 Depth=1
	s_and_not1_saveexec_b32 s10, s10
	s_cbranch_execz .LBB8_621
; %bb.620:                              ;   in Loop: Header=BB8_49 Depth=1
	v_dual_ashrrev_i32 v11, 31, v10 :: v_dual_bitop2_b32 v14, 7, v8 bitop3:0x40
	v_mov_b32_e32 v15, v87
	s_delay_alu instid0(VALU_DEP_2) | instskip(NEXT) | instid1(VALU_DEP_3)
	v_mad_nc_u64_u32 v[8:9], v14, 24, v[6:7]
	v_lshlrev_b64_e32 v[16:17], 1, v[10:11]
	flat_store_b64 v[8:9], v[16:17] offset:8
.LBB8_621:                              ;   in Loop: Header=BB8_49 Depth=1
	s_wait_xcnt 0x0
	s_or_b32 exec_lo, exec_lo, s10
	v_and_b32_e32 v8, 0x100, v30
	s_mov_b32 s10, -1
	s_delay_alu instid0(VALU_DEP_1)
	v_cmp_ne_u32_e32 vcc_lo, 0, v8
                                        ; implicit-def: $vgpr8_vgpr9
	s_and_saveexec_b32 s13, vcc_lo
	s_cbranch_execz .LBB8_625
; %bb.622:                              ;   in Loop: Header=BB8_49 Depth=1
	v_mad_nc_u64_u32 v[16:17], v14, 24, v[6:7]
	s_delay_alu instid0(VALU_DEP_1)
	v_mad_u32 v17, v15, 24, v17
	flat_load_b32 v8, v[16:17]
	s_wait_loadcnt_dscnt 0x0
	v_cmp_eq_u32_e64 s10, 1, v8
	v_cmp_ne_u32_e32 vcc_lo, 1, v8
                                        ; implicit-def: $vgpr8_vgpr9
	s_wait_xcnt 0x0
	s_and_saveexec_b32 s14, s10
	s_cbranch_execz .LBB8_624
; %bb.623:                              ;   in Loop: Header=BB8_49 Depth=1
	flat_load_b32 v8, v[16:17] offset:4 scope:SCOPE_SYS
	s_wait_loadcnt_dscnt 0x0
	v_ashrrev_i32_e32 v9, 31, v8
	s_delay_alu instid0(VALU_DEP_1)
	v_lshrrev_b64 v[8:9], 1, v[8:9]
.LBB8_624:                              ;   in Loop: Header=BB8_49 Depth=1
	s_wait_xcnt 0x0
	s_or_b32 exec_lo, exec_lo, s14
	s_delay_alu instid0(SALU_CYCLE_1)
	s_or_not1_b32 s10, vcc_lo, exec_lo
.LBB8_625:                              ;   in Loop: Header=BB8_49 Depth=1
	s_or_b32 exec_lo, exec_lo, s13
	s_and_saveexec_b32 s13, s10
; %bb.626:                              ;   in Loop: Header=BB8_49 Depth=1
	v_mul_u64_e32 v[8:9], v[14:15], v[66:67]
; %bb.627:                              ;   in Loop: Header=BB8_49 Depth=1
	s_or_b32 exec_lo, exec_lo, s13
	v_cmp_eq_u32_e32 vcc_lo, 0, v86
	v_and_b32_e32 v14, 0x2000, v30
	s_delay_alu instid0(VALU_DEP_3) | instskip(SKIP_2) | instid1(VALU_DEP_1)
	v_lshl_add_u64 v[8:9], v[8:9], 1, v[68:69]
	s_mov_b32 s10, exec_lo
	v_cndmask_b32_e32 v11, 0xc8, v78, vcc_lo
	v_add_nc_u32_e32 v11, v0, v11
	ds_store_b64 v11, v[8:9] offset:584
	v_cmpx_ne_u32_e32 0, v14
	s_cbranch_execz .LBB8_629
; %bb.628:                              ;   in Loop: Header=BB8_49 Depth=1
	ds_load_b64 v[8:9], v0 offset:872
	s_wait_dscnt 0x0
	v_add_nc_u64_e32 v[8:9], 1, v[8:9]
	ds_store_b64 v0, v[8:9] offset:872
.LBB8_629:                              ;   in Loop: Header=BB8_49 Depth=1
	s_or_b32 exec_lo, exec_lo, s10
	v_mov_b64_e32 v[8:9], v[12:13]
.LBB8_630:                              ;   in Loop: Header=BB8_49 Depth=1
	s_or_b32 exec_lo, exec_lo, s12
	s_and_saveexec_b32 s10, s2
	s_cbranch_execz .LBB8_649
; %bb.631:                              ;   in Loop: Header=BB8_49 Depth=1
	s_and_saveexec_b32 s12, s3
	s_delay_alu instid0(SALU_CYCLE_1)
	s_xor_b32 s12, exec_lo, s12
	s_cbranch_execz .LBB8_646
; %bb.632:                              ;   in Loop: Header=BB8_49 Depth=1
	s_and_saveexec_b32 s13, s4
	s_cbranch_execz .LBB8_645
; %bb.633:                              ;   in Loop: Header=BB8_49 Depth=1
	s_mov_b32 s15, exec_lo
	s_mov_b32 s14, exec_lo
	v_mbcnt_lo_u32_b32 v11, s15, 0
	global_wb scope:SCOPE_DEV
	s_wait_storecnt 0x0
	s_wait_loadcnt_dscnt 0x0
	global_inv scope:SCOPE_DEV
	v_cmpx_eq_u32_e32 0, v11
	s_cbranch_execz .LBB8_635
; %bb.634:                              ;   in Loop: Header=BB8_49 Depth=1
	s_bcnt1_i32_b32 s15, s15
	s_delay_alu instid0(SALU_CYCLE_1)
	v_mov_b32_e32 v86, s15
	s_wait_loadcnt 0x0
	ds_add_u64 v0, v[86:87]
	s_trap 2
.LBB8_635:                              ;   in Loop: Header=BB8_49 Depth=1
	s_or_b32 exec_lo, exec_lo, s14
	s_trap 2
	ds_load_b64 v[12:13], v0
	s_wait_dscnt 0x0
	v_add_nc_u64_e32 v[80:81], v[80:81], v[96:97]
	s_mov_b32 s14, exec_lo
	s_delay_alu instid0(VALU_DEP_1)
	v_cmpx_lt_u64_e64 v[12:13], v[80:81]
	s_cbranch_execz .LBB8_644
; %bb.636:                              ;   in Loop: Header=BB8_49 Depth=1
	s_mov_b32 s15, 0
	s_mov_b32 s28, 0
                                        ; implicit-def: $sgpr26
                                        ; implicit-def: $sgpr27
	s_branch .LBB8_638
.LBB8_637:                              ;   in Loop: Header=BB8_638 Depth=2
	s_or_b32 exec_lo, exec_lo, s40
	s_delay_alu instid0(SALU_CYCLE_1) | instskip(NEXT) | instid1(SALU_CYCLE_1)
	s_and_b32 s29, exec_lo, s41
	s_or_b32 s15, s29, s15
	s_and_not1_b32 s26, s26, exec_lo
	s_and_b32 s29, s27, exec_lo
	s_delay_alu instid0(SALU_CYCLE_1)
	s_or_b32 s26, s26, s29
	s_and_not1_b32 exec_lo, exec_lo, s15
	s_cbranch_execz .LBB8_642
.LBB8_638:                              ;   Parent Loop BB8_49 Depth=1
                                        ; =>  This Inner Loop Header: Depth=2
	s_add_co_i32 s28, s28, 1
	s_delay_alu instid0(SALU_CYCLE_1) | instskip(SKIP_1) | instid1(SALU_CYCLE_1)
	s_cmp_lg_u32 s28, 0x2710
	s_cselect_b32 s29, -1, 0
	s_and_b32 vcc_lo, exec_lo, s29
	s_cbranch_vccz .LBB8_640
; %bb.639:                              ;   in Loop: Header=BB8_638 Depth=2
	s_mov_b32 s41, -1
	s_or_b32 s27, s27, exec_lo
	s_and_saveexec_b32 s40, s29
	s_cbranch_execz .LBB8_637
	s_branch .LBB8_641
.LBB8_640:                              ;   in Loop: Header=BB8_638 Depth=2
	s_trap 2
	ds_load_b64 v[12:13], v0
	s_and_not1_b32 s29, s29, exec_lo
	s_mov_b32 s28, 0
	s_wait_loadcnt_dscnt 0x0
	flat_load_b32 v11, v[12:13] scope:SCOPE_SYS
	s_wait_loadcnt_dscnt 0x0
	global_inv scope:SCOPE_SYS
	v_cmp_eq_u32_e32 vcc_lo, 0, v11
	s_and_b32 s40, vcc_lo, exec_lo
	s_delay_alu instid0(SALU_CYCLE_1)
	s_or_b32 s29, s29, s40
	s_mov_b32 s41, -1
	s_or_b32 s27, s27, exec_lo
	s_and_saveexec_b32 s40, s29
	s_cbranch_execz .LBB8_637
.LBB8_641:                              ;   in Loop: Header=BB8_638 Depth=2
	s_sleep 1
	s_trap 2
	ds_load_b64 v[12:13], v0
	s_wait_dscnt 0x0
	s_and_not1_b32 s27, s27, exec_lo
	v_cmp_ge_u64_e32 vcc_lo, v[12:13], v[80:81]
	s_or_not1_b32 s41, vcc_lo, exec_lo
	s_branch .LBB8_637
.LBB8_642:                              ;   in Loop: Header=BB8_49 Depth=1
	s_or_b32 exec_lo, exec_lo, s15
	s_and_saveexec_b32 s15, s26
	s_delay_alu instid0(SALU_CYCLE_1)
	s_xor_b32 s15, exec_lo, s15
	s_cbranch_execz .LBB8_644
; %bb.643:                              ;   in Loop: Header=BB8_49 Depth=1
	ds_store_b32 v0, v77
	s_trap 2
.LBB8_644:                              ;   in Loop: Header=BB8_49 Depth=1
	s_or_b32 exec_lo, exec_lo, s14
	;;#ASMSTART
	s_wakeup
	;;#ASMEND
.LBB8_645:                              ;   in Loop: Header=BB8_49 Depth=1
	s_or_b32 exec_lo, exec_lo, s13
.LBB8_646:                              ;   in Loop: Header=BB8_49 Depth=1
	s_and_not1_saveexec_b32 s12, s12
	s_cbranch_execz .LBB8_648
; %bb.647:                              ;   in Loop: Header=BB8_49 Depth=1
	global_wb scope:SCOPE_DEV
	s_wait_storecnt 0x0
	s_wait_loadcnt_dscnt 0x0
	global_inv scope:SCOPE_DEV
	s_barrier_signal -1
	s_barrier_wait -1
.LBB8_648:                              ;   in Loop: Header=BB8_49 Depth=1
	s_or_b32 exec_lo, exec_lo, s12
.LBB8_649:                              ;   in Loop: Header=BB8_49 Depth=1
	s_delay_alu instid0(SALU_CYCLE_1)
	s_or_b32 exec_lo, exec_lo, s10
	s_trap 2
	ds_load_b32 v11, v0
	v_cmp_lt_i32_e32 vcc_lo, 0, v10
	s_wait_dscnt 0x0
	v_readfirstlane_b32 s10, v11
	v_and_b32_e32 v11, 16, v30
	s_cmp_eq_u32 s10, 0
	s_delay_alu instid0(VALU_DEP_1) | instskip(SKIP_1) | instid1(SALU_CYCLE_1)
	v_cmp_ne_u32_e64 s10, 0, v11
	s_cselect_b32 s12, -1, 0
	s_and_b32 s12, vcc_lo, s12
	s_delay_alu instid0(SALU_CYCLE_1) | instskip(NEXT) | instid1(SALU_CYCLE_1)
	s_and_b32 s12, s10, s12
	s_and_saveexec_b32 s10, s12
	s_cbranch_execz .LBB8_651
; %bb.650:                              ;   in Loop: Header=BB8_49 Depth=1
	global_wb scope:SCOPE_SYS
	s_wait_loadcnt 0x0
	s_wait_storecnt 0x0
	global_inv scope:SCOPE_SYS
.LBB8_651:                              ;   in Loop: Header=BB8_49 Depth=1
	s_or_b32 exec_lo, exec_lo, s10
	v_cmp_ne_u32_e32 vcc_lo, 0, v11
	s_xor_b32 s10, s7, -1
	s_delay_alu instid0(SALU_CYCLE_1) | instskip(NEXT) | instid1(SALU_CYCLE_1)
	s_and_b32 s12, vcc_lo, s10
	s_and_saveexec_b32 s10, s12
	s_cbranch_execz .LBB8_653
; %bb.652:                              ;   in Loop: Header=BB8_49 Depth=1
	global_wb scope:SCOPE_SYS
	s_wait_loadcnt 0x0
	s_wait_storecnt 0x0
	flat_store_b32 v[84:85], v77 scope:SCOPE_SYS
.LBB8_653:                              ;   in Loop: Header=BB8_49 Depth=1
	s_wait_xcnt 0x0
	s_or_b32 exec_lo, exec_lo, s10
	v_and_b32_e32 v10, 48, v30
	s_mov_b32 s10, exec_lo
	s_delay_alu instid0(VALU_DEP_1)
	v_cmpx_ne_u32_e32 0, v10
	s_cbranch_execz .LBB8_47
; %bb.654:                              ;   in Loop: Header=BB8_49 Depth=1
	v_add_nc_u64_e32 v[8:9], 1, v[8:9]
	global_wb scope:SCOPE_SYS
	s_wait_storecnt 0x0
	s_wait_loadcnt_dscnt 0x0
	flat_store_b64 v[64:65], v[8:9] scope:SCOPE_SYS
	s_branch .LBB8_47
.LBB8_655:
	s_or_b32 exec_lo, exec_lo, s22
.LBB8_656:
	s_delay_alu instid0(SALU_CYCLE_1)
	s_or_b32 exec_lo, exec_lo, s20
                                        ; implicit-def: $vgpr52_vgpr53
                                        ; implicit-def: $vgpr4_vgpr5
                                        ; implicit-def: $vgpr66
                                        ; implicit-def: $vgpr70_vgpr71
                                        ; implicit-def: $vgpr68_vgpr69
                                        ; implicit-def: $vgpr64_vgpr65
                                        ; implicit-def: $vgpr0
                                        ; implicit-def: $vgpr15
                                        ; implicit-def: $vgpr82_vgpr83
.LBB8_657:
	s_and_not1_saveexec_b32 s19, s19
	s_cbranch_execz .LBB8_1258
; %bb.658:
	v_mov_b64_e32 v[80:81], 0
	s_mov_b32 s20, exec_lo
	v_cmpx_ne_u64_e32 0, v[4:5]
	s_cbranch_execz .LBB8_1257
; %bb.659:
	s_wait_dscnt 0x1
	v_dual_mov_b32 v87, 0 :: v_dual_lshrrev_b32 v84, 5, v1
	v_dual_ashrrev_i32 v67, 31, v66 :: v_dual_bitop2_b32 v10, 31, v31 bitop3:0x40
	v_and_b32_e32 v60, 31, v0
	s_delay_alu instid0(VALU_DEP_3) | instskip(SKIP_1) | instid1(VALU_DEP_4)
	v_dual_lshlrev_b32 v61, 9, v84 :: v_dual_lshlrev_b32 v62, 6, v84
	v_lshl_add_u32 v96, v84, 10, 0xfffffc00
	v_cmp_eq_u32_e64 s4, 0, v10
	s_delay_alu instid0(VALU_DEP_3) | instskip(SKIP_3) | instid1(VALU_DEP_4)
	v_dual_mov_b32 v85, v87 :: v_dual_add_nc_u32 v98, 0xfffffe00, v61
	v_mov_b32_e32 v103, v87
	v_subrev_nc_u32_e32 v100, 64, v62
	v_lshrrev_b32_e32 v63, 5, v0
	v_dual_ashrrev_i32 v97, 31, v96 :: v_dual_ashrrev_i32 v99, 31, v98
	v_dual_mov_b32 v73, 1 :: v_dual_lshlrev_b32 v10, 4, v60
	s_delay_alu instid0(VALU_DEP_4)
	v_ashrrev_i32_e32 v101, 31, v100
	s_lshr_b32 s2, s17, 27
	v_cmp_eq_u32_e32 vcc_lo, 32, v1
	s_add_co_i32 s2, s17, s2
	v_add_nc_u64_e32 v[112:113], 0x400, v[96:97]
	v_add_nc_u64_e32 v[114:115], 0x200, v[98:99]
	;; [unrolled: 1-line block ×3, first 2 shown]
	v_mov_b64_e32 v[118:119], 0
	v_mov_b64_e32 v[80:81], 0
	v_cmp_ge_u32_e64 s1, v0, v1
	s_ashr_i32 s21, s2, 5
	v_cmp_ne_u32_e64 s2, 32, v1
	v_cmp_ne_u32_e64 s3, v1, v72
	v_cmp_le_u32_e64 s5, v60, v15
	v_cmp_eq_u32_e64 s6, 0, v60
	v_lshl_or_b32 v102, v63, 10, v10
	s_mov_b32 s22, 0
	s_add_co_i32 s23, s33, 0xd0
	s_add_co_i32 s24, s33, 0xb0
	s_xor_b32 s25, vcc_lo, -1
	s_trap 2
	s_branch .LBB8_662
.LBB8_660:                              ;   in Loop: Header=BB8_662 Depth=1
	s_wait_xcnt 0x0
	s_or_b32 exec_lo, exec_lo, s7
.LBB8_661:                              ;   in Loop: Header=BB8_662 Depth=1
	s_delay_alu instid0(SALU_CYCLE_1) | instskip(SKIP_1) | instid1(VALU_DEP_1)
	s_or_b32 exec_lo, exec_lo, s10
	v_add_nc_u64_e32 v[118:119], v[118:119], v[82:83]
	v_cmp_ge_u64_e32 vcc_lo, v[118:119], v[4:5]
	s_or_b32 s22, vcc_lo, s22
	s_delay_alu instid0(SALU_CYCLE_1)
	s_and_not1_b32 exec_lo, exec_lo, s22
	s_cbranch_execz .LBB8_1256
.LBB8_662:                              ; =>This Loop Header: Depth=1
                                        ;     Child Loop BB8_671 Depth 2
                                        ;     Child Loop BB8_695 Depth 2
	;; [unrolled: 1-line block ×5, first 2 shown]
                                        ;       Child Loop BB8_944 Depth 3
                                        ;       Child Loop BB8_981 Depth 3
                                        ;     Child Loop BB8_1058 Depth 2
                                        ;     Child Loop BB8_1165 Depth 2
                                        ;       Child Loop BB8_1166 Depth 3
                                        ;       Child Loop BB8_1175 Depth 3
                                        ;     Child Loop BB8_1194 Depth 2
                                        ;     Child Loop BB8_1217 Depth 2
	;; [unrolled: 1-line block ×3, first 2 shown]
	v_sub_nc_u64_e32 v[10:11], v[4:5], v[118:119]
	v_mov_b32_e32 v14, 0
	s_delay_alu instid0(VALU_DEP_2) | instskip(NEXT) | instid1(VALU_DEP_1)
	v_min_u64 v[40:41], v[82:83], v[10:11]
	v_add_nc_u32_e32 v10, 15, v40
	s_delay_alu instid0(VALU_DEP_2) | instskip(NEXT) | instid1(VALU_DEP_2)
	v_cmp_eq_u64_e32 vcc_lo, 0, v[40:41]
	v_and_b32_e32 v10, 0x3ffffff0, v10
	s_or_b32 s26, s1, vcc_lo
	s_delay_alu instid0(SALU_CYCLE_1) | instskip(NEXT) | instid1(VALU_DEP_1)
	s_xor_b32 s7, s26, -1
	v_max_i32_e32 v41, s21, v10
	s_and_saveexec_b32 s27, s7
	s_cbranch_execz .LBB8_1210
; %bb.663:                              ;   in Loop: Header=BB8_662 Depth=1
	s_and_saveexec_b32 s7, s0
	s_cbranch_execz .LBB8_665
; %bb.664:                              ;   in Loop: Header=BB8_662 Depth=1
	s_trap 2
	ds_load_b64 v[14:15], v0
	ds_load_2addr_b64 v[10:13], v0 offset1:1
	v_add_nc_u64_e32 v[16:17], v[118:119], v[52:53]
	s_delay_alu instid0(VALU_DEP_1) | instskip(SKIP_1) | instid1(VALU_DEP_1)
	v_lshlrev_b64_e32 v[16:17], 1, v[16:17]
	s_wait_dscnt 0x1
	v_add_nc_u64_e32 v[18:19], v[14:15], v[16:17]
	v_cmp_ne_u64_e32 vcc_lo, 0, v[14:15]
	s_wait_dscnt 0x0
	v_add_nc_u64_e32 v[10:11], v[10:11], v[16:17]
	v_add_nc_u64_e32 v[12:13], v[12:13], v[16:17]
	s_delay_alu instid0(VALU_DEP_4)
	v_dual_cndmask_b32 v15, 0, v19 :: v_dual_cndmask_b32 v14, 0, v18
	ds_store_b64 v0, v[10:11]
	ds_store_b64 v0, v[12:13]
	;; [unrolled: 1-line block ×3, first 2 shown]
.LBB8_665:                              ;   in Loop: Header=BB8_662 Depth=1
	s_or_b32 exec_lo, exec_lo, s7
	v_and_b32_e32 v10, 4, v30
	s_mov_b32 s10, exec_lo
	s_delay_alu instid0(VALU_DEP_1)
	v_cmpx_ne_u32_e32 0, v10
	s_cbranch_execz .LBB8_687
; %bb.666:                              ;   in Loop: Header=BB8_662 Depth=1
	s_wait_dscnt 0x0
	v_add_nc_u64_e32 v[10:11], 1, v[8:9]
	s_mov_b32 s11, exec_lo
	s_wait_loadcnt 0x0
	s_delay_alu instid0(VALU_DEP_1)
	v_cmpx_lt_u64_e64 v[70:71], v[10:11]
	s_cbranch_execz .LBB8_678
; %bb.667:                              ;   in Loop: Header=BB8_662 Depth=1
	v_and_b32_e32 v9, 64, v30
	s_mov_b32 s12, 0
	s_mov_b32 s28, 0
                                        ; implicit-def: $sgpr13
                                        ; implicit-def: $sgpr14
                                        ; implicit-def: $sgpr15
	s_delay_alu instid0(VALU_DEP_1)
	v_cmp_eq_u32_e32 vcc_lo, 0, v9
	s_branch .LBB8_671
.LBB8_668:                              ;   in Loop: Header=BB8_671 Depth=2
	s_wait_loadcnt_dscnt 0x0
	v_cmp_ge_u64_e64 s7, v[70:71], v[10:11]
	s_or_b32 s41, s41, exec_lo
	s_or_not1_b32 s40, s7, exec_lo
.LBB8_669:                              ;   in Loop: Header=BB8_671 Depth=2
	s_or_b32 exec_lo, exec_lo, s43
	s_delay_alu instid0(SALU_CYCLE_1)
	s_and_not1_b32 s7, s15, exec_lo
	s_and_b32 s15, s41, exec_lo
	s_and_not1_b32 s14, s14, exec_lo
	s_and_b32 s40, s40, exec_lo
	s_or_b32 s15, s7, s15
	s_or_b32 s14, s14, s40
.LBB8_670:                              ;   in Loop: Header=BB8_671 Depth=2
	s_or_b32 exec_lo, exec_lo, s29
	s_delay_alu instid0(SALU_CYCLE_1) | instskip(NEXT) | instid1(SALU_CYCLE_1)
	s_and_b32 s7, exec_lo, s14
	s_or_b32 s12, s7, s12
	s_and_not1_b32 s7, s13, exec_lo
	s_and_b32 s13, s15, exec_lo
	s_delay_alu instid0(SALU_CYCLE_1)
	s_or_b32 s13, s7, s13
	s_and_not1_b32 exec_lo, exec_lo, s12
	s_cbranch_execz .LBB8_675
.LBB8_671:                              ;   Parent Loop BB8_662 Depth=1
                                        ; =>  This Inner Loop Header: Depth=2
	s_sleep 1
	s_wait_loadcnt_dscnt 0x0
	flat_load_b64 v[70:71], v[64:65] scope:SCOPE_SYS
	s_or_b32 s15, s15, exec_lo
	s_or_b32 s14, s14, exec_lo
                                        ; implicit-def: $vgpr9
	s_wait_xcnt 0x0
	s_and_saveexec_b32 s29, vcc_lo
	s_cbranch_execz .LBB8_670
; %bb.672:                              ;   in Loop: Header=BB8_671 Depth=2
	s_cmp_lt_i32 s28, 0x270f
	s_mov_b32 s40, -1
	s_cselect_b32 s42, -1, 0
	s_cmp_gt_i32 s28, 0x270e
	s_cbranch_scc0 .LBB8_674
; %bb.673:                              ;   in Loop: Header=BB8_671 Depth=2
	s_trap 2
	ds_load_b64 v[12:13], v0
	s_and_not1_b32 s28, s42, exec_lo
	s_mov_b32 s41, 0
	s_wait_storecnt 0x0
	s_wait_loadcnt_dscnt 0x0
	flat_load_b32 v9, v[12:13] scope:SCOPE_SYS
	s_wait_loadcnt_dscnt 0x0
	global_inv scope:SCOPE_SYS
	v_cmp_eq_u32_e64 s7, 0, v9
	s_and_b32 s7, s7, exec_lo
	s_delay_alu instid0(SALU_CYCLE_1)
	s_or_b32 s42, s28, s7
	s_mov_b32 s28, 0
	s_wait_xcnt 0x0
	s_and_saveexec_b32 s43, s42
	s_cbranch_execz .LBB8_669
	s_branch .LBB8_668
.LBB8_674:                              ;   in Loop: Header=BB8_671 Depth=2
	s_add_co_i32 s28, s28, 1
	s_mov_b32 s41, -1
                                        ; implicit-def: $vgpr9
	s_and_saveexec_b32 s43, s42
	s_cbranch_execz .LBB8_669
	s_branch .LBB8_668
.LBB8_675:                              ;   in Loop: Header=BB8_662 Depth=1
	s_or_b32 exec_lo, exec_lo, s12
	s_xor_b32 s7, s13, -1
	s_delay_alu instid0(SALU_CYCLE_1) | instskip(NEXT) | instid1(SALU_CYCLE_1)
	s_and_saveexec_b32 s12, s7
	s_xor_b32 s7, exec_lo, s12
	s_cbranch_execz .LBB8_677
; %bb.676:                              ;   in Loop: Header=BB8_662 Depth=1
	v_or_b32_e32 v30, 64, v30
	s_wait_storecnt 0x0
	s_wait_loadcnt_dscnt 0x0
	ds_store_b32 v0, v9
	s_trap 2
.LBB8_677:                              ;   in Loop: Header=BB8_662 Depth=1
	s_or_b32 exec_lo, exec_lo, s7
.LBB8_678:                              ;   in Loop: Header=BB8_662 Depth=1
	s_delay_alu instid0(SALU_CYCLE_1) | instskip(SKIP_4) | instid1(VALU_DEP_2)
	s_or_b32 exec_lo, exec_lo, s11
	v_and_b32_e32 v9, 0x100, v30
	v_and_b32_e32 v86, 7, v8
	s_mov_b32 s7, -1
	;;#ASMSTART
	s_wakeup
	;;#ASMEND
	v_cmp_ne_u32_e32 vcc_lo, 0, v9
                                        ; implicit-def: $vgpr8_vgpr9
	s_and_saveexec_b32 s11, vcc_lo
	s_cbranch_execz .LBB8_682
; %bb.679:                              ;   in Loop: Header=BB8_662 Depth=1
	v_mad_nc_u64_u32 v[12:13], v86, 24, v[6:7]
	flat_load_b32 v8, v[12:13]
	s_wait_loadcnt_dscnt 0x0
	v_cmp_eq_u32_e64 s7, 1, v8
	v_cmp_ne_u32_e32 vcc_lo, 1, v8
                                        ; implicit-def: $vgpr8_vgpr9
	s_wait_xcnt 0x0
	s_and_saveexec_b32 s12, s7
	s_cbranch_execz .LBB8_681
; %bb.680:                              ;   in Loop: Header=BB8_662 Depth=1
	flat_load_b32 v8, v[12:13] offset:4 scope:SCOPE_SYS
	s_wait_loadcnt_dscnt 0x0
	v_ashrrev_i32_e32 v9, 31, v8
	s_delay_alu instid0(VALU_DEP_1)
	v_lshrrev_b64 v[8:9], 1, v[8:9]
.LBB8_681:                              ;   in Loop: Header=BB8_662 Depth=1
	s_wait_xcnt 0x0
	s_or_b32 exec_lo, exec_lo, s12
	s_delay_alu instid0(SALU_CYCLE_1)
	s_or_not1_b32 s7, vcc_lo, exec_lo
.LBB8_682:                              ;   in Loop: Header=BB8_662 Depth=1
	s_or_b32 exec_lo, exec_lo, s11
	s_and_saveexec_b32 s11, s7
; %bb.683:                              ;   in Loop: Header=BB8_662 Depth=1
	v_mul_u64_e32 v[8:9], v[86:87], v[66:67]
; %bb.684:                              ;   in Loop: Header=BB8_662 Depth=1
	s_or_b32 exec_lo, exec_lo, s11
	v_and_b32_e32 v12, 0x2000, v30
	s_delay_alu instid0(VALU_DEP_2)
	v_lshl_add_u64 v[8:9], v[8:9], 1, v[68:69]
	s_mov_b32 s7, exec_lo
	ds_store_b64 v0, v[8:9] offset:728
	v_cmpx_ne_u32_e32 0, v12
	s_cbranch_execz .LBB8_686
; %bb.685:                              ;   in Loop: Header=BB8_662 Depth=1
	ds_load_b64 v[8:9], v0 offset:872
	s_wait_dscnt 0x0
	v_add_nc_u64_e32 v[8:9], 1, v[8:9]
	ds_store_b64 v0, v[8:9] offset:872
.LBB8_686:                              ;   in Loop: Header=BB8_662 Depth=1
	s_or_b32 exec_lo, exec_lo, s7
	v_mov_b64_e32 v[8:9], v[10:11]
.LBB8_687:                              ;   in Loop: Header=BB8_662 Depth=1
	s_or_b32 exec_lo, exec_lo, s10
	s_and_saveexec_b32 s7, s2
	s_cbranch_execz .LBB8_706
; %bb.688:                              ;   in Loop: Header=BB8_662 Depth=1
	s_and_saveexec_b32 s10, s3
	s_delay_alu instid0(SALU_CYCLE_1)
	s_xor_b32 s10, exec_lo, s10
	s_cbranch_execz .LBB8_703
; %bb.689:                              ;   in Loop: Header=BB8_662 Depth=1
	s_and_saveexec_b32 s11, s4
	s_cbranch_execz .LBB8_702
; %bb.690:                              ;   in Loop: Header=BB8_662 Depth=1
	s_mov_b32 s13, exec_lo
	s_mov_b32 s12, exec_lo
	v_mbcnt_lo_u32_b32 v10, s13, 0
	global_wb scope:SCOPE_DEV
	s_wait_storecnt 0x0
	s_wait_loadcnt_dscnt 0x0
	global_inv scope:SCOPE_DEV
	v_cmpx_eq_u32_e32 0, v10
	s_cbranch_execz .LBB8_692
; %bb.691:                              ;   in Loop: Header=BB8_662 Depth=1
	s_bcnt1_i32_b32 s13, s13
	s_delay_alu instid0(SALU_CYCLE_1)
	v_mov_b32_e32 v86, s13
	s_wait_loadcnt 0x0
	ds_add_u64 v0, v[86:87]
	s_trap 2
.LBB8_692:                              ;   in Loop: Header=BB8_662 Depth=1
	s_or_b32 exec_lo, exec_lo, s12
	s_trap 2
	ds_load_b64 v[10:11], v0
	s_wait_dscnt 0x0
	v_add_nc_u64_e32 v[80:81], v[80:81], v[84:85]
	s_mov_b32 s12, exec_lo
	s_delay_alu instid0(VALU_DEP_1)
	v_cmpx_lt_u64_e64 v[10:11], v[80:81]
	s_cbranch_execz .LBB8_701
; %bb.693:                              ;   in Loop: Header=BB8_662 Depth=1
	s_mov_b32 s13, 0
	s_mov_b32 s28, 0
                                        ; implicit-def: $sgpr14
                                        ; implicit-def: $sgpr15
	s_branch .LBB8_695
.LBB8_694:                              ;   in Loop: Header=BB8_695 Depth=2
	s_or_b32 exec_lo, exec_lo, s40
	s_delay_alu instid0(SALU_CYCLE_1) | instskip(NEXT) | instid1(SALU_CYCLE_1)
	s_and_b32 s29, exec_lo, s41
	s_or_b32 s13, s29, s13
	s_and_not1_b32 s14, s14, exec_lo
	s_and_b32 s29, s15, exec_lo
	s_delay_alu instid0(SALU_CYCLE_1)
	s_or_b32 s14, s14, s29
	s_and_not1_b32 exec_lo, exec_lo, s13
	s_cbranch_execz .LBB8_699
.LBB8_695:                              ;   Parent Loop BB8_662 Depth=1
                                        ; =>  This Inner Loop Header: Depth=2
	s_add_co_i32 s28, s28, 1
	s_delay_alu instid0(SALU_CYCLE_1) | instskip(SKIP_1) | instid1(SALU_CYCLE_1)
	s_cmp_lg_u32 s28, 0x2710
	s_cselect_b32 s29, -1, 0
	s_and_b32 vcc_lo, exec_lo, s29
	s_cbranch_vccz .LBB8_697
; %bb.696:                              ;   in Loop: Header=BB8_695 Depth=2
	s_mov_b32 s41, -1
	s_or_b32 s15, s15, exec_lo
	s_and_saveexec_b32 s40, s29
	s_cbranch_execz .LBB8_694
	s_branch .LBB8_698
.LBB8_697:                              ;   in Loop: Header=BB8_695 Depth=2
	s_trap 2
	ds_load_b64 v[10:11], v0
	s_and_not1_b32 s29, s29, exec_lo
	s_mov_b32 s28, 0
	s_wait_loadcnt_dscnt 0x0
	flat_load_b32 v10, v[10:11] scope:SCOPE_SYS
	s_wait_loadcnt_dscnt 0x0
	global_inv scope:SCOPE_SYS
	v_cmp_eq_u32_e32 vcc_lo, 0, v10
	s_and_b32 s40, vcc_lo, exec_lo
	s_delay_alu instid0(SALU_CYCLE_1)
	s_or_b32 s29, s29, s40
	s_mov_b32 s41, -1
	s_or_b32 s15, s15, exec_lo
	s_wait_xcnt 0x0
	s_and_saveexec_b32 s40, s29
	s_cbranch_execz .LBB8_694
.LBB8_698:                              ;   in Loop: Header=BB8_695 Depth=2
	s_sleep 1
	s_trap 2
	ds_load_b64 v[10:11], v0
	s_wait_dscnt 0x0
	s_and_not1_b32 s15, s15, exec_lo
	v_cmp_ge_u64_e32 vcc_lo, v[10:11], v[80:81]
	s_or_not1_b32 s41, vcc_lo, exec_lo
	s_branch .LBB8_694
.LBB8_699:                              ;   in Loop: Header=BB8_662 Depth=1
	s_or_b32 exec_lo, exec_lo, s13
	s_and_saveexec_b32 s13, s14
	s_delay_alu instid0(SALU_CYCLE_1)
	s_xor_b32 s13, exec_lo, s13
	s_cbranch_execz .LBB8_701
; %bb.700:                              ;   in Loop: Header=BB8_662 Depth=1
	ds_store_b32 v0, v73
	s_trap 2
.LBB8_701:                              ;   in Loop: Header=BB8_662 Depth=1
	s_or_b32 exec_lo, exec_lo, s12
	;;#ASMSTART
	s_wakeup
	;;#ASMEND
.LBB8_702:                              ;   in Loop: Header=BB8_662 Depth=1
	s_or_b32 exec_lo, exec_lo, s11
.LBB8_703:                              ;   in Loop: Header=BB8_662 Depth=1
	s_and_not1_saveexec_b32 s10, s10
	s_cbranch_execz .LBB8_705
; %bb.704:                              ;   in Loop: Header=BB8_662 Depth=1
	global_wb scope:SCOPE_DEV
	s_wait_storecnt 0x0
	s_wait_loadcnt_dscnt 0x0
	global_inv scope:SCOPE_DEV
	s_barrier_signal -1
	s_barrier_wait -1
.LBB8_705:                              ;   in Loop: Header=BB8_662 Depth=1
	s_or_b32 exec_lo, exec_lo, s10
.LBB8_706:                              ;   in Loop: Header=BB8_662 Depth=1
	s_delay_alu instid0(SALU_CYCLE_1) | instskip(SKIP_3) | instid1(VALU_DEP_1)
	s_or_b32 exec_lo, exec_lo, s7
	s_trap 2
	ds_load_b32 v10, v0
	v_and_b32_e32 v11, 0x4000, v30
	v_cmp_ne_u32_e32 vcc_lo, 0, v11
	s_and_b32 s10, s25, vcc_lo
	s_delay_alu instid0(SALU_CYCLE_1)
	s_and_saveexec_b32 s7, s10
	s_cbranch_execz .LBB8_725
; %bb.707:                              ;   in Loop: Header=BB8_662 Depth=1
	s_and_saveexec_b32 s10, s3
	s_delay_alu instid0(SALU_CYCLE_1)
	s_xor_b32 s10, exec_lo, s10
	s_cbranch_execz .LBB8_722
; %bb.708:                              ;   in Loop: Header=BB8_662 Depth=1
	s_and_saveexec_b32 s11, s4
	s_cbranch_execz .LBB8_721
; %bb.709:                              ;   in Loop: Header=BB8_662 Depth=1
	s_mov_b32 s13, exec_lo
	s_mov_b32 s12, exec_lo
	v_mbcnt_lo_u32_b32 v11, s13, 0
	global_wb scope:SCOPE_DEV
	s_wait_storecnt 0x0
	s_wait_loadcnt_dscnt 0x0
	global_inv scope:SCOPE_DEV
	v_cmpx_eq_u32_e32 0, v11
	s_cbranch_execz .LBB8_711
; %bb.710:                              ;   in Loop: Header=BB8_662 Depth=1
	s_bcnt1_i32_b32 s13, s13
	s_delay_alu instid0(SALU_CYCLE_1)
	v_mov_b32_e32 v86, s13
	s_wait_loadcnt 0x0
	ds_add_u64 v0, v[86:87]
	s_trap 2
.LBB8_711:                              ;   in Loop: Header=BB8_662 Depth=1
	s_or_b32 exec_lo, exec_lo, s12
	s_trap 2
	ds_load_b64 v[12:13], v0
	s_wait_dscnt 0x0
	v_add_nc_u64_e32 v[80:81], v[80:81], v[84:85]
	s_mov_b32 s12, exec_lo
	s_delay_alu instid0(VALU_DEP_1)
	v_cmpx_lt_u64_e64 v[12:13], v[80:81]
	s_cbranch_execz .LBB8_720
; %bb.712:                              ;   in Loop: Header=BB8_662 Depth=1
	s_mov_b32 s13, 0
	s_mov_b32 s28, 0
                                        ; implicit-def: $sgpr14
                                        ; implicit-def: $sgpr15
	s_branch .LBB8_714
.LBB8_713:                              ;   in Loop: Header=BB8_714 Depth=2
	s_or_b32 exec_lo, exec_lo, s40
	s_delay_alu instid0(SALU_CYCLE_1) | instskip(NEXT) | instid1(SALU_CYCLE_1)
	s_and_b32 s29, exec_lo, s41
	s_or_b32 s13, s29, s13
	s_and_not1_b32 s14, s14, exec_lo
	s_and_b32 s29, s15, exec_lo
	s_delay_alu instid0(SALU_CYCLE_1)
	s_or_b32 s14, s14, s29
	s_and_not1_b32 exec_lo, exec_lo, s13
	s_cbranch_execz .LBB8_718
.LBB8_714:                              ;   Parent Loop BB8_662 Depth=1
                                        ; =>  This Inner Loop Header: Depth=2
	s_add_co_i32 s28, s28, 1
	s_delay_alu instid0(SALU_CYCLE_1) | instskip(SKIP_1) | instid1(SALU_CYCLE_1)
	s_cmp_lg_u32 s28, 0x2710
	s_cselect_b32 s29, -1, 0
	s_and_b32 vcc_lo, exec_lo, s29
	s_cbranch_vccz .LBB8_716
; %bb.715:                              ;   in Loop: Header=BB8_714 Depth=2
	s_mov_b32 s41, -1
	s_or_b32 s15, s15, exec_lo
	s_and_saveexec_b32 s40, s29
	s_cbranch_execz .LBB8_713
	s_branch .LBB8_717
.LBB8_716:                              ;   in Loop: Header=BB8_714 Depth=2
	s_trap 2
	ds_load_b64 v[12:13], v0
	s_and_not1_b32 s29, s29, exec_lo
	s_mov_b32 s28, 0
	s_wait_loadcnt_dscnt 0x0
	flat_load_b32 v11, v[12:13] scope:SCOPE_SYS
	s_wait_loadcnt_dscnt 0x0
	global_inv scope:SCOPE_SYS
	v_cmp_eq_u32_e32 vcc_lo, 0, v11
	s_and_b32 s40, vcc_lo, exec_lo
	s_delay_alu instid0(SALU_CYCLE_1)
	s_or_b32 s29, s29, s40
	s_mov_b32 s41, -1
	s_or_b32 s15, s15, exec_lo
	s_wait_xcnt 0x0
	s_and_saveexec_b32 s40, s29
	s_cbranch_execz .LBB8_713
.LBB8_717:                              ;   in Loop: Header=BB8_714 Depth=2
	s_sleep 1
	s_trap 2
	ds_load_b64 v[12:13], v0
	s_wait_dscnt 0x0
	s_and_not1_b32 s15, s15, exec_lo
	v_cmp_ge_u64_e32 vcc_lo, v[12:13], v[80:81]
	s_or_not1_b32 s41, vcc_lo, exec_lo
	s_branch .LBB8_713
.LBB8_718:                              ;   in Loop: Header=BB8_662 Depth=1
	s_or_b32 exec_lo, exec_lo, s13
	s_and_saveexec_b32 s13, s14
	s_delay_alu instid0(SALU_CYCLE_1)
	s_xor_b32 s13, exec_lo, s13
	s_cbranch_execz .LBB8_720
; %bb.719:                              ;   in Loop: Header=BB8_662 Depth=1
	ds_store_b32 v0, v73
	s_trap 2
.LBB8_720:                              ;   in Loop: Header=BB8_662 Depth=1
	s_or_b32 exec_lo, exec_lo, s12
	;;#ASMSTART
	s_wakeup
	;;#ASMEND
.LBB8_721:                              ;   in Loop: Header=BB8_662 Depth=1
	s_or_b32 exec_lo, exec_lo, s11
.LBB8_722:                              ;   in Loop: Header=BB8_662 Depth=1
	s_and_not1_saveexec_b32 s10, s10
	s_cbranch_execz .LBB8_724
; %bb.723:                              ;   in Loop: Header=BB8_662 Depth=1
	global_wb scope:SCOPE_DEV
	s_wait_storecnt 0x0
	s_wait_loadcnt_dscnt 0x0
	global_inv scope:SCOPE_DEV
	s_barrier_signal -1
	s_barrier_wait -1
.LBB8_724:                              ;   in Loop: Header=BB8_662 Depth=1
	s_or_b32 exec_lo, exec_lo, s10
.LBB8_725:                              ;   in Loop: Header=BB8_662 Depth=1
	s_delay_alu instid0(SALU_CYCLE_1)
	s_or_b32 exec_lo, exec_lo, s7
	s_trap 2
	ds_load_b64 v[42:43], v0
	v_min_u32_e32 v41, v41, v40
	s_wait_dscnt 0x0
	v_cmp_eq_u64_e32 vcc_lo, 0, v[42:43]
	s_cbranch_vccnz .LBB8_733
; %bb.726:                              ;   in Loop: Header=BB8_662 Depth=1
	s_trap 2
	ds_load_b64 v[44:45], v0
	s_wait_dscnt 0x0
	v_cmp_eq_u64_e32 vcc_lo, 0, v[44:45]
	s_cbranch_vccnz .LBB8_733
; %bb.727:                              ;   in Loop: Header=BB8_662 Depth=1
	s_trap 2
	ds_load_b64 v[12:13], v0
	s_mov_b32 s7, -1
	s_wait_dscnt 0x0
	v_readfirstlane_b32 s10, v12
	s_and_saveexec_b32 s11, s5
	s_cbranch_execz .LBB8_729
; %bb.728:                              ;   in Loop: Header=BB8_662 Depth=1
	ds_load_b32 v11, v0 offset:720
	s_wait_dscnt 0x0
	v_and_b32_e32 v11, 15, v11
	s_delay_alu instid0(VALU_DEP_1)
	v_cmp_eq_u32_e32 vcc_lo, 0, v11
	s_or_not1_b32 s7, vcc_lo, exec_lo
.LBB8_729:                              ;   in Loop: Header=BB8_662 Depth=1
	s_or_b32 exec_lo, exec_lo, s11
	s_and_saveexec_b32 s11, s6
	s_cbranch_execz .LBB8_731
; %bb.730:                              ;   in Loop: Header=BB8_662 Depth=1
	ds_load_b32 v11, v0 offset:784
	s_wait_dscnt 0x0
	v_and_b32_e32 v11, 15, v11
	s_delay_alu instid0(VALU_DEP_1) | instskip(SKIP_3) | instid1(SALU_CYCLE_1)
	v_cmp_eq_u32_e32 vcc_lo, 0, v11
	s_and_b32 s12, s7, vcc_lo
	s_and_not1_b32 s7, s7, exec_lo
	s_and_b32 s12, s12, exec_lo
	s_or_b32 s7, s7, s12
.LBB8_731:                              ;   in Loop: Header=BB8_662 Depth=1
	s_or_b32 exec_lo, exec_lo, s11
	s_xor_b32 s7, s7, -1
	s_mov_b32 s11, -1
	v_cndmask_b32_e64 v11, 0, 1, s7
	v_cmp_eq_u32_e64 s7, 0, v10
	s_delay_alu instid0(VALU_DEP_2)
	v_cmp_ne_u32_e32 vcc_lo, 0, v11
	s_cbranch_vccz .LBB8_734
; %bb.732:                              ;   in Loop: Header=BB8_662 Depth=1
	s_and_b32 s13, s10, 1
	s_mov_b32 s11, 0
	s_mov_b32 s28, -1
	s_branch .LBB8_735
.LBB8_733:                              ;   in Loop: Header=BB8_662 Depth=1
	s_mov_b32 s7, 0
	s_and_saveexec_b32 s10, s2
	s_cbranch_execnz .LBB8_1187
	s_branch .LBB8_1205
.LBB8_734:                              ;   in Loop: Header=BB8_662 Depth=1
	s_mov_b32 s28, 0
                                        ; implicit-def: $sgpr13
.LBB8_735:                              ;   in Loop: Header=BB8_662 Depth=1
	v_dual_cndmask_b32 v86, 0, v41, s7 :: v_dual_mov_b32 v16, 0
	s_and_not1_b32 vcc_lo, exec_lo, s11
	s_delay_alu instid0(VALU_DEP_1)
	v_lshlrev_b32_e32 v74, 1, v86
	s_cbranch_vccnz .LBB8_871
; %bb.736:                              ;   in Loop: Header=BB8_662 Depth=1
	v_lshrrev_b32_e32 v75, 9, v86
	v_add_nc_u64_e32 v[46:47], v[44:45], v[102:103]
	s_and_b32 s13, s10, 1
	s_mov_b32 s7, 0
	s_mov_b32 s10, exec_lo
	v_sub_nc_u32_e32 v76, v75, v63
                                        ; implicit-def: $vgpr22_vgpr23
                                        ; implicit-def: $vgpr14_vgpr15
                                        ; implicit-def: $vgpr18_vgpr19
                                        ; implicit-def: $vgpr10_vgpr11
	s_delay_alu instid0(VALU_DEP_1)
	v_cmpx_lt_i32_e32 0, v76
	s_cbranch_execz .LBB8_873
; %bb.737:                              ;   in Loop: Header=BB8_662 Depth=1
	s_trap 2
	ds_load_b64 v[10:11], v0
	v_add_nc_u64_e32 v[56:57], v[42:43], v[102:103]
	s_and_b32 s7, 0xffff, s13
	s_mov_b32 s14, 0
	s_cmp_eq_u32 s7, 0
	s_mov_b32 s11, 0
	s_cselect_b32 vcc_lo, -1, 0
                                        ; implicit-def: $sgpr12
                                        ; implicit-def: $vgpr22_vgpr23
                                        ; implicit-def: $vgpr14_vgpr15
                                        ; implicit-def: $vgpr18_vgpr19
	s_wait_dscnt 0x0
	v_add_nc_u64_e32 v[58:59], v[10:11], v[102:103]
                                        ; implicit-def: $vgpr10_vgpr11
	s_branch .LBB8_739
.LBB8_738:                              ;   in Loop: Header=BB8_739 Depth=2
	s_or_b32 exec_lo, exec_lo, s15
	v_dual_lshrrev_b32 v35, 16, v48 :: v_dual_lshrrev_b32 v48, 16, v77
	v_dual_lshrrev_b32 v32, 16, v32 :: v_dual_lshrrev_b32 v33, 16, v33
	v_lshrrev_b32_e32 v34, 16, v34
	s_delay_alu instid0(VALU_DEP_3) | instskip(NEXT) | instid1(VALU_DEP_4)
	v_and_or_b32 v37, 0xffff0000, v37, v35
	v_and_or_b32 v36, 0xffff0000, v36, v48
	v_dual_lshrrev_b32 v35, 16, v51 :: v_dual_cndmask_b32 v48, 0, v84, s14
	v_dual_lshrrev_b32 v49, 16, v49 :: v_dual_lshrrev_b32 v50, 16, v50
	v_and_or_b32 v27, 0xffff0000, v27, v32
	v_and_or_b32 v28, 0xffff0000, v28, v33
	v_add_nc_u64_e32 v[32:33], v[56:57], v[96:97]
	v_and_or_b32 v26, 0xffff0000, v26, v35
	v_dual_cndmask_b32 v35, 0, v113, s14 :: v_dual_sub_nc_u32 v76, v76, v48
	v_and_or_b32 v38, 0xffff0000, v38, v49
	v_and_or_b32 v39, 0xffff0000, v39, v50
	;; [unrolled: 1-line block ×3, first 2 shown]
	v_cndmask_b32_e64 v34, 0x400, v112, s14
	v_add_nc_u64_e32 v[48:49], v[58:59], v[96:97]
	v_cndmask_b32_e64 v57, v57, v33, s14
	v_cmp_gt_i32_e64 s7, 1, v76
	s_clause 0x1
	global_store_b128 v[46:47], v[36:39], off th:TH_STORE_NT
	global_store_b128 v[46:47], v[26:29], off offset:512 th:TH_STORE_NT
	s_wait_xcnt 0x0
	v_add_nc_u64_e32 v[46:47], v[46:47], v[34:35]
	v_dual_cndmask_b32 v56, v56, v32, s14 :: v_dual_cndmask_b32 v59, v59, v49, s14
	v_cndmask_b32_e64 v58, v58, v48, s14
	s_or_b32 s11, s7, s11
	s_and_not1_b32 s7, s12, exec_lo
	s_and_b32 s12, s14, exec_lo
	s_delay_alu instid0(SALU_CYCLE_1)
	s_or_b32 s12, s7, s12
	s_and_not1_b32 exec_lo, exec_lo, s11
	s_cbranch_execz .LBB8_872
.LBB8_739:                              ;   Parent Loop BB8_662 Depth=1
                                        ; =>  This Inner Loop Header: Depth=2
	s_clause 0x1
	global_load_b128 v[36:39], v[56:57], off th:TH_LOAD_NT
	global_load_b128 v[26:29], v[56:57], off offset:512 th:TH_LOAD_NT
	s_clause 0x1
	global_load_b128 v[48:51], v[58:59], off th:TH_LOAD_NT
	global_load_b128 v[32:35], v[58:59], off offset:512 th:TH_LOAD_NT
	s_wait_xcnt 0x0
	s_and_saveexec_b32 s15, s14
	s_cbranch_execz .LBB8_805
; %bb.740:                              ;   in Loop: Header=BB8_739 Depth=2
	v_lshlrev_b32_e32 v77, 16, v18
	s_delay_alu instid0(VALU_DEP_1) | instskip(NEXT) | instid1(VALU_DEP_1)
	v_dual_max_num_f32 v77, v77, v77 :: v_dual_lshlrev_b32 v78, 16, v22
	v_max_num_f32_e32 v78, v78, v78
	s_delay_alu instid0(VALU_DEP_1) | instskip(NEXT) | instid1(VALU_DEP_1)
	v_dual_min_num_f32 v79, v78, v77 :: v_dual_max_num_f32 v77, v78, v77
	v_cndmask_b32_e32 v78, v77, v79, vcc_lo
	s_delay_alu instid0(VALU_DEP_1) | instskip(NEXT) | instid1(VALU_DEP_1)
	v_and_b32_e32 v77, 0x7f800000, v78
	v_cmp_ne_u32_e64 s7, 0x7f800000, v77
                                        ; implicit-def: $vgpr77
	s_and_saveexec_b32 s14, s7
	s_delay_alu instid0(SALU_CYCLE_1)
	s_xor_b32 s7, exec_lo, s14
; %bb.741:                              ;   in Loop: Header=BB8_739 Depth=2
	v_bfe_u32 v77, v78, 16, 1
	s_delay_alu instid0(VALU_DEP_1)
	v_add3_u32 v77, v78, v77, 0x7fff
                                        ; implicit-def: $vgpr78
; %bb.742:                              ;   in Loop: Header=BB8_739 Depth=2
	s_and_not1_saveexec_b32 s14, s7
; %bb.743:                              ;   in Loop: Header=BB8_739 Depth=2
	v_and_b32_e32 v77, 0xffff, v78
	v_or_b32_e32 v79, 0x10000, v78
	s_delay_alu instid0(VALU_DEP_2) | instskip(NEXT) | instid1(VALU_DEP_1)
	v_cmp_eq_u32_e64 s7, 0, v77
	v_cndmask_b32_e64 v77, v79, v78, s7
; %bb.744:                              ;   in Loop: Header=BB8_739 Depth=2
	s_or_b32 exec_lo, exec_lo, s14
	v_and_b32_e32 v78, 0xffff0000, v18
	v_and_b32_e32 v22, 0xffff0000, v22
	s_delay_alu instid0(VALU_DEP_2) | instskip(NEXT) | instid1(VALU_DEP_2)
	v_max_num_f32_e32 v78, v78, v78
	v_max_num_f32_e32 v22, v22, v22
	s_delay_alu instid0(VALU_DEP_1) | instskip(NEXT) | instid1(VALU_DEP_1)
	v_dual_min_num_f32 v79, v22, v78 :: v_dual_max_num_f32 v22, v22, v78
	v_cndmask_b32_e32 v78, v22, v79, vcc_lo
	s_delay_alu instid0(VALU_DEP_1) | instskip(NEXT) | instid1(VALU_DEP_1)
	v_and_b32_e32 v22, 0x7f800000, v78
	v_cmp_ne_u32_e64 s7, 0x7f800000, v22
                                        ; implicit-def: $vgpr22
	s_and_saveexec_b32 s14, s7
	s_delay_alu instid0(SALU_CYCLE_1)
	s_xor_b32 s7, exec_lo, s14
; %bb.745:                              ;   in Loop: Header=BB8_739 Depth=2
	v_bfe_u32 v22, v78, 16, 1
	s_delay_alu instid0(VALU_DEP_1)
	v_add3_u32 v22, v78, v22, 0x7fff
                                        ; implicit-def: $vgpr78
; %bb.746:                              ;   in Loop: Header=BB8_739 Depth=2
	s_and_not1_saveexec_b32 s14, s7
; %bb.747:                              ;   in Loop: Header=BB8_739 Depth=2
	v_and_b32_e32 v22, 0xffff, v78
	v_or_b32_e32 v79, 0x10000, v78
	s_delay_alu instid0(VALU_DEP_2) | instskip(NEXT) | instid1(VALU_DEP_1)
	v_cmp_eq_u32_e64 s7, 0, v22
	v_cndmask_b32_e64 v22, v79, v78, s7
; %bb.748:                              ;   in Loop: Header=BB8_739 Depth=2
	s_or_b32 exec_lo, exec_lo, s14
	v_lshlrev_b32_e32 v78, 16, v19
	s_delay_alu instid0(VALU_DEP_1) | instskip(NEXT) | instid1(VALU_DEP_1)
	v_dual_max_num_f32 v78, v78, v78 :: v_dual_lshlrev_b32 v79, 16, v23
	v_max_num_f32_e32 v79, v79, v79
	s_delay_alu instid0(VALU_DEP_1) | instskip(NEXT) | instid1(VALU_DEP_1)
	v_dual_min_num_f32 v88, v79, v78 :: v_dual_max_num_f32 v78, v79, v78
	v_cndmask_b32_e32 v79, v78, v88, vcc_lo
	s_delay_alu instid0(VALU_DEP_1) | instskip(NEXT) | instid1(VALU_DEP_1)
	v_and_b32_e32 v78, 0x7f800000, v79
	v_cmp_ne_u32_e64 s7, 0x7f800000, v78
                                        ; implicit-def: $vgpr78
	s_and_saveexec_b32 s14, s7
	s_delay_alu instid0(SALU_CYCLE_1)
	s_xor_b32 s7, exec_lo, s14
; %bb.749:                              ;   in Loop: Header=BB8_739 Depth=2
	v_bfe_u32 v78, v79, 16, 1
	s_delay_alu instid0(VALU_DEP_1)
	v_add3_u32 v78, v79, v78, 0x7fff
                                        ; implicit-def: $vgpr79
; %bb.750:                              ;   in Loop: Header=BB8_739 Depth=2
	s_and_not1_saveexec_b32 s14, s7
; %bb.751:                              ;   in Loop: Header=BB8_739 Depth=2
	v_and_b32_e32 v78, 0xffff, v79
	v_or_b32_e32 v88, 0x10000, v79
	s_delay_alu instid0(VALU_DEP_2) | instskip(NEXT) | instid1(VALU_DEP_1)
	v_cmp_eq_u32_e64 s7, 0, v78
	v_cndmask_b32_e64 v78, v88, v79, s7
; %bb.752:                              ;   in Loop: Header=BB8_739 Depth=2
	s_or_b32 exec_lo, exec_lo, s14
	v_and_b32_e32 v79, 0xffff0000, v19
	v_and_b32_e32 v23, 0xffff0000, v23
	s_delay_alu instid0(VALU_DEP_2) | instskip(NEXT) | instid1(VALU_DEP_2)
	v_max_num_f32_e32 v79, v79, v79
	v_max_num_f32_e32 v23, v23, v23
	s_delay_alu instid0(VALU_DEP_1) | instskip(NEXT) | instid1(VALU_DEP_1)
	v_dual_min_num_f32 v88, v23, v79 :: v_dual_max_num_f32 v23, v23, v79
	v_cndmask_b32_e32 v79, v23, v88, vcc_lo
	s_delay_alu instid0(VALU_DEP_1) | instskip(NEXT) | instid1(VALU_DEP_1)
	v_and_b32_e32 v23, 0x7f800000, v79
	v_cmp_ne_u32_e64 s7, 0x7f800000, v23
                                        ; implicit-def: $vgpr23
	s_and_saveexec_b32 s14, s7
	s_delay_alu instid0(SALU_CYCLE_1)
	s_xor_b32 s7, exec_lo, s14
; %bb.753:                              ;   in Loop: Header=BB8_739 Depth=2
	v_bfe_u32 v23, v79, 16, 1
	s_delay_alu instid0(VALU_DEP_1)
	v_add3_u32 v23, v79, v23, 0x7fff
                                        ; implicit-def: $vgpr79
; %bb.754:                              ;   in Loop: Header=BB8_739 Depth=2
	s_and_not1_saveexec_b32 s14, s7
; %bb.755:                              ;   in Loop: Header=BB8_739 Depth=2
	v_and_b32_e32 v23, 0xffff, v79
	v_or_b32_e32 v88, 0x10000, v79
	s_delay_alu instid0(VALU_DEP_2) | instskip(NEXT) | instid1(VALU_DEP_1)
	v_cmp_eq_u32_e64 s7, 0, v23
	v_cndmask_b32_e64 v23, v88, v79, s7
; %bb.756:                              ;   in Loop: Header=BB8_739 Depth=2
	s_or_b32 exec_lo, exec_lo, s14
	v_lshlrev_b32_e32 v79, 16, v20
	s_delay_alu instid0(VALU_DEP_1) | instskip(NEXT) | instid1(VALU_DEP_1)
	v_dual_max_num_f32 v79, v79, v79 :: v_dual_lshlrev_b32 v88, 16, v24
	v_max_num_f32_e32 v88, v88, v88
	s_delay_alu instid0(VALU_DEP_1) | instskip(NEXT) | instid1(VALU_DEP_1)
	v_dual_min_num_f32 v89, v88, v79 :: v_dual_max_num_f32 v79, v88, v79
	v_cndmask_b32_e32 v88, v79, v89, vcc_lo
	s_delay_alu instid0(VALU_DEP_1) | instskip(NEXT) | instid1(VALU_DEP_1)
	v_and_b32_e32 v79, 0x7f800000, v88
	v_cmp_ne_u32_e64 s7, 0x7f800000, v79
                                        ; implicit-def: $vgpr79
	s_and_saveexec_b32 s14, s7
	s_delay_alu instid0(SALU_CYCLE_1)
	s_xor_b32 s7, exec_lo, s14
; %bb.757:                              ;   in Loop: Header=BB8_739 Depth=2
	v_bfe_u32 v79, v88, 16, 1
	s_delay_alu instid0(VALU_DEP_1)
	v_add3_u32 v79, v88, v79, 0x7fff
                                        ; implicit-def: $vgpr88
; %bb.758:                              ;   in Loop: Header=BB8_739 Depth=2
	s_and_not1_saveexec_b32 s14, s7
; %bb.759:                              ;   in Loop: Header=BB8_739 Depth=2
	v_and_b32_e32 v79, 0xffff, v88
	v_or_b32_e32 v89, 0x10000, v88
	s_delay_alu instid0(VALU_DEP_2) | instskip(NEXT) | instid1(VALU_DEP_1)
	v_cmp_eq_u32_e64 s7, 0, v79
	v_cndmask_b32_e64 v79, v89, v88, s7
; %bb.760:                              ;   in Loop: Header=BB8_739 Depth=2
	s_or_b32 exec_lo, exec_lo, s14
	v_and_b32_e32 v88, 0xffff0000, v20
	v_and_b32_e32 v24, 0xffff0000, v24
	s_delay_alu instid0(VALU_DEP_2) | instskip(NEXT) | instid1(VALU_DEP_2)
	v_max_num_f32_e32 v88, v88, v88
	v_max_num_f32_e32 v24, v24, v24
	s_delay_alu instid0(VALU_DEP_1) | instskip(NEXT) | instid1(VALU_DEP_1)
	v_dual_min_num_f32 v89, v24, v88 :: v_dual_max_num_f32 v24, v24, v88
	v_cndmask_b32_e32 v88, v24, v89, vcc_lo
	s_delay_alu instid0(VALU_DEP_1) | instskip(NEXT) | instid1(VALU_DEP_1)
	v_and_b32_e32 v24, 0x7f800000, v88
	v_cmp_ne_u32_e64 s7, 0x7f800000, v24
                                        ; implicit-def: $vgpr24
	s_and_saveexec_b32 s14, s7
	s_delay_alu instid0(SALU_CYCLE_1)
	s_xor_b32 s7, exec_lo, s14
; %bb.761:                              ;   in Loop: Header=BB8_739 Depth=2
	v_bfe_u32 v24, v88, 16, 1
	s_delay_alu instid0(VALU_DEP_1)
	v_add3_u32 v24, v88, v24, 0x7fff
                                        ; implicit-def: $vgpr88
; %bb.762:                              ;   in Loop: Header=BB8_739 Depth=2
	s_and_not1_saveexec_b32 s14, s7
; %bb.763:                              ;   in Loop: Header=BB8_739 Depth=2
	v_and_b32_e32 v24, 0xffff, v88
	v_or_b32_e32 v89, 0x10000, v88
	s_delay_alu instid0(VALU_DEP_2) | instskip(NEXT) | instid1(VALU_DEP_1)
	v_cmp_eq_u32_e64 s7, 0, v24
	v_cndmask_b32_e64 v24, v89, v88, s7
; %bb.764:                              ;   in Loop: Header=BB8_739 Depth=2
	s_or_b32 exec_lo, exec_lo, s14
	v_lshlrev_b32_e32 v88, 16, v21
	s_delay_alu instid0(VALU_DEP_1) | instskip(NEXT) | instid1(VALU_DEP_1)
	v_dual_max_num_f32 v88, v88, v88 :: v_dual_lshlrev_b32 v89, 16, v25
	v_max_num_f32_e32 v89, v89, v89
	s_delay_alu instid0(VALU_DEP_1) | instskip(NEXT) | instid1(VALU_DEP_1)
	v_dual_min_num_f32 v90, v89, v88 :: v_dual_max_num_f32 v88, v89, v88
	v_cndmask_b32_e32 v89, v88, v90, vcc_lo
	s_delay_alu instid0(VALU_DEP_1) | instskip(NEXT) | instid1(VALU_DEP_1)
	v_and_b32_e32 v88, 0x7f800000, v89
	v_cmp_ne_u32_e64 s7, 0x7f800000, v88
                                        ; implicit-def: $vgpr88
	s_and_saveexec_b32 s14, s7
	s_delay_alu instid0(SALU_CYCLE_1)
	s_xor_b32 s7, exec_lo, s14
; %bb.765:                              ;   in Loop: Header=BB8_739 Depth=2
	v_bfe_u32 v88, v89, 16, 1
	s_delay_alu instid0(VALU_DEP_1)
	v_add3_u32 v88, v89, v88, 0x7fff
                                        ; implicit-def: $vgpr89
; %bb.766:                              ;   in Loop: Header=BB8_739 Depth=2
	s_and_not1_saveexec_b32 s14, s7
; %bb.767:                              ;   in Loop: Header=BB8_739 Depth=2
	v_and_b32_e32 v88, 0xffff, v89
	v_or_b32_e32 v90, 0x10000, v89
	s_delay_alu instid0(VALU_DEP_2) | instskip(NEXT) | instid1(VALU_DEP_1)
	v_cmp_eq_u32_e64 s7, 0, v88
	v_cndmask_b32_e64 v88, v90, v89, s7
; %bb.768:                              ;   in Loop: Header=BB8_739 Depth=2
	s_or_b32 exec_lo, exec_lo, s14
	v_and_b32_e32 v89, 0xffff0000, v21
	v_and_b32_e32 v25, 0xffff0000, v25
	s_delay_alu instid0(VALU_DEP_2) | instskip(NEXT) | instid1(VALU_DEP_2)
	v_max_num_f32_e32 v89, v89, v89
	v_max_num_f32_e32 v25, v25, v25
	s_delay_alu instid0(VALU_DEP_1) | instskip(NEXT) | instid1(VALU_DEP_1)
	v_dual_min_num_f32 v90, v25, v89 :: v_dual_max_num_f32 v25, v25, v89
	v_cndmask_b32_e32 v89, v25, v90, vcc_lo
	s_delay_alu instid0(VALU_DEP_1) | instskip(NEXT) | instid1(VALU_DEP_1)
	v_and_b32_e32 v25, 0x7f800000, v89
	v_cmp_ne_u32_e64 s7, 0x7f800000, v25
                                        ; implicit-def: $vgpr25
	s_and_saveexec_b32 s14, s7
	s_delay_alu instid0(SALU_CYCLE_1)
	s_xor_b32 s7, exec_lo, s14
; %bb.769:                              ;   in Loop: Header=BB8_739 Depth=2
	v_bfe_u32 v25, v89, 16, 1
	s_delay_alu instid0(VALU_DEP_1)
	v_add3_u32 v25, v89, v25, 0x7fff
                                        ; implicit-def: $vgpr89
; %bb.770:                              ;   in Loop: Header=BB8_739 Depth=2
	s_and_not1_saveexec_b32 s14, s7
; %bb.771:                              ;   in Loop: Header=BB8_739 Depth=2
	v_and_b32_e32 v25, 0xffff, v89
	v_or_b32_e32 v90, 0x10000, v89
	s_delay_alu instid0(VALU_DEP_2) | instskip(NEXT) | instid1(VALU_DEP_1)
	v_cmp_eq_u32_e64 s7, 0, v25
	v_cndmask_b32_e64 v25, v90, v89, s7
; %bb.772:                              ;   in Loop: Header=BB8_739 Depth=2
	s_or_b32 exec_lo, exec_lo, s14
	v_lshlrev_b32_e32 v89, 16, v10
	s_delay_alu instid0(VALU_DEP_1) | instskip(NEXT) | instid1(VALU_DEP_1)
	v_dual_max_num_f32 v89, v89, v89 :: v_dual_lshlrev_b32 v90, 16, v14
	v_max_num_f32_e32 v90, v90, v90
	s_delay_alu instid0(VALU_DEP_1) | instskip(NEXT) | instid1(VALU_DEP_1)
	v_dual_min_num_f32 v91, v90, v89 :: v_dual_max_num_f32 v89, v90, v89
	v_cndmask_b32_e32 v90, v89, v91, vcc_lo
	s_delay_alu instid0(VALU_DEP_1) | instskip(NEXT) | instid1(VALU_DEP_1)
	v_and_b32_e32 v89, 0x7f800000, v90
	v_cmp_ne_u32_e64 s7, 0x7f800000, v89
                                        ; implicit-def: $vgpr89
	s_and_saveexec_b32 s14, s7
	s_delay_alu instid0(SALU_CYCLE_1)
	s_xor_b32 s7, exec_lo, s14
; %bb.773:                              ;   in Loop: Header=BB8_739 Depth=2
	v_bfe_u32 v89, v90, 16, 1
	s_delay_alu instid0(VALU_DEP_1)
	v_add3_u32 v89, v90, v89, 0x7fff
                                        ; implicit-def: $vgpr90
; %bb.774:                              ;   in Loop: Header=BB8_739 Depth=2
	s_and_not1_saveexec_b32 s14, s7
; %bb.775:                              ;   in Loop: Header=BB8_739 Depth=2
	v_and_b32_e32 v89, 0xffff, v90
	v_or_b32_e32 v91, 0x10000, v90
	s_delay_alu instid0(VALU_DEP_2) | instskip(NEXT) | instid1(VALU_DEP_1)
	v_cmp_eq_u32_e64 s7, 0, v89
	v_cndmask_b32_e64 v89, v91, v90, s7
; %bb.776:                              ;   in Loop: Header=BB8_739 Depth=2
	s_or_b32 exec_lo, exec_lo, s14
	v_and_b32_e32 v90, 0xffff0000, v10
	v_and_b32_e32 v14, 0xffff0000, v14
	s_delay_alu instid0(VALU_DEP_2) | instskip(NEXT) | instid1(VALU_DEP_2)
	v_max_num_f32_e32 v90, v90, v90
	v_max_num_f32_e32 v14, v14, v14
	s_delay_alu instid0(VALU_DEP_1) | instskip(NEXT) | instid1(VALU_DEP_1)
	v_dual_min_num_f32 v91, v14, v90 :: v_dual_max_num_f32 v14, v14, v90
	v_cndmask_b32_e32 v90, v14, v91, vcc_lo
	s_delay_alu instid0(VALU_DEP_1) | instskip(NEXT) | instid1(VALU_DEP_1)
	v_and_b32_e32 v14, 0x7f800000, v90
	v_cmp_ne_u32_e64 s7, 0x7f800000, v14
                                        ; implicit-def: $vgpr14
	s_and_saveexec_b32 s14, s7
	s_delay_alu instid0(SALU_CYCLE_1)
	s_xor_b32 s7, exec_lo, s14
; %bb.777:                              ;   in Loop: Header=BB8_739 Depth=2
	v_bfe_u32 v14, v90, 16, 1
	s_delay_alu instid0(VALU_DEP_1)
	v_add3_u32 v14, v90, v14, 0x7fff
                                        ; implicit-def: $vgpr90
; %bb.778:                              ;   in Loop: Header=BB8_739 Depth=2
	s_and_not1_saveexec_b32 s14, s7
; %bb.779:                              ;   in Loop: Header=BB8_739 Depth=2
	v_and_b32_e32 v14, 0xffff, v90
	v_or_b32_e32 v91, 0x10000, v90
	s_delay_alu instid0(VALU_DEP_2) | instskip(NEXT) | instid1(VALU_DEP_1)
	v_cmp_eq_u32_e64 s7, 0, v14
	v_cndmask_b32_e64 v14, v91, v90, s7
; %bb.780:                              ;   in Loop: Header=BB8_739 Depth=2
	s_or_b32 exec_lo, exec_lo, s14
	v_lshlrev_b32_e32 v90, 16, v11
	s_delay_alu instid0(VALU_DEP_1) | instskip(NEXT) | instid1(VALU_DEP_1)
	v_dual_max_num_f32 v90, v90, v90 :: v_dual_lshlrev_b32 v91, 16, v15
	v_max_num_f32_e32 v91, v91, v91
	s_delay_alu instid0(VALU_DEP_1) | instskip(NEXT) | instid1(VALU_DEP_1)
	v_dual_min_num_f32 v92, v91, v90 :: v_dual_max_num_f32 v90, v91, v90
	v_cndmask_b32_e32 v91, v90, v92, vcc_lo
	s_delay_alu instid0(VALU_DEP_1) | instskip(NEXT) | instid1(VALU_DEP_1)
	v_and_b32_e32 v90, 0x7f800000, v91
	v_cmp_ne_u32_e64 s7, 0x7f800000, v90
                                        ; implicit-def: $vgpr90
	s_and_saveexec_b32 s14, s7
	s_delay_alu instid0(SALU_CYCLE_1)
	s_xor_b32 s7, exec_lo, s14
; %bb.781:                              ;   in Loop: Header=BB8_739 Depth=2
	v_bfe_u32 v90, v91, 16, 1
	s_delay_alu instid0(VALU_DEP_1)
	v_add3_u32 v90, v91, v90, 0x7fff
                                        ; implicit-def: $vgpr91
; %bb.782:                              ;   in Loop: Header=BB8_739 Depth=2
	s_and_not1_saveexec_b32 s14, s7
; %bb.783:                              ;   in Loop: Header=BB8_739 Depth=2
	v_and_b32_e32 v90, 0xffff, v91
	v_or_b32_e32 v92, 0x10000, v91
	s_delay_alu instid0(VALU_DEP_2) | instskip(NEXT) | instid1(VALU_DEP_1)
	v_cmp_eq_u32_e64 s7, 0, v90
	v_cndmask_b32_e64 v90, v92, v91, s7
; %bb.784:                              ;   in Loop: Header=BB8_739 Depth=2
	s_or_b32 exec_lo, exec_lo, s14
	v_and_b32_e32 v91, 0xffff0000, v11
	v_and_b32_e32 v15, 0xffff0000, v15
	s_delay_alu instid0(VALU_DEP_2) | instskip(NEXT) | instid1(VALU_DEP_2)
	v_max_num_f32_e32 v91, v91, v91
	v_max_num_f32_e32 v15, v15, v15
	s_delay_alu instid0(VALU_DEP_1) | instskip(NEXT) | instid1(VALU_DEP_1)
	v_dual_min_num_f32 v92, v15, v91 :: v_dual_max_num_f32 v15, v15, v91
	v_cndmask_b32_e32 v91, v15, v92, vcc_lo
	s_delay_alu instid0(VALU_DEP_1) | instskip(NEXT) | instid1(VALU_DEP_1)
	v_and_b32_e32 v15, 0x7f800000, v91
	v_cmp_ne_u32_e64 s7, 0x7f800000, v15
                                        ; implicit-def: $vgpr15
	s_and_saveexec_b32 s14, s7
	s_delay_alu instid0(SALU_CYCLE_1)
	s_xor_b32 s7, exec_lo, s14
; %bb.785:                              ;   in Loop: Header=BB8_739 Depth=2
	v_bfe_u32 v15, v91, 16, 1
	s_delay_alu instid0(VALU_DEP_1)
	v_add3_u32 v15, v91, v15, 0x7fff
                                        ; implicit-def: $vgpr91
; %bb.786:                              ;   in Loop: Header=BB8_739 Depth=2
	s_and_not1_saveexec_b32 s14, s7
; %bb.787:                              ;   in Loop: Header=BB8_739 Depth=2
	v_and_b32_e32 v15, 0xffff, v91
	v_or_b32_e32 v92, 0x10000, v91
	s_delay_alu instid0(VALU_DEP_2) | instskip(NEXT) | instid1(VALU_DEP_1)
	v_cmp_eq_u32_e64 s7, 0, v15
	v_cndmask_b32_e64 v15, v92, v91, s7
; %bb.788:                              ;   in Loop: Header=BB8_739 Depth=2
	s_or_b32 exec_lo, exec_lo, s14
	v_lshlrev_b32_e32 v91, 16, v12
	s_delay_alu instid0(VALU_DEP_1) | instskip(NEXT) | instid1(VALU_DEP_1)
	v_dual_max_num_f32 v91, v91, v91 :: v_dual_lshlrev_b32 v92, 16, v16
	v_max_num_f32_e32 v92, v92, v92
	s_delay_alu instid0(VALU_DEP_1) | instskip(NEXT) | instid1(VALU_DEP_1)
	v_dual_min_num_f32 v93, v92, v91 :: v_dual_max_num_f32 v91, v92, v91
	v_cndmask_b32_e32 v92, v91, v93, vcc_lo
	s_delay_alu instid0(VALU_DEP_1) | instskip(NEXT) | instid1(VALU_DEP_1)
	v_and_b32_e32 v91, 0x7f800000, v92
	v_cmp_ne_u32_e64 s7, 0x7f800000, v91
                                        ; implicit-def: $vgpr91
	s_and_saveexec_b32 s14, s7
	s_delay_alu instid0(SALU_CYCLE_1)
	s_xor_b32 s7, exec_lo, s14
; %bb.789:                              ;   in Loop: Header=BB8_739 Depth=2
	v_bfe_u32 v91, v92, 16, 1
	s_delay_alu instid0(VALU_DEP_1)
	v_add3_u32 v91, v92, v91, 0x7fff
                                        ; implicit-def: $vgpr92
; %bb.790:                              ;   in Loop: Header=BB8_739 Depth=2
	s_and_not1_saveexec_b32 s14, s7
; %bb.791:                              ;   in Loop: Header=BB8_739 Depth=2
	v_and_b32_e32 v91, 0xffff, v92
	v_or_b32_e32 v93, 0x10000, v92
	s_delay_alu instid0(VALU_DEP_2) | instskip(NEXT) | instid1(VALU_DEP_1)
	v_cmp_eq_u32_e64 s7, 0, v91
	v_cndmask_b32_e64 v91, v93, v92, s7
; %bb.792:                              ;   in Loop: Header=BB8_739 Depth=2
	s_or_b32 exec_lo, exec_lo, s14
	v_and_b32_e32 v92, 0xffff0000, v12
	v_and_b32_e32 v16, 0xffff0000, v16
	s_delay_alu instid0(VALU_DEP_2) | instskip(NEXT) | instid1(VALU_DEP_2)
	v_max_num_f32_e32 v92, v92, v92
	v_max_num_f32_e32 v16, v16, v16
	s_delay_alu instid0(VALU_DEP_1) | instskip(NEXT) | instid1(VALU_DEP_1)
	v_dual_min_num_f32 v93, v16, v92 :: v_dual_max_num_f32 v16, v16, v92
	v_cndmask_b32_e32 v92, v16, v93, vcc_lo
	s_delay_alu instid0(VALU_DEP_1) | instskip(NEXT) | instid1(VALU_DEP_1)
	v_and_b32_e32 v16, 0x7f800000, v92
	v_cmp_ne_u32_e64 s7, 0x7f800000, v16
                                        ; implicit-def: $vgpr16
	s_and_saveexec_b32 s14, s7
	s_delay_alu instid0(SALU_CYCLE_1)
	s_xor_b32 s7, exec_lo, s14
; %bb.793:                              ;   in Loop: Header=BB8_739 Depth=2
	v_bfe_u32 v16, v92, 16, 1
	s_delay_alu instid0(VALU_DEP_1)
	v_add3_u32 v16, v92, v16, 0x7fff
                                        ; implicit-def: $vgpr92
; %bb.794:                              ;   in Loop: Header=BB8_739 Depth=2
	s_and_not1_saveexec_b32 s14, s7
; %bb.795:                              ;   in Loop: Header=BB8_739 Depth=2
	v_and_b32_e32 v16, 0xffff, v92
	v_or_b32_e32 v93, 0x10000, v92
	s_delay_alu instid0(VALU_DEP_2) | instskip(NEXT) | instid1(VALU_DEP_1)
	v_cmp_eq_u32_e64 s7, 0, v16
	v_cndmask_b32_e64 v16, v93, v92, s7
; %bb.796:                              ;   in Loop: Header=BB8_739 Depth=2
	s_or_b32 exec_lo, exec_lo, s14
	v_lshlrev_b32_e32 v92, 16, v13
	s_delay_alu instid0(VALU_DEP_1) | instskip(NEXT) | instid1(VALU_DEP_1)
	v_dual_max_num_f32 v92, v92, v92 :: v_dual_lshlrev_b32 v93, 16, v17
	v_max_num_f32_e32 v93, v93, v93
	s_delay_alu instid0(VALU_DEP_1) | instskip(NEXT) | instid1(VALU_DEP_1)
	v_dual_min_num_f32 v94, v93, v92 :: v_dual_max_num_f32 v92, v93, v92
	v_cndmask_b32_e32 v93, v92, v94, vcc_lo
	s_delay_alu instid0(VALU_DEP_1) | instskip(NEXT) | instid1(VALU_DEP_1)
	v_and_b32_e32 v92, 0x7f800000, v93
	v_cmp_ne_u32_e64 s7, 0x7f800000, v92
                                        ; implicit-def: $vgpr92
	s_and_saveexec_b32 s14, s7
	s_delay_alu instid0(SALU_CYCLE_1)
	s_xor_b32 s7, exec_lo, s14
; %bb.797:                              ;   in Loop: Header=BB8_739 Depth=2
	v_bfe_u32 v92, v93, 16, 1
	s_delay_alu instid0(VALU_DEP_1)
	v_add3_u32 v92, v93, v92, 0x7fff
                                        ; implicit-def: $vgpr93
; %bb.798:                              ;   in Loop: Header=BB8_739 Depth=2
	s_and_not1_saveexec_b32 s14, s7
; %bb.799:                              ;   in Loop: Header=BB8_739 Depth=2
	v_and_b32_e32 v92, 0xffff, v93
	v_or_b32_e32 v94, 0x10000, v93
	s_delay_alu instid0(VALU_DEP_2) | instskip(NEXT) | instid1(VALU_DEP_1)
	v_cmp_eq_u32_e64 s7, 0, v92
	v_cndmask_b32_e64 v92, v94, v93, s7
; %bb.800:                              ;   in Loop: Header=BB8_739 Depth=2
	s_or_b32 exec_lo, exec_lo, s14
	v_and_b32_e32 v93, 0xffff0000, v13
	v_and_b32_e32 v17, 0xffff0000, v17
	s_delay_alu instid0(VALU_DEP_2) | instskip(NEXT) | instid1(VALU_DEP_2)
	v_max_num_f32_e32 v93, v93, v93
	v_max_num_f32_e32 v17, v17, v17
	s_delay_alu instid0(VALU_DEP_1) | instskip(NEXT) | instid1(VALU_DEP_1)
	v_dual_min_num_f32 v94, v17, v93 :: v_dual_max_num_f32 v17, v17, v93
	v_cndmask_b32_e32 v93, v17, v94, vcc_lo
	s_delay_alu instid0(VALU_DEP_1) | instskip(NEXT) | instid1(VALU_DEP_1)
	v_and_b32_e32 v17, 0x7f800000, v93
	v_cmp_ne_u32_e64 s7, 0x7f800000, v17
                                        ; implicit-def: $vgpr17
	s_and_saveexec_b32 s14, s7
	s_delay_alu instid0(SALU_CYCLE_1)
	s_xor_b32 s7, exec_lo, s14
; %bb.801:                              ;   in Loop: Header=BB8_739 Depth=2
	v_bfe_u32 v17, v93, 16, 1
	s_delay_alu instid0(VALU_DEP_1)
	v_add3_u32 v17, v93, v17, 0x7fff
                                        ; implicit-def: $vgpr93
; %bb.802:                              ;   in Loop: Header=BB8_739 Depth=2
	s_and_not1_saveexec_b32 s14, s7
; %bb.803:                              ;   in Loop: Header=BB8_739 Depth=2
	v_and_b32_e32 v17, 0xffff, v93
	v_or_b32_e32 v94, 0x10000, v93
	s_delay_alu instid0(VALU_DEP_2) | instskip(NEXT) | instid1(VALU_DEP_1)
	v_cmp_eq_u32_e64 s7, 0, v17
	v_cndmask_b32_e64 v17, v94, v93, s7
; %bb.804:                              ;   in Loop: Header=BB8_739 Depth=2
	s_or_b32 exec_lo, exec_lo, s14
	v_dual_lshrrev_b32 v78, 16, v78 :: v_dual_lshrrev_b32 v77, 16, v77
	v_lshrrev_b32_e32 v79, 16, v79
	s_delay_alu instid0(VALU_DEP_2) | instskip(NEXT) | instid1(VALU_DEP_3)
	v_and_or_b32 v23, 0xffff0000, v23, v78
	v_and_or_b32 v22, 0xffff0000, v22, v77
	v_lshrrev_b32_e32 v77, 16, v88
	s_delay_alu instid0(VALU_DEP_4) | instskip(SKIP_2) | instid1(VALU_DEP_4)
	v_and_or_b32 v24, 0xffff0000, v24, v79
	v_dual_lshrrev_b32 v78, 16, v90 :: v_dual_lshrrev_b32 v79, 16, v89
	v_dual_lshrrev_b32 v88, 16, v91 :: v_dual_lshrrev_b32 v89, 16, v92
	v_and_or_b32 v25, 0xffff0000, v25, v77
	s_delay_alu instid0(VALU_DEP_3) | instskip(NEXT) | instid1(VALU_DEP_4)
	v_and_or_b32 v15, 0xffff0000, v15, v78
	v_and_or_b32 v14, 0xffff0000, v14, v79
	s_delay_alu instid0(VALU_DEP_4)
	v_and_or_b32 v16, 0xffff0000, v16, v88
	v_and_or_b32 v17, 0xffff0000, v17, v89
	s_clause 0x1
	global_store_b128 v[46:47], v[22:25], off th:TH_STORE_NT
	global_store_b128 v[46:47], v[14:17], off offset:512 th:TH_STORE_NT
	s_wait_xcnt 0x0
	v_add_nc_u64_e32 v[46:47], v[46:47], v[112:113]
.LBB8_805:                              ;   in Loop: Header=BB8_739 Depth=2
	s_or_b32 exec_lo, exec_lo, s15
	v_sub_nc_u32_e32 v76, v76, v84
	v_add_nc_u64_e32 v[56:57], v[56:57], v[112:113]
	v_add_nc_u64_e32 v[58:59], v[58:59], v[112:113]
	s_delay_alu instid0(VALU_DEP_3)
	v_cmp_lt_i32_e64 s14, 0, v76
	s_and_saveexec_b32 s7, s14
	s_cbranch_execz .LBB8_807
; %bb.806:                              ;   in Loop: Header=BB8_739 Depth=2
	s_clause 0x1
	global_load_b128 v[22:25], v[56:57], off th:TH_LOAD_NT
	global_load_b128 v[14:17], v[56:57], off offset:512 th:TH_LOAD_NT
	s_clause 0x1
	global_load_b128 v[18:21], v[58:59], off th:TH_LOAD_NT
	global_load_b128 v[10:13], v[58:59], off offset:512 th:TH_LOAD_NT
	s_wait_xcnt 0x2
	v_add_nc_u64_e32 v[56:57], 0x400, v[56:57]
	s_wait_xcnt 0x0
	v_add_nc_u64_e32 v[58:59], 0x400, v[58:59]
.LBB8_807:                              ;   in Loop: Header=BB8_739 Depth=2
	s_or_b32 exec_lo, exec_lo, s7
	s_wait_loadcnt 0x3
	v_lshlrev_b32_e32 v78, 16, v36
	s_wait_loadcnt 0x1
	s_delay_alu instid0(VALU_DEP_1) | instskip(NEXT) | instid1(VALU_DEP_1)
	v_dual_max_num_f32 v78, v78, v78 :: v_dual_lshlrev_b32 v77, 16, v48
	v_max_num_f32_e32 v77, v77, v77
	s_delay_alu instid0(VALU_DEP_1) | instskip(NEXT) | instid1(VALU_DEP_1)
	v_dual_min_num_f32 v79, v78, v77 :: v_dual_max_num_f32 v77, v78, v77
	v_cndmask_b32_e32 v78, v77, v79, vcc_lo
	s_delay_alu instid0(VALU_DEP_1) | instskip(NEXT) | instid1(VALU_DEP_1)
	v_and_b32_e32 v77, 0x7f800000, v78
	v_cmp_ne_u32_e64 s7, 0x7f800000, v77
                                        ; implicit-def: $vgpr77
	s_and_saveexec_b32 s15, s7
	s_delay_alu instid0(SALU_CYCLE_1)
	s_xor_b32 s7, exec_lo, s15
; %bb.808:                              ;   in Loop: Header=BB8_739 Depth=2
	v_bfe_u32 v77, v78, 16, 1
	s_delay_alu instid0(VALU_DEP_1)
	v_add3_u32 v77, v78, v77, 0x7fff
                                        ; implicit-def: $vgpr78
; %bb.809:                              ;   in Loop: Header=BB8_739 Depth=2
	s_and_not1_saveexec_b32 s15, s7
; %bb.810:                              ;   in Loop: Header=BB8_739 Depth=2
	v_and_b32_e32 v77, 0xffff, v78
	v_or_b32_e32 v79, 0x10000, v78
	s_delay_alu instid0(VALU_DEP_2) | instskip(NEXT) | instid1(VALU_DEP_1)
	v_cmp_eq_u32_e64 s7, 0, v77
	v_cndmask_b32_e64 v77, v79, v78, s7
; %bb.811:                              ;   in Loop: Header=BB8_739 Depth=2
	s_or_b32 exec_lo, exec_lo, s15
	v_and_b32_e32 v48, 0xffff0000, v48
	v_and_b32_e32 v36, 0xffff0000, v36
	s_delay_alu instid0(VALU_DEP_2) | instskip(NEXT) | instid1(VALU_DEP_2)
	v_max_num_f32_e32 v48, v48, v48
	v_max_num_f32_e32 v36, v36, v36
	s_delay_alu instid0(VALU_DEP_1) | instskip(NEXT) | instid1(VALU_DEP_1)
	v_dual_min_num_f32 v78, v36, v48 :: v_dual_max_num_f32 v36, v36, v48
	v_cndmask_b32_e32 v48, v36, v78, vcc_lo
	s_delay_alu instid0(VALU_DEP_1) | instskip(NEXT) | instid1(VALU_DEP_1)
	v_and_b32_e32 v36, 0x7f800000, v48
	v_cmp_ne_u32_e64 s7, 0x7f800000, v36
                                        ; implicit-def: $vgpr36
	s_and_saveexec_b32 s15, s7
	s_delay_alu instid0(SALU_CYCLE_1)
	s_xor_b32 s7, exec_lo, s15
; %bb.812:                              ;   in Loop: Header=BB8_739 Depth=2
	v_bfe_u32 v36, v48, 16, 1
	s_delay_alu instid0(VALU_DEP_1)
	v_add3_u32 v36, v48, v36, 0x7fff
                                        ; implicit-def: $vgpr48
; %bb.813:                              ;   in Loop: Header=BB8_739 Depth=2
	s_and_not1_saveexec_b32 s15, s7
; %bb.814:                              ;   in Loop: Header=BB8_739 Depth=2
	v_and_b32_e32 v36, 0xffff, v48
	v_or_b32_e32 v78, 0x10000, v48
	s_delay_alu instid0(VALU_DEP_2) | instskip(NEXT) | instid1(VALU_DEP_1)
	v_cmp_eq_u32_e64 s7, 0, v36
	v_cndmask_b32_e64 v36, v78, v48, s7
; %bb.815:                              ;   in Loop: Header=BB8_739 Depth=2
	s_or_b32 exec_lo, exec_lo, s15
	v_lshlrev_b32_e32 v78, 16, v37
	s_delay_alu instid0(VALU_DEP_1) | instskip(NEXT) | instid1(VALU_DEP_1)
	v_dual_lshlrev_b32 v48, 16, v49 :: v_dual_max_num_f32 v78, v78, v78
	v_max_num_f32_e32 v48, v48, v48
	s_delay_alu instid0(VALU_DEP_1) | instskip(NEXT) | instid1(VALU_DEP_1)
	v_dual_min_num_f32 v79, v78, v48 :: v_dual_max_num_f32 v48, v78, v48
	v_cndmask_b32_e32 v78, v48, v79, vcc_lo
	s_delay_alu instid0(VALU_DEP_1) | instskip(NEXT) | instid1(VALU_DEP_1)
	v_and_b32_e32 v48, 0x7f800000, v78
	v_cmp_ne_u32_e64 s7, 0x7f800000, v48
                                        ; implicit-def: $vgpr48
	s_and_saveexec_b32 s15, s7
	s_delay_alu instid0(SALU_CYCLE_1)
	s_xor_b32 s7, exec_lo, s15
; %bb.816:                              ;   in Loop: Header=BB8_739 Depth=2
	v_bfe_u32 v48, v78, 16, 1
	s_delay_alu instid0(VALU_DEP_1)
	v_add3_u32 v48, v78, v48, 0x7fff
                                        ; implicit-def: $vgpr78
; %bb.817:                              ;   in Loop: Header=BB8_739 Depth=2
	s_and_not1_saveexec_b32 s15, s7
; %bb.818:                              ;   in Loop: Header=BB8_739 Depth=2
	v_and_b32_e32 v48, 0xffff, v78
	v_or_b32_e32 v79, 0x10000, v78
	s_delay_alu instid0(VALU_DEP_2) | instskip(NEXT) | instid1(VALU_DEP_1)
	v_cmp_eq_u32_e64 s7, 0, v48
	v_cndmask_b32_e64 v48, v79, v78, s7
; %bb.819:                              ;   in Loop: Header=BB8_739 Depth=2
	s_or_b32 exec_lo, exec_lo, s15
	v_and_b32_e32 v49, 0xffff0000, v49
	v_and_b32_e32 v37, 0xffff0000, v37
	s_delay_alu instid0(VALU_DEP_2) | instskip(NEXT) | instid1(VALU_DEP_2)
	v_max_num_f32_e32 v49, v49, v49
	v_max_num_f32_e32 v37, v37, v37
	s_delay_alu instid0(VALU_DEP_1) | instskip(NEXT) | instid1(VALU_DEP_1)
	v_dual_min_num_f32 v78, v37, v49 :: v_dual_max_num_f32 v37, v37, v49
	v_cndmask_b32_e32 v49, v37, v78, vcc_lo
	s_delay_alu instid0(VALU_DEP_1) | instskip(NEXT) | instid1(VALU_DEP_1)
	v_and_b32_e32 v37, 0x7f800000, v49
	v_cmp_ne_u32_e64 s7, 0x7f800000, v37
                                        ; implicit-def: $vgpr37
	s_and_saveexec_b32 s15, s7
	s_delay_alu instid0(SALU_CYCLE_1)
	s_xor_b32 s7, exec_lo, s15
; %bb.820:                              ;   in Loop: Header=BB8_739 Depth=2
	v_bfe_u32 v37, v49, 16, 1
	s_delay_alu instid0(VALU_DEP_1)
	v_add3_u32 v37, v49, v37, 0x7fff
                                        ; implicit-def: $vgpr49
; %bb.821:                              ;   in Loop: Header=BB8_739 Depth=2
	s_and_not1_saveexec_b32 s15, s7
; %bb.822:                              ;   in Loop: Header=BB8_739 Depth=2
	v_and_b32_e32 v37, 0xffff, v49
	v_or_b32_e32 v78, 0x10000, v49
	s_delay_alu instid0(VALU_DEP_2) | instskip(NEXT) | instid1(VALU_DEP_1)
	v_cmp_eq_u32_e64 s7, 0, v37
	v_cndmask_b32_e64 v37, v78, v49, s7
; %bb.823:                              ;   in Loop: Header=BB8_739 Depth=2
	s_or_b32 exec_lo, exec_lo, s15
	v_lshlrev_b32_e32 v49, 16, v50
	s_delay_alu instid0(VALU_DEP_1) | instskip(NEXT) | instid1(VALU_DEP_1)
	v_dual_max_num_f32 v49, v49, v49 :: v_dual_lshlrev_b32 v78, 16, v38
	v_max_num_f32_e32 v78, v78, v78
	s_delay_alu instid0(VALU_DEP_1) | instskip(NEXT) | instid1(VALU_DEP_1)
	v_dual_min_num_f32 v79, v78, v49 :: v_dual_max_num_f32 v49, v78, v49
	v_cndmask_b32_e32 v78, v49, v79, vcc_lo
	s_delay_alu instid0(VALU_DEP_1) | instskip(NEXT) | instid1(VALU_DEP_1)
	v_and_b32_e32 v49, 0x7f800000, v78
	v_cmp_ne_u32_e64 s7, 0x7f800000, v49
                                        ; implicit-def: $vgpr49
	s_and_saveexec_b32 s15, s7
	s_delay_alu instid0(SALU_CYCLE_1)
	s_xor_b32 s7, exec_lo, s15
; %bb.824:                              ;   in Loop: Header=BB8_739 Depth=2
	v_bfe_u32 v49, v78, 16, 1
	s_delay_alu instid0(VALU_DEP_1)
	v_add3_u32 v49, v78, v49, 0x7fff
                                        ; implicit-def: $vgpr78
; %bb.825:                              ;   in Loop: Header=BB8_739 Depth=2
	s_and_not1_saveexec_b32 s15, s7
; %bb.826:                              ;   in Loop: Header=BB8_739 Depth=2
	v_and_b32_e32 v49, 0xffff, v78
	v_or_b32_e32 v79, 0x10000, v78
	s_delay_alu instid0(VALU_DEP_2) | instskip(NEXT) | instid1(VALU_DEP_1)
	v_cmp_eq_u32_e64 s7, 0, v49
	v_cndmask_b32_e64 v49, v79, v78, s7
; %bb.827:                              ;   in Loop: Header=BB8_739 Depth=2
	s_or_b32 exec_lo, exec_lo, s15
	v_and_b32_e32 v50, 0xffff0000, v50
	v_and_b32_e32 v38, 0xffff0000, v38
	s_delay_alu instid0(VALU_DEP_2) | instskip(NEXT) | instid1(VALU_DEP_2)
	v_max_num_f32_e32 v50, v50, v50
	v_max_num_f32_e32 v38, v38, v38
	s_delay_alu instid0(VALU_DEP_1) | instskip(NEXT) | instid1(VALU_DEP_1)
	v_dual_min_num_f32 v78, v38, v50 :: v_dual_max_num_f32 v38, v38, v50
	v_cndmask_b32_e32 v50, v38, v78, vcc_lo
	s_delay_alu instid0(VALU_DEP_1) | instskip(NEXT) | instid1(VALU_DEP_1)
	v_and_b32_e32 v38, 0x7f800000, v50
	v_cmp_ne_u32_e64 s7, 0x7f800000, v38
                                        ; implicit-def: $vgpr38
	s_and_saveexec_b32 s15, s7
	s_delay_alu instid0(SALU_CYCLE_1)
	s_xor_b32 s7, exec_lo, s15
; %bb.828:                              ;   in Loop: Header=BB8_739 Depth=2
	v_bfe_u32 v38, v50, 16, 1
	s_delay_alu instid0(VALU_DEP_1)
	v_add3_u32 v38, v50, v38, 0x7fff
                                        ; implicit-def: $vgpr50
; %bb.829:                              ;   in Loop: Header=BB8_739 Depth=2
	s_and_not1_saveexec_b32 s15, s7
; %bb.830:                              ;   in Loop: Header=BB8_739 Depth=2
	v_and_b32_e32 v38, 0xffff, v50
	v_or_b32_e32 v78, 0x10000, v50
	s_delay_alu instid0(VALU_DEP_2) | instskip(NEXT) | instid1(VALU_DEP_1)
	v_cmp_eq_u32_e64 s7, 0, v38
	v_cndmask_b32_e64 v38, v78, v50, s7
; %bb.831:                              ;   in Loop: Header=BB8_739 Depth=2
	s_or_b32 exec_lo, exec_lo, s15
	v_lshlrev_b32_e32 v78, 16, v39
	s_delay_alu instid0(VALU_DEP_1) | instskip(NEXT) | instid1(VALU_DEP_1)
	v_dual_lshlrev_b32 v50, 16, v51 :: v_dual_max_num_f32 v78, v78, v78
	v_max_num_f32_e32 v50, v50, v50
	s_delay_alu instid0(VALU_DEP_1) | instskip(NEXT) | instid1(VALU_DEP_1)
	v_dual_min_num_f32 v79, v78, v50 :: v_dual_max_num_f32 v50, v78, v50
	v_cndmask_b32_e32 v78, v50, v79, vcc_lo
	s_delay_alu instid0(VALU_DEP_1) | instskip(NEXT) | instid1(VALU_DEP_1)
	v_and_b32_e32 v50, 0x7f800000, v78
	v_cmp_ne_u32_e64 s7, 0x7f800000, v50
                                        ; implicit-def: $vgpr50
	s_and_saveexec_b32 s15, s7
	s_delay_alu instid0(SALU_CYCLE_1)
	s_xor_b32 s7, exec_lo, s15
; %bb.832:                              ;   in Loop: Header=BB8_739 Depth=2
	v_bfe_u32 v50, v78, 16, 1
	s_delay_alu instid0(VALU_DEP_1)
	v_add3_u32 v50, v78, v50, 0x7fff
                                        ; implicit-def: $vgpr78
; %bb.833:                              ;   in Loop: Header=BB8_739 Depth=2
	s_and_not1_saveexec_b32 s15, s7
; %bb.834:                              ;   in Loop: Header=BB8_739 Depth=2
	v_and_b32_e32 v50, 0xffff, v78
	v_or_b32_e32 v79, 0x10000, v78
	s_delay_alu instid0(VALU_DEP_2) | instskip(NEXT) | instid1(VALU_DEP_1)
	v_cmp_eq_u32_e64 s7, 0, v50
	v_cndmask_b32_e64 v50, v79, v78, s7
; %bb.835:                              ;   in Loop: Header=BB8_739 Depth=2
	s_or_b32 exec_lo, exec_lo, s15
	v_and_b32_e32 v51, 0xffff0000, v51
	v_and_b32_e32 v39, 0xffff0000, v39
	s_delay_alu instid0(VALU_DEP_2) | instskip(NEXT) | instid1(VALU_DEP_2)
	v_max_num_f32_e32 v51, v51, v51
	v_max_num_f32_e32 v39, v39, v39
	s_delay_alu instid0(VALU_DEP_1) | instskip(NEXT) | instid1(VALU_DEP_1)
	v_dual_min_num_f32 v78, v39, v51 :: v_dual_max_num_f32 v39, v39, v51
	v_cndmask_b32_e32 v51, v39, v78, vcc_lo
	s_delay_alu instid0(VALU_DEP_1) | instskip(NEXT) | instid1(VALU_DEP_1)
	v_and_b32_e32 v39, 0x7f800000, v51
	v_cmp_ne_u32_e64 s7, 0x7f800000, v39
                                        ; implicit-def: $vgpr39
	s_and_saveexec_b32 s15, s7
	s_delay_alu instid0(SALU_CYCLE_1)
	s_xor_b32 s7, exec_lo, s15
; %bb.836:                              ;   in Loop: Header=BB8_739 Depth=2
	v_bfe_u32 v39, v51, 16, 1
	s_delay_alu instid0(VALU_DEP_1)
	v_add3_u32 v39, v51, v39, 0x7fff
                                        ; implicit-def: $vgpr51
; %bb.837:                              ;   in Loop: Header=BB8_739 Depth=2
	s_and_not1_saveexec_b32 s15, s7
; %bb.838:                              ;   in Loop: Header=BB8_739 Depth=2
	v_and_b32_e32 v39, 0xffff, v51
	v_or_b32_e32 v78, 0x10000, v51
	s_delay_alu instid0(VALU_DEP_2) | instskip(NEXT) | instid1(VALU_DEP_1)
	v_cmp_eq_u32_e64 s7, 0, v39
	v_cndmask_b32_e64 v39, v78, v51, s7
; %bb.839:                              ;   in Loop: Header=BB8_739 Depth=2
	s_or_b32 exec_lo, exec_lo, s15
	s_wait_loadcnt 0x0
	v_dual_lshlrev_b32 v51, 16, v32 :: v_dual_lshlrev_b32 v78, 16, v26
	s_delay_alu instid0(VALU_DEP_1) | instskip(NEXT) | instid1(VALU_DEP_1)
	v_dual_max_num_f32 v51, v51, v51 :: v_dual_max_num_f32 v78, v78, v78
	v_dual_min_num_f32 v79, v78, v51 :: v_dual_max_num_f32 v51, v78, v51
	s_delay_alu instid0(VALU_DEP_1) | instskip(NEXT) | instid1(VALU_DEP_1)
	v_cndmask_b32_e32 v78, v51, v79, vcc_lo
	v_and_b32_e32 v51, 0x7f800000, v78
	s_delay_alu instid0(VALU_DEP_1) | instskip(SKIP_1) | instid1(SALU_CYCLE_1)
	v_cmp_ne_u32_e64 s7, 0x7f800000, v51
                                        ; implicit-def: $vgpr51
	s_and_saveexec_b32 s15, s7
	s_xor_b32 s7, exec_lo, s15
; %bb.840:                              ;   in Loop: Header=BB8_739 Depth=2
	v_bfe_u32 v51, v78, 16, 1
	s_delay_alu instid0(VALU_DEP_1)
	v_add3_u32 v51, v78, v51, 0x7fff
                                        ; implicit-def: $vgpr78
; %bb.841:                              ;   in Loop: Header=BB8_739 Depth=2
	s_and_not1_saveexec_b32 s15, s7
; %bb.842:                              ;   in Loop: Header=BB8_739 Depth=2
	v_and_b32_e32 v51, 0xffff, v78
	v_or_b32_e32 v79, 0x10000, v78
	s_delay_alu instid0(VALU_DEP_2) | instskip(NEXT) | instid1(VALU_DEP_1)
	v_cmp_eq_u32_e64 s7, 0, v51
	v_cndmask_b32_e64 v51, v79, v78, s7
; %bb.843:                              ;   in Loop: Header=BB8_739 Depth=2
	s_or_b32 exec_lo, exec_lo, s15
	v_and_b32_e32 v32, 0xffff0000, v32
	v_and_b32_e32 v26, 0xffff0000, v26
	s_delay_alu instid0(VALU_DEP_1) | instskip(NEXT) | instid1(VALU_DEP_1)
	v_dual_max_num_f32 v32, v32, v32 :: v_dual_max_num_f32 v26, v26, v26
	v_dual_min_num_f32 v78, v26, v32 :: v_dual_max_num_f32 v26, v26, v32
	s_delay_alu instid0(VALU_DEP_1) | instskip(NEXT) | instid1(VALU_DEP_1)
	v_cndmask_b32_e32 v32, v26, v78, vcc_lo
	v_and_b32_e32 v26, 0x7f800000, v32
	s_delay_alu instid0(VALU_DEP_1) | instskip(SKIP_1) | instid1(SALU_CYCLE_1)
	v_cmp_ne_u32_e64 s7, 0x7f800000, v26
                                        ; implicit-def: $vgpr26
	s_and_saveexec_b32 s15, s7
	s_xor_b32 s7, exec_lo, s15
; %bb.844:                              ;   in Loop: Header=BB8_739 Depth=2
	v_bfe_u32 v26, v32, 16, 1
	s_delay_alu instid0(VALU_DEP_1)
	v_add3_u32 v26, v32, v26, 0x7fff
                                        ; implicit-def: $vgpr32
; %bb.845:                              ;   in Loop: Header=BB8_739 Depth=2
	s_and_not1_saveexec_b32 s15, s7
; %bb.846:                              ;   in Loop: Header=BB8_739 Depth=2
	v_and_b32_e32 v26, 0xffff, v32
	v_or_b32_e32 v78, 0x10000, v32
	s_delay_alu instid0(VALU_DEP_2) | instskip(NEXT) | instid1(VALU_DEP_1)
	v_cmp_eq_u32_e64 s7, 0, v26
	v_cndmask_b32_e64 v26, v78, v32, s7
; %bb.847:                              ;   in Loop: Header=BB8_739 Depth=2
	s_or_b32 exec_lo, exec_lo, s15
	v_dual_lshlrev_b32 v32, 16, v33 :: v_dual_lshlrev_b32 v78, 16, v27
	s_delay_alu instid0(VALU_DEP_1) | instskip(NEXT) | instid1(VALU_DEP_1)
	v_dual_max_num_f32 v32, v32, v32 :: v_dual_max_num_f32 v78, v78, v78
	v_dual_min_num_f32 v79, v78, v32 :: v_dual_max_num_f32 v32, v78, v32
	s_delay_alu instid0(VALU_DEP_1) | instskip(NEXT) | instid1(VALU_DEP_1)
	v_cndmask_b32_e32 v78, v32, v79, vcc_lo
	v_and_b32_e32 v32, 0x7f800000, v78
	s_delay_alu instid0(VALU_DEP_1) | instskip(SKIP_1) | instid1(SALU_CYCLE_1)
	v_cmp_ne_u32_e64 s7, 0x7f800000, v32
                                        ; implicit-def: $vgpr32
	s_and_saveexec_b32 s15, s7
	s_xor_b32 s7, exec_lo, s15
; %bb.848:                              ;   in Loop: Header=BB8_739 Depth=2
	v_bfe_u32 v32, v78, 16, 1
	s_delay_alu instid0(VALU_DEP_1)
	v_add3_u32 v32, v78, v32, 0x7fff
                                        ; implicit-def: $vgpr78
; %bb.849:                              ;   in Loop: Header=BB8_739 Depth=2
	s_and_not1_saveexec_b32 s15, s7
; %bb.850:                              ;   in Loop: Header=BB8_739 Depth=2
	v_and_b32_e32 v32, 0xffff, v78
	v_or_b32_e32 v79, 0x10000, v78
	s_delay_alu instid0(VALU_DEP_2) | instskip(NEXT) | instid1(VALU_DEP_1)
	v_cmp_eq_u32_e64 s7, 0, v32
	v_cndmask_b32_e64 v32, v79, v78, s7
; %bb.851:                              ;   in Loop: Header=BB8_739 Depth=2
	s_or_b32 exec_lo, exec_lo, s15
	v_and_b32_e32 v33, 0xffff0000, v33
	v_and_b32_e32 v27, 0xffff0000, v27
	s_delay_alu instid0(VALU_DEP_1) | instskip(NEXT) | instid1(VALU_DEP_1)
	v_dual_max_num_f32 v33, v33, v33 :: v_dual_max_num_f32 v27, v27, v27
	v_dual_min_num_f32 v78, v27, v33 :: v_dual_max_num_f32 v27, v27, v33
	s_delay_alu instid0(VALU_DEP_1) | instskip(NEXT) | instid1(VALU_DEP_1)
	v_cndmask_b32_e32 v33, v27, v78, vcc_lo
	v_and_b32_e32 v27, 0x7f800000, v33
	s_delay_alu instid0(VALU_DEP_1) | instskip(SKIP_1) | instid1(SALU_CYCLE_1)
	v_cmp_ne_u32_e64 s7, 0x7f800000, v27
                                        ; implicit-def: $vgpr27
	s_and_saveexec_b32 s15, s7
	s_xor_b32 s7, exec_lo, s15
; %bb.852:                              ;   in Loop: Header=BB8_739 Depth=2
	v_bfe_u32 v27, v33, 16, 1
	s_delay_alu instid0(VALU_DEP_1)
	v_add3_u32 v27, v33, v27, 0x7fff
                                        ; implicit-def: $vgpr33
; %bb.853:                              ;   in Loop: Header=BB8_739 Depth=2
	s_and_not1_saveexec_b32 s15, s7
; %bb.854:                              ;   in Loop: Header=BB8_739 Depth=2
	v_and_b32_e32 v27, 0xffff, v33
	v_or_b32_e32 v78, 0x10000, v33
	s_delay_alu instid0(VALU_DEP_2) | instskip(NEXT) | instid1(VALU_DEP_1)
	v_cmp_eq_u32_e64 s7, 0, v27
	v_cndmask_b32_e64 v27, v78, v33, s7
; %bb.855:                              ;   in Loop: Header=BB8_739 Depth=2
	s_or_b32 exec_lo, exec_lo, s15
	v_dual_lshlrev_b32 v33, 16, v34 :: v_dual_lshlrev_b32 v78, 16, v28
	s_delay_alu instid0(VALU_DEP_1) | instskip(NEXT) | instid1(VALU_DEP_1)
	v_dual_max_num_f32 v33, v33, v33 :: v_dual_max_num_f32 v78, v78, v78
	v_dual_min_num_f32 v79, v78, v33 :: v_dual_max_num_f32 v33, v78, v33
	s_delay_alu instid0(VALU_DEP_1) | instskip(NEXT) | instid1(VALU_DEP_1)
	v_cndmask_b32_e32 v78, v33, v79, vcc_lo
	v_and_b32_e32 v33, 0x7f800000, v78
	s_delay_alu instid0(VALU_DEP_1) | instskip(SKIP_1) | instid1(SALU_CYCLE_1)
	v_cmp_ne_u32_e64 s7, 0x7f800000, v33
                                        ; implicit-def: $vgpr33
	s_and_saveexec_b32 s15, s7
	s_xor_b32 s7, exec_lo, s15
; %bb.856:                              ;   in Loop: Header=BB8_739 Depth=2
	v_bfe_u32 v33, v78, 16, 1
	s_delay_alu instid0(VALU_DEP_1)
	v_add3_u32 v33, v78, v33, 0x7fff
                                        ; implicit-def: $vgpr78
; %bb.857:                              ;   in Loop: Header=BB8_739 Depth=2
	s_and_not1_saveexec_b32 s15, s7
; %bb.858:                              ;   in Loop: Header=BB8_739 Depth=2
	v_and_b32_e32 v33, 0xffff, v78
	v_or_b32_e32 v79, 0x10000, v78
	s_delay_alu instid0(VALU_DEP_2) | instskip(NEXT) | instid1(VALU_DEP_1)
	v_cmp_eq_u32_e64 s7, 0, v33
	v_cndmask_b32_e64 v33, v79, v78, s7
; %bb.859:                              ;   in Loop: Header=BB8_739 Depth=2
	s_or_b32 exec_lo, exec_lo, s15
	v_and_b32_e32 v34, 0xffff0000, v34
	v_and_b32_e32 v28, 0xffff0000, v28
	s_delay_alu instid0(VALU_DEP_1) | instskip(NEXT) | instid1(VALU_DEP_1)
	v_dual_max_num_f32 v34, v34, v34 :: v_dual_max_num_f32 v28, v28, v28
	v_dual_min_num_f32 v78, v28, v34 :: v_dual_max_num_f32 v28, v28, v34
	s_delay_alu instid0(VALU_DEP_1) | instskip(NEXT) | instid1(VALU_DEP_1)
	v_cndmask_b32_e32 v34, v28, v78, vcc_lo
	v_and_b32_e32 v28, 0x7f800000, v34
	s_delay_alu instid0(VALU_DEP_1) | instskip(SKIP_1) | instid1(SALU_CYCLE_1)
	v_cmp_ne_u32_e64 s7, 0x7f800000, v28
                                        ; implicit-def: $vgpr28
	s_and_saveexec_b32 s15, s7
	s_xor_b32 s7, exec_lo, s15
; %bb.860:                              ;   in Loop: Header=BB8_739 Depth=2
	v_bfe_u32 v28, v34, 16, 1
	s_delay_alu instid0(VALU_DEP_1)
	v_add3_u32 v28, v34, v28, 0x7fff
                                        ; implicit-def: $vgpr34
; %bb.861:                              ;   in Loop: Header=BB8_739 Depth=2
	s_and_not1_saveexec_b32 s15, s7
; %bb.862:                              ;   in Loop: Header=BB8_739 Depth=2
	v_and_b32_e32 v28, 0xffff, v34
	v_or_b32_e32 v78, 0x10000, v34
	s_delay_alu instid0(VALU_DEP_2) | instskip(NEXT) | instid1(VALU_DEP_1)
	v_cmp_eq_u32_e64 s7, 0, v28
	v_cndmask_b32_e64 v28, v78, v34, s7
; %bb.863:                              ;   in Loop: Header=BB8_739 Depth=2
	s_or_b32 exec_lo, exec_lo, s15
	v_dual_lshlrev_b32 v34, 16, v35 :: v_dual_lshlrev_b32 v78, 16, v29
	s_delay_alu instid0(VALU_DEP_1) | instskip(NEXT) | instid1(VALU_DEP_2)
	v_max_num_f32_e32 v34, v34, v34
	v_max_num_f32_e32 v78, v78, v78
	s_delay_alu instid0(VALU_DEP_1) | instskip(NEXT) | instid1(VALU_DEP_1)
	v_dual_min_num_f32 v79, v78, v34 :: v_dual_max_num_f32 v34, v78, v34
	v_cndmask_b32_e32 v78, v34, v79, vcc_lo
	s_delay_alu instid0(VALU_DEP_1) | instskip(NEXT) | instid1(VALU_DEP_1)
	v_and_b32_e32 v34, 0x7f800000, v78
	v_cmp_ne_u32_e64 s7, 0x7f800000, v34
                                        ; implicit-def: $vgpr34
	s_and_saveexec_b32 s15, s7
	s_delay_alu instid0(SALU_CYCLE_1)
	s_xor_b32 s7, exec_lo, s15
; %bb.864:                              ;   in Loop: Header=BB8_739 Depth=2
	v_bfe_u32 v34, v78, 16, 1
	s_delay_alu instid0(VALU_DEP_1)
	v_add3_u32 v34, v78, v34, 0x7fff
                                        ; implicit-def: $vgpr78
; %bb.865:                              ;   in Loop: Header=BB8_739 Depth=2
	s_and_not1_saveexec_b32 s15, s7
; %bb.866:                              ;   in Loop: Header=BB8_739 Depth=2
	v_and_b32_e32 v34, 0xffff, v78
	v_or_b32_e32 v79, 0x10000, v78
	s_delay_alu instid0(VALU_DEP_2) | instskip(NEXT) | instid1(VALU_DEP_1)
	v_cmp_eq_u32_e64 s7, 0, v34
	v_cndmask_b32_e64 v34, v79, v78, s7
; %bb.867:                              ;   in Loop: Header=BB8_739 Depth=2
	s_or_b32 exec_lo, exec_lo, s15
	v_and_b32_e32 v35, 0xffff0000, v35
	v_and_b32_e32 v29, 0xffff0000, v29
	s_delay_alu instid0(VALU_DEP_1) | instskip(NEXT) | instid1(VALU_DEP_1)
	v_dual_max_num_f32 v35, v35, v35 :: v_dual_max_num_f32 v29, v29, v29
	v_dual_min_num_f32 v78, v29, v35 :: v_dual_max_num_f32 v29, v29, v35
	s_delay_alu instid0(VALU_DEP_1) | instskip(NEXT) | instid1(VALU_DEP_1)
	v_cndmask_b32_e32 v35, v29, v78, vcc_lo
	v_and_b32_e32 v29, 0x7f800000, v35
	s_delay_alu instid0(VALU_DEP_1) | instskip(SKIP_1) | instid1(SALU_CYCLE_1)
	v_cmp_ne_u32_e64 s7, 0x7f800000, v29
                                        ; implicit-def: $vgpr29
	s_and_saveexec_b32 s15, s7
	s_xor_b32 s7, exec_lo, s15
; %bb.868:                              ;   in Loop: Header=BB8_739 Depth=2
	v_bfe_u32 v29, v35, 16, 1
	s_delay_alu instid0(VALU_DEP_1)
	v_add3_u32 v29, v35, v29, 0x7fff
                                        ; implicit-def: $vgpr35
; %bb.869:                              ;   in Loop: Header=BB8_739 Depth=2
	s_and_not1_saveexec_b32 s15, s7
	s_cbranch_execz .LBB8_738
; %bb.870:                              ;   in Loop: Header=BB8_739 Depth=2
	v_and_b32_e32 v29, 0xffff, v35
	v_or_b32_e32 v78, 0x10000, v35
	s_delay_alu instid0(VALU_DEP_2) | instskip(NEXT) | instid1(VALU_DEP_1)
	v_cmp_eq_u32_e64 s7, 0, v29
	v_cndmask_b32_e64 v29, v78, v35, s7
	s_branch .LBB8_738
.LBB8_871:                              ;   in Loop: Header=BB8_662 Depth=1
	v_dual_mov_b32 v10, v0 :: v_dual_mov_b32 v17, v60
	s_and_saveexec_b32 s14, s28
	s_cbranch_execnz .LBB8_1055
	s_branch .LBB8_1186
.LBB8_872:                              ;   in Loop: Header=BB8_662 Depth=1
	s_or_b32 exec_lo, exec_lo, s11
	s_delay_alu instid0(SALU_CYCLE_1)
	s_and_b32 s7, s12, exec_lo
.LBB8_873:                              ;   in Loop: Header=BB8_662 Depth=1
	s_or_b32 exec_lo, exec_lo, s10
	s_and_saveexec_b32 s10, s7
	s_cbranch_execz .LBB8_939
; %bb.874:                              ;   in Loop: Header=BB8_662 Depth=1
	v_lshlrev_b32_e32 v27, 16, v22
	v_lshlrev_b32_e32 v26, 16, v18
	s_and_b32 s7, 0xffff, s13
	s_delay_alu instid0(SALU_CYCLE_1) | instskip(NEXT) | instid1(VALU_DEP_1)
	s_cmp_eq_u32 s7, 0
	v_dual_max_num_f32 v27, v27, v27 :: v_dual_max_num_f32 v26, v26, v26
	s_cselect_b32 vcc_lo, -1, 0
	s_delay_alu instid0(VALU_DEP_1) | instskip(NEXT) | instid1(VALU_DEP_1)
	v_dual_min_num_f32 v28, v27, v26 :: v_dual_max_num_f32 v26, v27, v26
	v_cndmask_b32_e32 v27, v26, v28, vcc_lo
	s_delay_alu instid0(VALU_DEP_1) | instskip(NEXT) | instid1(VALU_DEP_1)
	v_and_b32_e32 v26, 0x7f800000, v27
	v_cmp_ne_u32_e64 s7, 0x7f800000, v26
                                        ; implicit-def: $vgpr26
	s_and_saveexec_b32 s11, s7
	s_delay_alu instid0(SALU_CYCLE_1)
	s_xor_b32 s7, exec_lo, s11
; %bb.875:                              ;   in Loop: Header=BB8_662 Depth=1
	v_bfe_u32 v26, v27, 16, 1
	s_delay_alu instid0(VALU_DEP_1)
	v_add3_u32 v26, v27, v26, 0x7fff
                                        ; implicit-def: $vgpr27
; %bb.876:                              ;   in Loop: Header=BB8_662 Depth=1
	s_and_not1_saveexec_b32 s11, s7
; %bb.877:                              ;   in Loop: Header=BB8_662 Depth=1
	v_and_b32_e32 v26, 0xffff, v27
	v_or_b32_e32 v28, 0x10000, v27
	s_delay_alu instid0(VALU_DEP_2) | instskip(NEXT) | instid1(VALU_DEP_1)
	v_cmp_eq_u32_e64 s7, 0, v26
	v_cndmask_b32_e64 v26, v28, v27, s7
; %bb.878:                              ;   in Loop: Header=BB8_662 Depth=1
	s_or_b32 exec_lo, exec_lo, s11
	v_and_b32_e32 v18, 0xffff0000, v18
	v_and_b32_e32 v22, 0xffff0000, v22
	s_delay_alu instid0(VALU_DEP_2) | instskip(NEXT) | instid1(VALU_DEP_2)
	v_max_num_f32_e32 v18, v18, v18
	v_max_num_f32_e32 v22, v22, v22
	s_delay_alu instid0(VALU_DEP_1) | instskip(NEXT) | instid1(VALU_DEP_1)
	v_dual_min_num_f32 v27, v22, v18 :: v_dual_max_num_f32 v18, v22, v18
	v_cndmask_b32_e32 v22, v18, v27, vcc_lo
	s_delay_alu instid0(VALU_DEP_1) | instskip(NEXT) | instid1(VALU_DEP_1)
	v_and_b32_e32 v18, 0x7f800000, v22
	v_cmp_ne_u32_e64 s7, 0x7f800000, v18
                                        ; implicit-def: $vgpr18
	s_and_saveexec_b32 s11, s7
	s_delay_alu instid0(SALU_CYCLE_1)
	s_xor_b32 s7, exec_lo, s11
; %bb.879:                              ;   in Loop: Header=BB8_662 Depth=1
	v_bfe_u32 v18, v22, 16, 1
	s_delay_alu instid0(VALU_DEP_1)
	v_add3_u32 v18, v22, v18, 0x7fff
                                        ; implicit-def: $vgpr22
; %bb.880:                              ;   in Loop: Header=BB8_662 Depth=1
	s_and_not1_saveexec_b32 s11, s7
; %bb.881:                              ;   in Loop: Header=BB8_662 Depth=1
	v_and_b32_e32 v18, 0xffff, v22
	v_or_b32_e32 v27, 0x10000, v22
	s_delay_alu instid0(VALU_DEP_2) | instskip(NEXT) | instid1(VALU_DEP_1)
	v_cmp_eq_u32_e64 s7, 0, v18
	v_cndmask_b32_e64 v18, v27, v22, s7
; %bb.882:                              ;   in Loop: Header=BB8_662 Depth=1
	s_or_b32 exec_lo, exec_lo, s11
	v_lshlrev_b32_e32 v22, 16, v19
	s_delay_alu instid0(VALU_DEP_1) | instskip(NEXT) | instid1(VALU_DEP_1)
	v_dual_max_num_f32 v22, v22, v22 :: v_dual_lshlrev_b32 v27, 16, v23
	v_max_num_f32_e32 v27, v27, v27
	s_delay_alu instid0(VALU_DEP_1) | instskip(NEXT) | instid1(VALU_DEP_1)
	v_dual_min_num_f32 v28, v27, v22 :: v_dual_max_num_f32 v22, v27, v22
	v_cndmask_b32_e32 v27, v22, v28, vcc_lo
	s_delay_alu instid0(VALU_DEP_1) | instskip(NEXT) | instid1(VALU_DEP_1)
	v_and_b32_e32 v22, 0x7f800000, v27
	v_cmp_ne_u32_e64 s7, 0x7f800000, v22
                                        ; implicit-def: $vgpr22
	s_and_saveexec_b32 s11, s7
	s_delay_alu instid0(SALU_CYCLE_1)
	s_xor_b32 s7, exec_lo, s11
; %bb.883:                              ;   in Loop: Header=BB8_662 Depth=1
	v_bfe_u32 v22, v27, 16, 1
	s_delay_alu instid0(VALU_DEP_1)
	v_add3_u32 v22, v27, v22, 0x7fff
                                        ; implicit-def: $vgpr27
; %bb.884:                              ;   in Loop: Header=BB8_662 Depth=1
	s_and_not1_saveexec_b32 s11, s7
; %bb.885:                              ;   in Loop: Header=BB8_662 Depth=1
	v_and_b32_e32 v22, 0xffff, v27
	v_or_b32_e32 v28, 0x10000, v27
	s_delay_alu instid0(VALU_DEP_2) | instskip(NEXT) | instid1(VALU_DEP_1)
	v_cmp_eq_u32_e64 s7, 0, v22
	v_cndmask_b32_e64 v22, v28, v27, s7
; %bb.886:                              ;   in Loop: Header=BB8_662 Depth=1
	s_or_b32 exec_lo, exec_lo, s11
	v_and_b32_e32 v19, 0xffff0000, v19
	v_and_b32_e32 v23, 0xffff0000, v23
	s_delay_alu instid0(VALU_DEP_2) | instskip(NEXT) | instid1(VALU_DEP_2)
	v_max_num_f32_e32 v19, v19, v19
	v_max_num_f32_e32 v23, v23, v23
	s_delay_alu instid0(VALU_DEP_1) | instskip(NEXT) | instid1(VALU_DEP_1)
	v_dual_min_num_f32 v27, v23, v19 :: v_dual_max_num_f32 v19, v23, v19
	v_cndmask_b32_e32 v23, v19, v27, vcc_lo
	s_delay_alu instid0(VALU_DEP_1) | instskip(NEXT) | instid1(VALU_DEP_1)
	v_and_b32_e32 v19, 0x7f800000, v23
	v_cmp_ne_u32_e64 s7, 0x7f800000, v19
                                        ; implicit-def: $vgpr19
	s_and_saveexec_b32 s11, s7
	s_delay_alu instid0(SALU_CYCLE_1)
	s_xor_b32 s7, exec_lo, s11
; %bb.887:                              ;   in Loop: Header=BB8_662 Depth=1
	v_bfe_u32 v19, v23, 16, 1
	s_delay_alu instid0(VALU_DEP_1)
	v_add3_u32 v19, v23, v19, 0x7fff
                                        ; implicit-def: $vgpr23
; %bb.888:                              ;   in Loop: Header=BB8_662 Depth=1
	s_and_not1_saveexec_b32 s11, s7
; %bb.889:                              ;   in Loop: Header=BB8_662 Depth=1
	v_and_b32_e32 v19, 0xffff, v23
	v_or_b32_e32 v27, 0x10000, v23
	s_delay_alu instid0(VALU_DEP_2) | instskip(NEXT) | instid1(VALU_DEP_1)
	v_cmp_eq_u32_e64 s7, 0, v19
	v_cndmask_b32_e64 v19, v27, v23, s7
; %bb.890:                              ;   in Loop: Header=BB8_662 Depth=1
	s_or_b32 exec_lo, exec_lo, s11
	v_lshlrev_b32_e32 v27, 16, v24
	s_delay_alu instid0(VALU_DEP_1) | instskip(NEXT) | instid1(VALU_DEP_1)
	v_dual_lshlrev_b32 v23, 16, v20 :: v_dual_max_num_f32 v27, v27, v27
	v_max_num_f32_e32 v23, v23, v23
	s_delay_alu instid0(VALU_DEP_1) | instskip(NEXT) | instid1(VALU_DEP_1)
	v_dual_min_num_f32 v28, v27, v23 :: v_dual_max_num_f32 v23, v27, v23
	v_cndmask_b32_e32 v27, v23, v28, vcc_lo
	s_delay_alu instid0(VALU_DEP_1) | instskip(NEXT) | instid1(VALU_DEP_1)
	v_and_b32_e32 v23, 0x7f800000, v27
	v_cmp_ne_u32_e64 s7, 0x7f800000, v23
                                        ; implicit-def: $vgpr23
	s_and_saveexec_b32 s11, s7
	s_delay_alu instid0(SALU_CYCLE_1)
	s_xor_b32 s7, exec_lo, s11
; %bb.891:                              ;   in Loop: Header=BB8_662 Depth=1
	v_bfe_u32 v23, v27, 16, 1
	s_delay_alu instid0(VALU_DEP_1)
	v_add3_u32 v23, v27, v23, 0x7fff
                                        ; implicit-def: $vgpr27
; %bb.892:                              ;   in Loop: Header=BB8_662 Depth=1
	s_and_not1_saveexec_b32 s11, s7
; %bb.893:                              ;   in Loop: Header=BB8_662 Depth=1
	v_and_b32_e32 v23, 0xffff, v27
	v_or_b32_e32 v28, 0x10000, v27
	s_delay_alu instid0(VALU_DEP_2) | instskip(NEXT) | instid1(VALU_DEP_1)
	v_cmp_eq_u32_e64 s7, 0, v23
	v_cndmask_b32_e64 v23, v28, v27, s7
; %bb.894:                              ;   in Loop: Header=BB8_662 Depth=1
	s_or_b32 exec_lo, exec_lo, s11
	v_and_b32_e32 v20, 0xffff0000, v20
	v_and_b32_e32 v24, 0xffff0000, v24
	s_delay_alu instid0(VALU_DEP_2) | instskip(NEXT) | instid1(VALU_DEP_2)
	v_max_num_f32_e32 v20, v20, v20
	v_max_num_f32_e32 v24, v24, v24
	s_delay_alu instid0(VALU_DEP_1) | instskip(NEXT) | instid1(VALU_DEP_1)
	v_dual_min_num_f32 v27, v24, v20 :: v_dual_max_num_f32 v20, v24, v20
	v_cndmask_b32_e32 v24, v20, v27, vcc_lo
	s_delay_alu instid0(VALU_DEP_1) | instskip(NEXT) | instid1(VALU_DEP_1)
	v_and_b32_e32 v20, 0x7f800000, v24
	v_cmp_ne_u32_e64 s7, 0x7f800000, v20
                                        ; implicit-def: $vgpr20
	s_and_saveexec_b32 s11, s7
	s_delay_alu instid0(SALU_CYCLE_1)
	s_xor_b32 s7, exec_lo, s11
; %bb.895:                              ;   in Loop: Header=BB8_662 Depth=1
	v_bfe_u32 v20, v24, 16, 1
	s_delay_alu instid0(VALU_DEP_1)
	v_add3_u32 v20, v24, v20, 0x7fff
                                        ; implicit-def: $vgpr24
; %bb.896:                              ;   in Loop: Header=BB8_662 Depth=1
	s_and_not1_saveexec_b32 s11, s7
; %bb.897:                              ;   in Loop: Header=BB8_662 Depth=1
	v_and_b32_e32 v20, 0xffff, v24
	v_or_b32_e32 v27, 0x10000, v24
	s_delay_alu instid0(VALU_DEP_2) | instskip(NEXT) | instid1(VALU_DEP_1)
	v_cmp_eq_u32_e64 s7, 0, v20
	v_cndmask_b32_e64 v20, v27, v24, s7
; %bb.898:                              ;   in Loop: Header=BB8_662 Depth=1
	s_or_b32 exec_lo, exec_lo, s11
	v_lshlrev_b32_e32 v27, 16, v25
	s_delay_alu instid0(VALU_DEP_1) | instskip(NEXT) | instid1(VALU_DEP_1)
	v_dual_max_num_f32 v27, v27, v27 :: v_dual_lshlrev_b32 v24, 16, v21
	v_max_num_f32_e32 v24, v24, v24
	s_delay_alu instid0(VALU_DEP_1) | instskip(NEXT) | instid1(VALU_DEP_1)
	v_dual_min_num_f32 v28, v27, v24 :: v_dual_max_num_f32 v24, v27, v24
	v_cndmask_b32_e32 v27, v24, v28, vcc_lo
	s_delay_alu instid0(VALU_DEP_1) | instskip(NEXT) | instid1(VALU_DEP_1)
	v_and_b32_e32 v24, 0x7f800000, v27
	v_cmp_ne_u32_e64 s7, 0x7f800000, v24
                                        ; implicit-def: $vgpr24
	s_and_saveexec_b32 s11, s7
	s_delay_alu instid0(SALU_CYCLE_1)
	s_xor_b32 s7, exec_lo, s11
; %bb.899:                              ;   in Loop: Header=BB8_662 Depth=1
	v_bfe_u32 v24, v27, 16, 1
	s_delay_alu instid0(VALU_DEP_1)
	v_add3_u32 v24, v27, v24, 0x7fff
                                        ; implicit-def: $vgpr27
; %bb.900:                              ;   in Loop: Header=BB8_662 Depth=1
	s_and_not1_saveexec_b32 s11, s7
; %bb.901:                              ;   in Loop: Header=BB8_662 Depth=1
	v_and_b32_e32 v24, 0xffff, v27
	v_or_b32_e32 v28, 0x10000, v27
	s_delay_alu instid0(VALU_DEP_2) | instskip(NEXT) | instid1(VALU_DEP_1)
	v_cmp_eq_u32_e64 s7, 0, v24
	v_cndmask_b32_e64 v24, v28, v27, s7
; %bb.902:                              ;   in Loop: Header=BB8_662 Depth=1
	s_or_b32 exec_lo, exec_lo, s11
	v_and_b32_e32 v21, 0xffff0000, v21
	v_and_b32_e32 v25, 0xffff0000, v25
	s_delay_alu instid0(VALU_DEP_2) | instskip(NEXT) | instid1(VALU_DEP_2)
	v_max_num_f32_e32 v21, v21, v21
	v_max_num_f32_e32 v25, v25, v25
	s_delay_alu instid0(VALU_DEP_1) | instskip(NEXT) | instid1(VALU_DEP_1)
	v_dual_min_num_f32 v27, v25, v21 :: v_dual_max_num_f32 v21, v25, v21
	v_cndmask_b32_e32 v25, v21, v27, vcc_lo
	s_delay_alu instid0(VALU_DEP_1) | instskip(NEXT) | instid1(VALU_DEP_1)
	v_and_b32_e32 v21, 0x7f800000, v25
	v_cmp_ne_u32_e64 s7, 0x7f800000, v21
                                        ; implicit-def: $vgpr21
	s_and_saveexec_b32 s11, s7
	s_delay_alu instid0(SALU_CYCLE_1)
	s_xor_b32 s7, exec_lo, s11
; %bb.903:                              ;   in Loop: Header=BB8_662 Depth=1
	v_bfe_u32 v21, v25, 16, 1
	s_delay_alu instid0(VALU_DEP_1)
	v_add3_u32 v21, v25, v21, 0x7fff
                                        ; implicit-def: $vgpr25
; %bb.904:                              ;   in Loop: Header=BB8_662 Depth=1
	s_and_not1_saveexec_b32 s11, s7
; %bb.905:                              ;   in Loop: Header=BB8_662 Depth=1
	v_and_b32_e32 v21, 0xffff, v25
	v_or_b32_e32 v27, 0x10000, v25
	s_delay_alu instid0(VALU_DEP_2) | instskip(NEXT) | instid1(VALU_DEP_1)
	v_cmp_eq_u32_e64 s7, 0, v21
	v_cndmask_b32_e64 v21, v27, v25, s7
; %bb.906:                              ;   in Loop: Header=BB8_662 Depth=1
	s_or_b32 exec_lo, exec_lo, s11
	v_lshlrev_b32_e32 v27, 16, v14
	s_delay_alu instid0(VALU_DEP_1) | instskip(NEXT) | instid1(VALU_DEP_1)
	v_dual_lshlrev_b32 v25, 16, v10 :: v_dual_max_num_f32 v27, v27, v27
	v_max_num_f32_e32 v25, v25, v25
	s_delay_alu instid0(VALU_DEP_1) | instskip(NEXT) | instid1(VALU_DEP_1)
	v_dual_min_num_f32 v28, v27, v25 :: v_dual_max_num_f32 v25, v27, v25
	v_cndmask_b32_e32 v27, v25, v28, vcc_lo
	s_delay_alu instid0(VALU_DEP_1) | instskip(NEXT) | instid1(VALU_DEP_1)
	v_and_b32_e32 v25, 0x7f800000, v27
	v_cmp_ne_u32_e64 s7, 0x7f800000, v25
                                        ; implicit-def: $vgpr25
	s_and_saveexec_b32 s11, s7
	s_delay_alu instid0(SALU_CYCLE_1)
	s_xor_b32 s7, exec_lo, s11
; %bb.907:                              ;   in Loop: Header=BB8_662 Depth=1
	v_bfe_u32 v25, v27, 16, 1
	s_delay_alu instid0(VALU_DEP_1)
	v_add3_u32 v25, v27, v25, 0x7fff
                                        ; implicit-def: $vgpr27
; %bb.908:                              ;   in Loop: Header=BB8_662 Depth=1
	s_and_not1_saveexec_b32 s11, s7
; %bb.909:                              ;   in Loop: Header=BB8_662 Depth=1
	v_and_b32_e32 v25, 0xffff, v27
	v_or_b32_e32 v28, 0x10000, v27
	s_delay_alu instid0(VALU_DEP_2) | instskip(NEXT) | instid1(VALU_DEP_1)
	v_cmp_eq_u32_e64 s7, 0, v25
	v_cndmask_b32_e64 v25, v28, v27, s7
; %bb.910:                              ;   in Loop: Header=BB8_662 Depth=1
	s_or_b32 exec_lo, exec_lo, s11
	v_and_b32_e32 v10, 0xffff0000, v10
	v_and_b32_e32 v14, 0xffff0000, v14
	s_delay_alu instid0(VALU_DEP_2) | instskip(NEXT) | instid1(VALU_DEP_2)
	v_max_num_f32_e32 v10, v10, v10
	v_max_num_f32_e32 v14, v14, v14
	s_delay_alu instid0(VALU_DEP_1) | instskip(NEXT) | instid1(VALU_DEP_1)
	v_dual_min_num_f32 v27, v14, v10 :: v_dual_max_num_f32 v10, v14, v10
	v_cndmask_b32_e32 v14, v10, v27, vcc_lo
	s_delay_alu instid0(VALU_DEP_1) | instskip(NEXT) | instid1(VALU_DEP_1)
	v_and_b32_e32 v10, 0x7f800000, v14
	v_cmp_ne_u32_e64 s7, 0x7f800000, v10
                                        ; implicit-def: $vgpr10
	s_and_saveexec_b32 s11, s7
	s_delay_alu instid0(SALU_CYCLE_1)
	s_xor_b32 s7, exec_lo, s11
; %bb.911:                              ;   in Loop: Header=BB8_662 Depth=1
	v_bfe_u32 v10, v14, 16, 1
	s_delay_alu instid0(VALU_DEP_1)
	v_add3_u32 v10, v14, v10, 0x7fff
                                        ; implicit-def: $vgpr14
; %bb.912:                              ;   in Loop: Header=BB8_662 Depth=1
	s_and_not1_saveexec_b32 s11, s7
; %bb.913:                              ;   in Loop: Header=BB8_662 Depth=1
	v_and_b32_e32 v10, 0xffff, v14
	v_or_b32_e32 v27, 0x10000, v14
	s_delay_alu instid0(VALU_DEP_2) | instskip(NEXT) | instid1(VALU_DEP_1)
	v_cmp_eq_u32_e64 s7, 0, v10
	v_cndmask_b32_e64 v10, v27, v14, s7
; %bb.914:                              ;   in Loop: Header=BB8_662 Depth=1
	s_or_b32 exec_lo, exec_lo, s11
	v_lshlrev_b32_e32 v14, 16, v11
	s_delay_alu instid0(VALU_DEP_1) | instskip(NEXT) | instid1(VALU_DEP_1)
	v_dual_max_num_f32 v14, v14, v14 :: v_dual_lshlrev_b32 v27, 16, v15
	v_max_num_f32_e32 v27, v27, v27
	s_delay_alu instid0(VALU_DEP_1) | instskip(NEXT) | instid1(VALU_DEP_1)
	v_dual_min_num_f32 v28, v27, v14 :: v_dual_max_num_f32 v14, v27, v14
	v_cndmask_b32_e32 v27, v14, v28, vcc_lo
	s_delay_alu instid0(VALU_DEP_1) | instskip(NEXT) | instid1(VALU_DEP_1)
	v_and_b32_e32 v14, 0x7f800000, v27
	v_cmp_ne_u32_e64 s7, 0x7f800000, v14
                                        ; implicit-def: $vgpr14
	s_and_saveexec_b32 s11, s7
	s_delay_alu instid0(SALU_CYCLE_1)
	s_xor_b32 s7, exec_lo, s11
; %bb.915:                              ;   in Loop: Header=BB8_662 Depth=1
	v_bfe_u32 v14, v27, 16, 1
	s_delay_alu instid0(VALU_DEP_1)
	v_add3_u32 v14, v27, v14, 0x7fff
                                        ; implicit-def: $vgpr27
; %bb.916:                              ;   in Loop: Header=BB8_662 Depth=1
	s_and_not1_saveexec_b32 s11, s7
; %bb.917:                              ;   in Loop: Header=BB8_662 Depth=1
	v_and_b32_e32 v14, 0xffff, v27
	v_or_b32_e32 v28, 0x10000, v27
	s_delay_alu instid0(VALU_DEP_2) | instskip(NEXT) | instid1(VALU_DEP_1)
	v_cmp_eq_u32_e64 s7, 0, v14
	v_cndmask_b32_e64 v14, v28, v27, s7
; %bb.918:                              ;   in Loop: Header=BB8_662 Depth=1
	s_or_b32 exec_lo, exec_lo, s11
	v_and_b32_e32 v11, 0xffff0000, v11
	v_and_b32_e32 v15, 0xffff0000, v15
	s_delay_alu instid0(VALU_DEP_2) | instskip(NEXT) | instid1(VALU_DEP_2)
	v_max_num_f32_e32 v11, v11, v11
	v_max_num_f32_e32 v15, v15, v15
	s_delay_alu instid0(VALU_DEP_1) | instskip(NEXT) | instid1(VALU_DEP_1)
	v_dual_min_num_f32 v27, v15, v11 :: v_dual_max_num_f32 v11, v15, v11
	v_cndmask_b32_e32 v15, v11, v27, vcc_lo
	s_delay_alu instid0(VALU_DEP_1) | instskip(NEXT) | instid1(VALU_DEP_1)
	v_and_b32_e32 v11, 0x7f800000, v15
	v_cmp_ne_u32_e64 s7, 0x7f800000, v11
                                        ; implicit-def: $vgpr11
	s_and_saveexec_b32 s11, s7
	s_delay_alu instid0(SALU_CYCLE_1)
	s_xor_b32 s7, exec_lo, s11
; %bb.919:                              ;   in Loop: Header=BB8_662 Depth=1
	v_bfe_u32 v11, v15, 16, 1
	s_delay_alu instid0(VALU_DEP_1)
	v_add3_u32 v11, v15, v11, 0x7fff
                                        ; implicit-def: $vgpr15
; %bb.920:                              ;   in Loop: Header=BB8_662 Depth=1
	s_and_not1_saveexec_b32 s11, s7
; %bb.921:                              ;   in Loop: Header=BB8_662 Depth=1
	v_and_b32_e32 v11, 0xffff, v15
	v_or_b32_e32 v27, 0x10000, v15
	s_delay_alu instid0(VALU_DEP_2) | instskip(NEXT) | instid1(VALU_DEP_1)
	v_cmp_eq_u32_e64 s7, 0, v11
	v_cndmask_b32_e64 v11, v27, v15, s7
; %bb.922:                              ;   in Loop: Header=BB8_662 Depth=1
	s_or_b32 exec_lo, exec_lo, s11
	v_lshlrev_b32_e32 v27, 16, v16
	s_delay_alu instid0(VALU_DEP_1) | instskip(NEXT) | instid1(VALU_DEP_1)
	v_dual_lshlrev_b32 v15, 16, v12 :: v_dual_max_num_f32 v27, v27, v27
	v_max_num_f32_e32 v15, v15, v15
	s_delay_alu instid0(VALU_DEP_1) | instskip(NEXT) | instid1(VALU_DEP_1)
	v_dual_min_num_f32 v28, v27, v15 :: v_dual_max_num_f32 v15, v27, v15
	v_cndmask_b32_e32 v27, v15, v28, vcc_lo
	s_delay_alu instid0(VALU_DEP_1) | instskip(NEXT) | instid1(VALU_DEP_1)
	v_and_b32_e32 v15, 0x7f800000, v27
	v_cmp_ne_u32_e64 s7, 0x7f800000, v15
                                        ; implicit-def: $vgpr15
	s_and_saveexec_b32 s11, s7
	s_delay_alu instid0(SALU_CYCLE_1)
	s_xor_b32 s7, exec_lo, s11
; %bb.923:                              ;   in Loop: Header=BB8_662 Depth=1
	v_bfe_u32 v15, v27, 16, 1
	s_delay_alu instid0(VALU_DEP_1)
	v_add3_u32 v15, v27, v15, 0x7fff
                                        ; implicit-def: $vgpr27
; %bb.924:                              ;   in Loop: Header=BB8_662 Depth=1
	s_and_not1_saveexec_b32 s11, s7
; %bb.925:                              ;   in Loop: Header=BB8_662 Depth=1
	v_and_b32_e32 v15, 0xffff, v27
	v_or_b32_e32 v28, 0x10000, v27
	s_delay_alu instid0(VALU_DEP_2) | instskip(NEXT) | instid1(VALU_DEP_1)
	v_cmp_eq_u32_e64 s7, 0, v15
	v_cndmask_b32_e64 v15, v28, v27, s7
; %bb.926:                              ;   in Loop: Header=BB8_662 Depth=1
	s_or_b32 exec_lo, exec_lo, s11
	v_and_b32_e32 v12, 0xffff0000, v12
	v_and_b32_e32 v16, 0xffff0000, v16
	s_delay_alu instid0(VALU_DEP_2) | instskip(NEXT) | instid1(VALU_DEP_2)
	v_max_num_f32_e32 v12, v12, v12
	v_max_num_f32_e32 v16, v16, v16
	s_delay_alu instid0(VALU_DEP_1) | instskip(NEXT) | instid1(VALU_DEP_1)
	v_dual_min_num_f32 v27, v16, v12 :: v_dual_max_num_f32 v12, v16, v12
	v_cndmask_b32_e32 v16, v12, v27, vcc_lo
	s_delay_alu instid0(VALU_DEP_1) | instskip(NEXT) | instid1(VALU_DEP_1)
	v_and_b32_e32 v12, 0x7f800000, v16
	v_cmp_ne_u32_e64 s7, 0x7f800000, v12
                                        ; implicit-def: $vgpr12
	s_and_saveexec_b32 s11, s7
	s_delay_alu instid0(SALU_CYCLE_1)
	s_xor_b32 s7, exec_lo, s11
; %bb.927:                              ;   in Loop: Header=BB8_662 Depth=1
	v_bfe_u32 v12, v16, 16, 1
	s_delay_alu instid0(VALU_DEP_1)
	v_add3_u32 v12, v16, v12, 0x7fff
                                        ; implicit-def: $vgpr16
; %bb.928:                              ;   in Loop: Header=BB8_662 Depth=1
	s_and_not1_saveexec_b32 s11, s7
; %bb.929:                              ;   in Loop: Header=BB8_662 Depth=1
	v_and_b32_e32 v12, 0xffff, v16
	v_or_b32_e32 v27, 0x10000, v16
	s_delay_alu instid0(VALU_DEP_2) | instskip(NEXT) | instid1(VALU_DEP_1)
	v_cmp_eq_u32_e64 s7, 0, v12
	v_cndmask_b32_e64 v12, v27, v16, s7
; %bb.930:                              ;   in Loop: Header=BB8_662 Depth=1
	s_or_b32 exec_lo, exec_lo, s11
	v_lshlrev_b32_e32 v27, 16, v17
	s_delay_alu instid0(VALU_DEP_1) | instskip(NEXT) | instid1(VALU_DEP_1)
	v_dual_max_num_f32 v27, v27, v27 :: v_dual_lshlrev_b32 v16, 16, v13
	v_max_num_f32_e32 v16, v16, v16
	s_delay_alu instid0(VALU_DEP_1) | instskip(NEXT) | instid1(VALU_DEP_1)
	v_dual_min_num_f32 v28, v27, v16 :: v_dual_max_num_f32 v16, v27, v16
	v_cndmask_b32_e32 v27, v16, v28, vcc_lo
	s_delay_alu instid0(VALU_DEP_1) | instskip(NEXT) | instid1(VALU_DEP_1)
	v_and_b32_e32 v16, 0x7f800000, v27
	v_cmp_ne_u32_e64 s7, 0x7f800000, v16
                                        ; implicit-def: $vgpr16
	s_and_saveexec_b32 s11, s7
	s_delay_alu instid0(SALU_CYCLE_1)
	s_xor_b32 s7, exec_lo, s11
; %bb.931:                              ;   in Loop: Header=BB8_662 Depth=1
	v_bfe_u32 v16, v27, 16, 1
	s_delay_alu instid0(VALU_DEP_1)
	v_add3_u32 v16, v27, v16, 0x7fff
                                        ; implicit-def: $vgpr27
; %bb.932:                              ;   in Loop: Header=BB8_662 Depth=1
	s_and_not1_saveexec_b32 s11, s7
; %bb.933:                              ;   in Loop: Header=BB8_662 Depth=1
	v_and_b32_e32 v16, 0xffff, v27
	v_or_b32_e32 v28, 0x10000, v27
	s_delay_alu instid0(VALU_DEP_2) | instskip(NEXT) | instid1(VALU_DEP_1)
	v_cmp_eq_u32_e64 s7, 0, v16
	v_cndmask_b32_e64 v16, v28, v27, s7
; %bb.934:                              ;   in Loop: Header=BB8_662 Depth=1
	s_or_b32 exec_lo, exec_lo, s11
	v_and_b32_e32 v13, 0xffff0000, v13
	v_and_b32_e32 v17, 0xffff0000, v17
	s_delay_alu instid0(VALU_DEP_2) | instskip(NEXT) | instid1(VALU_DEP_2)
	v_max_num_f32_e32 v13, v13, v13
	v_max_num_f32_e32 v17, v17, v17
	s_delay_alu instid0(VALU_DEP_1) | instskip(NEXT) | instid1(VALU_DEP_1)
	v_dual_min_num_f32 v27, v17, v13 :: v_dual_max_num_f32 v13, v17, v13
	v_cndmask_b32_e32 v17, v13, v27, vcc_lo
	s_delay_alu instid0(VALU_DEP_1) | instskip(NEXT) | instid1(VALU_DEP_1)
	v_and_b32_e32 v13, 0x7f800000, v17
	v_cmp_ne_u32_e32 vcc_lo, 0x7f800000, v13
                                        ; implicit-def: $vgpr13
	s_and_saveexec_b32 s7, vcc_lo
	s_delay_alu instid0(SALU_CYCLE_1)
	s_xor_b32 s7, exec_lo, s7
; %bb.935:                              ;   in Loop: Header=BB8_662 Depth=1
	v_bfe_u32 v13, v17, 16, 1
	s_delay_alu instid0(VALU_DEP_1)
	v_add3_u32 v13, v17, v13, 0x7fff
                                        ; implicit-def: $vgpr17
; %bb.936:                              ;   in Loop: Header=BB8_662 Depth=1
	s_and_not1_saveexec_b32 s7, s7
; %bb.937:                              ;   in Loop: Header=BB8_662 Depth=1
	v_and_b32_e32 v13, 0xffff, v17
	v_or_b32_e32 v27, 0x10000, v17
	s_delay_alu instid0(VALU_DEP_2) | instskip(NEXT) | instid1(VALU_DEP_2)
	v_cmp_eq_u32_e32 vcc_lo, 0, v13
	v_cndmask_b32_e32 v13, v27, v17, vcc_lo
; %bb.938:                              ;   in Loop: Header=BB8_662 Depth=1
	s_or_b32 exec_lo, exec_lo, s7
	v_dual_lshrrev_b32 v17, 16, v22 :: v_dual_lshrrev_b32 v23, 16, v23
	v_lshrrev_b32_e32 v22, 16, v26
	v_dual_lshrrev_b32 v14, 16, v14 :: v_dual_lshrrev_b32 v15, 16, v15
	v_lshrrev_b32_e32 v16, 16, v16
	s_delay_alu instid0(VALU_DEP_4)
	v_and_or_b32 v19, 0xffff0000, v19, v17
	v_lshrrev_b32_e32 v17, 16, v24
	v_and_or_b32 v18, 0xffff0000, v18, v22
	v_lshrrev_b32_e32 v22, 16, v25
	v_and_or_b32 v20, 0xffff0000, v20, v23
	v_and_or_b32 v11, 0xffff0000, v11, v14
	;; [unrolled: 1-line block ×6, first 2 shown]
	s_clause 0x1
	global_store_b128 v[46:47], v[18:21], off th:TH_STORE_NT
	global_store_b128 v[46:47], v[10:13], off offset:512 th:TH_STORE_NT
.LBB8_939:                              ;   in Loop: Header=BB8_662 Depth=1
	s_wait_xcnt 0x0
	s_or_b32 exec_lo, exec_lo, s10
	v_lshlrev_b32_e32 v24, 10, v75
	s_mov_b32 s29, exec_lo
                                        ; implicit-def: $vgpr16
                                        ; implicit-def: $vgpr10
                                        ; implicit-def: $vgpr17
	s_delay_alu instid0(VALU_DEP_1)
	v_cmpx_ne_u32_e64 v74, v24
	s_cbranch_execz .LBB8_1054
; %bb.940:                              ;   in Loop: Header=BB8_662 Depth=1
	v_lshlrev_b32_e32 v10, 5, v76
	s_mov_b32 s10, 0
	s_mov_b32 s40, exec_lo
	s_delay_alu instid0(VALU_DEP_1) | instskip(NEXT) | instid1(VALU_DEP_1)
	v_dual_sub_nc_u32 v12, v74, v24 :: v_dual_sub_nc_u32 v10, v60, v10
	v_dual_ashrrev_i32 v14, 31, v12 :: v_dual_ashrrev_i32 v11, 31, v10
	s_delay_alu instid0(VALU_DEP_1) | instskip(NEXT) | instid1(VALU_DEP_1)
	v_lshrrev_b32_e32 v11, 27, v11
	v_add_nc_u32_e32 v11, v10, v11
	s_delay_alu instid0(VALU_DEP_1) | instskip(NEXT) | instid1(VALU_DEP_1)
	v_and_b32_e32 v13, 0xffffffe0, v11
	v_dual_sub_nc_u32 v25, v10, v13 :: v_dual_lshrrev_b32 v10, 23, v14
	s_delay_alu instid0(VALU_DEP_1) | instskip(NEXT) | instid1(VALU_DEP_2)
	v_dual_ashrrev_i32 v13, 5, v11 :: v_dual_lshlrev_b32 v11, 4, v25
	v_add_nc_u32_e32 v14, v12, v10
	s_delay_alu instid0(VALU_DEP_2) | instskip(NEXT) | instid1(VALU_DEP_2)
	v_lshl_add_u32 v15, v13, 9, v11
	v_and_b32_e32 v26, 0xfffffe00, v14
	s_delay_alu instid0(VALU_DEP_2) | instskip(NEXT) | instid1(VALU_DEP_2)
	v_dual_ashrrev_i32 v14, 9, v14 :: v_dual_sub_nc_u32 v29, v12, v15
	v_dual_add_nc_u32 v10, v15, v24 :: v_dual_sub_nc_u32 v27, v12, v26
	s_delay_alu instid0(VALU_DEP_1) | instskip(NEXT) | instid1(VALU_DEP_1)
	v_cmp_lt_i32_e64 s7, 15, v27
	v_add_co_ci_u32_e64 v14, null, 0, v14, s7
	s_delay_alu instid0(VALU_DEP_1) | instskip(NEXT) | instid1(VALU_DEP_1)
	v_dual_ashrrev_i32 v11, 31, v10 :: v_dual_sub_nc_u32 v28, v14, v13
	v_add_nc_u64_e32 v[18:19], v[10:11], v[44:45]
	v_cmpx_lt_i32_e32 15, v29
	s_cbranch_execz .LBB8_1017
; %bb.941:                              ;   in Loop: Header=BB8_662 Depth=1
	s_trap 2
	ds_load_b64 v[12:13], v0
	v_add_nc_u64_e32 v[20:21], v[10:11], v[42:43]
	s_and_b32 s10, 0xffff, s13
	s_mov_b32 s43, 0
	s_cmp_eq_u32 s10, 0
	s_mov_b32 s41, 0
	s_cselect_b32 s10, -1, 0
                                        ; implicit-def: $sgpr42
	s_wait_dscnt 0x0
	v_add_nc_u64_e32 v[22:23], v[12:13], v[10:11]
	s_branch .LBB8_943
.LBB8_942:                              ;   in Loop: Header=BB8_943 Depth=2
	s_or_b32 exec_lo, exec_lo, s11
	s_delay_alu instid0(VALU_DEP_1) | instskip(SKIP_3) | instid1(SALU_CYCLE_1)
	v_cmp_gt_i32_e32 vcc_lo, 16, v29
	s_or_b32 s41, vcc_lo, s41
	s_and_not1_b32 s11, s42, exec_lo
	s_and_b32 s12, s43, exec_lo
	s_or_b32 s42, s11, s12
	s_and_not1_b32 exec_lo, exec_lo, s41
	s_cbranch_execz .LBB8_1016
.LBB8_943:                              ;   Parent Loop BB8_662 Depth=1
                                        ; =>  This Loop Header: Depth=2
                                        ;       Child Loop BB8_944 Depth 3
                                        ;       Child Loop BB8_981 Depth 3
	s_add_co_i32 s11, s33, 0xa0
	s_mov_b64 s[14:15], 0
	s_mov_b32 s44, s11
	s_mov_b32 s45, -1
.LBB8_944:                              ;   Parent Loop BB8_662 Depth=1
                                        ;     Parent Loop BB8_943 Depth=2
                                        ; =>    This Inner Loop Header: Depth=3
	s_cmp_eq_u32 s14, 1
	s_cselect_b32 vcc_lo, -1, 0
	s_cmp_eq_u32 s14, 0
	v_dual_cndmask_b32 v15, v21, v23 :: v_dual_cndmask_b32 v14, v20, v22
	s_cselect_b32 s11, -1, 0
	s_and_b32 s12, exec_lo, s45
	s_mov_b64 s[14:15], 1
	s_mov_b32 s45, 0
	global_load_b128 v[10:13], v[14:15], off th:TH_LOAD_NT
	s_wait_xcnt 0x0
	v_add_nc_u64_e32 v[14:15], 0x200, v[14:15]
	s_delay_alu instid0(VALU_DEP_1)
	v_dual_cndmask_b32 v21, v21, v15, s11 :: v_dual_cndmask_b32 v20, v20, v14, s11
	v_dual_cndmask_b32 v23, v23, v15 :: v_dual_cndmask_b32 v22, v22, v14
	s_mov_b32 vcc_lo, s12
	s_wait_loadcnt 0x0
	scratch_store_b128 off, v[10:13], s44
	s_wait_xcnt 0x0
	s_mov_b32 s44, s24
	s_cbranch_vccnz .LBB8_944
; %bb.945:                              ;   in Loop: Header=BB8_943 Depth=2
	s_and_saveexec_b32 s11, s43
	s_cbranch_execz .LBB8_979
; %bb.946:                              ;   in Loop: Header=BB8_943 Depth=2
	s_clause 0x1
	scratch_load_b128 v[14:17], off, s33 offset:208
	scratch_load_b128 v[10:13], off, s33 offset:192
	s_wait_loadcnt 0x0
	v_lshlrev_b32_e32 v33, 16, v10
	s_delay_alu instid0(VALU_DEP_1) | instskip(NEXT) | instid1(VALU_DEP_1)
	v_dual_max_num_f32 v33, v33, v33 :: v_dual_lshlrev_b32 v32, 16, v14
	v_max_num_f32_e32 v32, v32, v32
	s_delay_alu instid0(VALU_DEP_1) | instskip(NEXT) | instid1(VALU_DEP_1)
	v_dual_min_num_f32 v34, v33, v32 :: v_dual_max_num_f32 v32, v33, v32
	v_cndmask_b32_e64 v33, v32, v34, s10
	s_delay_alu instid0(VALU_DEP_1) | instskip(NEXT) | instid1(VALU_DEP_1)
	v_and_b32_e32 v32, 0x7f800000, v33
	v_cmp_ne_u32_e32 vcc_lo, 0x7f800000, v32
                                        ; implicit-def: $vgpr32
	s_wait_xcnt 0x0
	s_and_saveexec_b32 s12, vcc_lo
	s_delay_alu instid0(SALU_CYCLE_1)
	s_xor_b32 s12, exec_lo, s12
; %bb.947:                              ;   in Loop: Header=BB8_943 Depth=2
	v_bfe_u32 v32, v33, 16, 1
	s_delay_alu instid0(VALU_DEP_1)
	v_add3_u32 v32, v33, v32, 0x7fff
                                        ; implicit-def: $vgpr33
; %bb.948:                              ;   in Loop: Header=BB8_943 Depth=2
	s_and_not1_saveexec_b32 s12, s12
; %bb.949:                              ;   in Loop: Header=BB8_943 Depth=2
	v_and_b32_e32 v32, 0xffff, v33
	v_or_b32_e32 v34, 0x10000, v33
	s_delay_alu instid0(VALU_DEP_2) | instskip(NEXT) | instid1(VALU_DEP_2)
	v_cmp_eq_u32_e32 vcc_lo, 0, v32
	v_cndmask_b32_e32 v32, v34, v33, vcc_lo
; %bb.950:                              ;   in Loop: Header=BB8_943 Depth=2
	s_or_b32 exec_lo, exec_lo, s12
	v_and_b32_e32 v14, 0xffff0000, v14
	v_and_b32_e32 v10, 0xffff0000, v10
	s_delay_alu instid0(VALU_DEP_2) | instskip(NEXT) | instid1(VALU_DEP_2)
	v_max_num_f32_e32 v14, v14, v14
	v_max_num_f32_e32 v10, v10, v10
	s_delay_alu instid0(VALU_DEP_1) | instskip(NEXT) | instid1(VALU_DEP_1)
	v_dual_min_num_f32 v33, v10, v14 :: v_dual_max_num_f32 v10, v10, v14
	v_cndmask_b32_e64 v14, v10, v33, s10
	s_delay_alu instid0(VALU_DEP_1) | instskip(NEXT) | instid1(VALU_DEP_1)
	v_and_b32_e32 v10, 0x7f800000, v14
	v_cmp_ne_u32_e32 vcc_lo, 0x7f800000, v10
                                        ; implicit-def: $vgpr10
	s_and_saveexec_b32 s12, vcc_lo
	s_delay_alu instid0(SALU_CYCLE_1)
	s_xor_b32 s12, exec_lo, s12
; %bb.951:                              ;   in Loop: Header=BB8_943 Depth=2
	v_bfe_u32 v10, v14, 16, 1
	s_delay_alu instid0(VALU_DEP_1)
	v_add3_u32 v10, v14, v10, 0x7fff
                                        ; implicit-def: $vgpr14
; %bb.952:                              ;   in Loop: Header=BB8_943 Depth=2
	s_and_not1_saveexec_b32 s12, s12
; %bb.953:                              ;   in Loop: Header=BB8_943 Depth=2
	v_and_b32_e32 v10, 0xffff, v14
	v_or_b32_e32 v33, 0x10000, v14
	s_delay_alu instid0(VALU_DEP_2) | instskip(NEXT) | instid1(VALU_DEP_2)
	v_cmp_eq_u32_e32 vcc_lo, 0, v10
	v_cndmask_b32_e32 v10, v33, v14, vcc_lo
; %bb.954:                              ;   in Loop: Header=BB8_943 Depth=2
	s_or_b32 exec_lo, exec_lo, s12
	v_lshlrev_b32_e32 v33, 16, v11
	s_delay_alu instid0(VALU_DEP_1) | instskip(NEXT) | instid1(VALU_DEP_1)
	v_dual_max_num_f32 v33, v33, v33 :: v_dual_lshlrev_b32 v14, 16, v15
	v_max_num_f32_e32 v14, v14, v14
	s_delay_alu instid0(VALU_DEP_1) | instskip(NEXT) | instid1(VALU_DEP_1)
	v_dual_min_num_f32 v34, v33, v14 :: v_dual_max_num_f32 v14, v33, v14
	v_cndmask_b32_e64 v33, v14, v34, s10
	s_delay_alu instid0(VALU_DEP_1) | instskip(NEXT) | instid1(VALU_DEP_1)
	v_and_b32_e32 v14, 0x7f800000, v33
	v_cmp_ne_u32_e32 vcc_lo, 0x7f800000, v14
                                        ; implicit-def: $vgpr14
	s_and_saveexec_b32 s12, vcc_lo
	s_delay_alu instid0(SALU_CYCLE_1)
	s_xor_b32 s12, exec_lo, s12
; %bb.955:                              ;   in Loop: Header=BB8_943 Depth=2
	v_bfe_u32 v14, v33, 16, 1
	s_delay_alu instid0(VALU_DEP_1)
	v_add3_u32 v14, v33, v14, 0x7fff
                                        ; implicit-def: $vgpr33
; %bb.956:                              ;   in Loop: Header=BB8_943 Depth=2
	s_and_not1_saveexec_b32 s12, s12
; %bb.957:                              ;   in Loop: Header=BB8_943 Depth=2
	v_and_b32_e32 v14, 0xffff, v33
	v_or_b32_e32 v34, 0x10000, v33
	s_delay_alu instid0(VALU_DEP_2) | instskip(NEXT) | instid1(VALU_DEP_2)
	v_cmp_eq_u32_e32 vcc_lo, 0, v14
	v_cndmask_b32_e32 v14, v34, v33, vcc_lo
; %bb.958:                              ;   in Loop: Header=BB8_943 Depth=2
	s_or_b32 exec_lo, exec_lo, s12
	v_and_b32_e32 v15, 0xffff0000, v15
	v_and_b32_e32 v11, 0xffff0000, v11
	s_delay_alu instid0(VALU_DEP_2) | instskip(NEXT) | instid1(VALU_DEP_2)
	v_max_num_f32_e32 v15, v15, v15
	v_max_num_f32_e32 v11, v11, v11
	s_delay_alu instid0(VALU_DEP_1) | instskip(NEXT) | instid1(VALU_DEP_1)
	v_dual_min_num_f32 v33, v11, v15 :: v_dual_max_num_f32 v11, v11, v15
	v_cndmask_b32_e64 v15, v11, v33, s10
	s_delay_alu instid0(VALU_DEP_1) | instskip(NEXT) | instid1(VALU_DEP_1)
	v_and_b32_e32 v11, 0x7f800000, v15
	v_cmp_ne_u32_e32 vcc_lo, 0x7f800000, v11
                                        ; implicit-def: $vgpr11
	s_and_saveexec_b32 s12, vcc_lo
	s_delay_alu instid0(SALU_CYCLE_1)
	s_xor_b32 s12, exec_lo, s12
; %bb.959:                              ;   in Loop: Header=BB8_943 Depth=2
	v_bfe_u32 v11, v15, 16, 1
	s_delay_alu instid0(VALU_DEP_1)
	v_add3_u32 v11, v15, v11, 0x7fff
                                        ; implicit-def: $vgpr15
; %bb.960:                              ;   in Loop: Header=BB8_943 Depth=2
	s_and_not1_saveexec_b32 s12, s12
; %bb.961:                              ;   in Loop: Header=BB8_943 Depth=2
	v_and_b32_e32 v11, 0xffff, v15
	v_or_b32_e32 v33, 0x10000, v15
	s_delay_alu instid0(VALU_DEP_2) | instskip(NEXT) | instid1(VALU_DEP_2)
	v_cmp_eq_u32_e32 vcc_lo, 0, v11
	v_cndmask_b32_e32 v11, v33, v15, vcc_lo
; %bb.962:                              ;   in Loop: Header=BB8_943 Depth=2
	s_or_b32 exec_lo, exec_lo, s12
	v_lshlrev_b32_e32 v33, 16, v12
	s_delay_alu instid0(VALU_DEP_1) | instskip(NEXT) | instid1(VALU_DEP_1)
	v_dual_lshlrev_b32 v15, 16, v16 :: v_dual_max_num_f32 v33, v33, v33
	v_max_num_f32_e32 v15, v15, v15
	s_delay_alu instid0(VALU_DEP_1) | instskip(NEXT) | instid1(VALU_DEP_1)
	v_dual_min_num_f32 v34, v33, v15 :: v_dual_max_num_f32 v15, v33, v15
	v_cndmask_b32_e64 v33, v15, v34, s10
	s_delay_alu instid0(VALU_DEP_1) | instskip(NEXT) | instid1(VALU_DEP_1)
	v_and_b32_e32 v15, 0x7f800000, v33
	v_cmp_ne_u32_e32 vcc_lo, 0x7f800000, v15
                                        ; implicit-def: $vgpr15
	s_and_saveexec_b32 s12, vcc_lo
	s_delay_alu instid0(SALU_CYCLE_1)
	s_xor_b32 s12, exec_lo, s12
; %bb.963:                              ;   in Loop: Header=BB8_943 Depth=2
	v_bfe_u32 v15, v33, 16, 1
	s_delay_alu instid0(VALU_DEP_1)
	v_add3_u32 v15, v33, v15, 0x7fff
                                        ; implicit-def: $vgpr33
; %bb.964:                              ;   in Loop: Header=BB8_943 Depth=2
	s_and_not1_saveexec_b32 s12, s12
; %bb.965:                              ;   in Loop: Header=BB8_943 Depth=2
	v_and_b32_e32 v15, 0xffff, v33
	v_or_b32_e32 v34, 0x10000, v33
	s_delay_alu instid0(VALU_DEP_2) | instskip(NEXT) | instid1(VALU_DEP_2)
	v_cmp_eq_u32_e32 vcc_lo, 0, v15
	v_cndmask_b32_e32 v15, v34, v33, vcc_lo
; %bb.966:                              ;   in Loop: Header=BB8_943 Depth=2
	s_or_b32 exec_lo, exec_lo, s12
	v_and_b32_e32 v16, 0xffff0000, v16
	v_and_b32_e32 v12, 0xffff0000, v12
	s_delay_alu instid0(VALU_DEP_2) | instskip(NEXT) | instid1(VALU_DEP_2)
	v_max_num_f32_e32 v16, v16, v16
	v_max_num_f32_e32 v12, v12, v12
	s_delay_alu instid0(VALU_DEP_1) | instskip(NEXT) | instid1(VALU_DEP_1)
	v_dual_min_num_f32 v33, v12, v16 :: v_dual_max_num_f32 v12, v12, v16
	v_cndmask_b32_e64 v16, v12, v33, s10
	s_delay_alu instid0(VALU_DEP_1) | instskip(NEXT) | instid1(VALU_DEP_1)
	v_and_b32_e32 v12, 0x7f800000, v16
	v_cmp_ne_u32_e32 vcc_lo, 0x7f800000, v12
                                        ; implicit-def: $vgpr12
	s_and_saveexec_b32 s12, vcc_lo
	s_delay_alu instid0(SALU_CYCLE_1)
	s_xor_b32 s12, exec_lo, s12
; %bb.967:                              ;   in Loop: Header=BB8_943 Depth=2
	v_bfe_u32 v12, v16, 16, 1
	s_delay_alu instid0(VALU_DEP_1)
	v_add3_u32 v12, v16, v12, 0x7fff
                                        ; implicit-def: $vgpr16
; %bb.968:                              ;   in Loop: Header=BB8_943 Depth=2
	s_and_not1_saveexec_b32 s12, s12
; %bb.969:                              ;   in Loop: Header=BB8_943 Depth=2
	v_and_b32_e32 v12, 0xffff, v16
	v_or_b32_e32 v33, 0x10000, v16
	s_delay_alu instid0(VALU_DEP_2) | instskip(NEXT) | instid1(VALU_DEP_2)
	v_cmp_eq_u32_e32 vcc_lo, 0, v12
	v_cndmask_b32_e32 v12, v33, v16, vcc_lo
; %bb.970:                              ;   in Loop: Header=BB8_943 Depth=2
	s_or_b32 exec_lo, exec_lo, s12
	v_lshlrev_b32_e32 v16, 16, v17
	s_delay_alu instid0(VALU_DEP_1) | instskip(NEXT) | instid1(VALU_DEP_1)
	v_dual_max_num_f32 v16, v16, v16 :: v_dual_lshlrev_b32 v33, 16, v13
	v_max_num_f32_e32 v33, v33, v33
	s_delay_alu instid0(VALU_DEP_1) | instskip(NEXT) | instid1(VALU_DEP_1)
	v_dual_min_num_f32 v34, v33, v16 :: v_dual_max_num_f32 v16, v33, v16
	v_cndmask_b32_e64 v33, v16, v34, s10
	s_delay_alu instid0(VALU_DEP_1) | instskip(NEXT) | instid1(VALU_DEP_1)
	v_and_b32_e32 v16, 0x7f800000, v33
	v_cmp_ne_u32_e32 vcc_lo, 0x7f800000, v16
                                        ; implicit-def: $vgpr16
	s_and_saveexec_b32 s12, vcc_lo
	s_delay_alu instid0(SALU_CYCLE_1)
	s_xor_b32 s12, exec_lo, s12
; %bb.971:                              ;   in Loop: Header=BB8_943 Depth=2
	v_bfe_u32 v16, v33, 16, 1
	s_delay_alu instid0(VALU_DEP_1)
	v_add3_u32 v16, v33, v16, 0x7fff
                                        ; implicit-def: $vgpr33
; %bb.972:                              ;   in Loop: Header=BB8_943 Depth=2
	s_and_not1_saveexec_b32 s12, s12
; %bb.973:                              ;   in Loop: Header=BB8_943 Depth=2
	v_and_b32_e32 v16, 0xffff, v33
	v_or_b32_e32 v34, 0x10000, v33
	s_delay_alu instid0(VALU_DEP_2) | instskip(NEXT) | instid1(VALU_DEP_2)
	v_cmp_eq_u32_e32 vcc_lo, 0, v16
	v_cndmask_b32_e32 v16, v34, v33, vcc_lo
; %bb.974:                              ;   in Loop: Header=BB8_943 Depth=2
	s_or_b32 exec_lo, exec_lo, s12
	v_and_b32_e32 v17, 0xffff0000, v17
	v_and_b32_e32 v13, 0xffff0000, v13
	s_delay_alu instid0(VALU_DEP_2) | instskip(NEXT) | instid1(VALU_DEP_2)
	v_max_num_f32_e32 v17, v17, v17
	v_max_num_f32_e32 v13, v13, v13
	s_delay_alu instid0(VALU_DEP_1) | instskip(NEXT) | instid1(VALU_DEP_1)
	v_dual_min_num_f32 v33, v13, v17 :: v_dual_max_num_f32 v13, v13, v17
	v_cndmask_b32_e64 v17, v13, v33, s10
	s_delay_alu instid0(VALU_DEP_1) | instskip(NEXT) | instid1(VALU_DEP_1)
	v_and_b32_e32 v13, 0x7f800000, v17
	v_cmp_ne_u32_e32 vcc_lo, 0x7f800000, v13
                                        ; implicit-def: $vgpr13
	s_and_saveexec_b32 s12, vcc_lo
	s_delay_alu instid0(SALU_CYCLE_1)
	s_xor_b32 s12, exec_lo, s12
; %bb.975:                              ;   in Loop: Header=BB8_943 Depth=2
	v_bfe_u32 v13, v17, 16, 1
	s_delay_alu instid0(VALU_DEP_1)
	v_add3_u32 v13, v17, v13, 0x7fff
                                        ; implicit-def: $vgpr17
; %bb.976:                              ;   in Loop: Header=BB8_943 Depth=2
	s_and_not1_saveexec_b32 s12, s12
; %bb.977:                              ;   in Loop: Header=BB8_943 Depth=2
	v_and_b32_e32 v13, 0xffff, v17
	v_or_b32_e32 v33, 0x10000, v17
	s_delay_alu instid0(VALU_DEP_2) | instskip(NEXT) | instid1(VALU_DEP_2)
	v_cmp_eq_u32_e32 vcc_lo, 0, v13
	v_cndmask_b32_e32 v13, v33, v17, vcc_lo
; %bb.978:                              ;   in Loop: Header=BB8_943 Depth=2
	s_or_b32 exec_lo, exec_lo, s12
	v_dual_lshrrev_b32 v14, 16, v14 :: v_dual_lshrrev_b32 v17, 16, v32
	v_dual_lshrrev_b32 v15, 16, v15 :: v_dual_lshrrev_b32 v16, 16, v16
	s_delay_alu instid0(VALU_DEP_2) | instskip(NEXT) | instid1(VALU_DEP_3)
	v_and_or_b32 v11, 0xffff0000, v11, v14
	v_and_or_b32 v10, 0xffff0000, v10, v17
	s_delay_alu instid0(VALU_DEP_3) | instskip(NEXT) | instid1(VALU_DEP_4)
	v_and_or_b32 v12, 0xffff0000, v12, v15
	v_and_or_b32 v13, 0xffff0000, v13, v16
	global_store_b128 v[18:19], v[10:13], off th:TH_STORE_NT
	s_wait_xcnt 0x0
	v_add_nc_u64_e32 v[18:19], v[114:115], v[18:19]
	scratch_store_b128 off, v[10:13], s33 offset:192
.LBB8_979:                              ;   in Loop: Header=BB8_943 Depth=2
	s_wait_xcnt 0x0
	s_or_b32 exec_lo, exec_lo, s11
	v_sub_nc_u32_e32 v29, v29, v61
	v_add_nc_u64_e32 v[20:21], v[20:21], v[98:99]
	v_add_nc_u64_e32 v[22:23], v[22:23], v[98:99]
	s_delay_alu instid0(VALU_DEP_3)
	v_cmp_lt_i32_e64 s43, 15, v29
	s_and_saveexec_b32 s44, s43
	s_cbranch_execz .LBB8_982
; %bb.980:                              ;   in Loop: Header=BB8_943 Depth=2
	s_add_co_i32 s11, s33, 0xc0
	s_mov_b64 s[14:15], 0
	s_mov_b32 s45, s11
	s_mov_b32 s46, -1
.LBB8_981:                              ;   Parent Loop BB8_662 Depth=1
                                        ;     Parent Loop BB8_943 Depth=2
                                        ; =>    This Inner Loop Header: Depth=3
	s_cmp_eq_u32 s14, 1
	s_cselect_b32 vcc_lo, -1, 0
	s_cmp_eq_u32 s14, 0
	v_dual_cndmask_b32 v15, v21, v23 :: v_dual_cndmask_b32 v14, v20, v22
	s_cselect_b32 s11, -1, 0
	s_and_b32 s12, exec_lo, s46
	s_mov_b64 s[14:15], 1
	s_mov_b32 s46, 0
	global_load_b128 v[10:13], v[14:15], off th:TH_LOAD_NT
	s_wait_xcnt 0x0
	v_add_nc_u64_e32 v[14:15], 0x200, v[14:15]
	s_delay_alu instid0(VALU_DEP_1)
	v_dual_cndmask_b32 v21, v21, v15, s11 :: v_dual_cndmask_b32 v20, v20, v14, s11
	v_dual_cndmask_b32 v23, v23, v15 :: v_dual_cndmask_b32 v22, v22, v14
	s_mov_b32 vcc_lo, s12
	s_wait_loadcnt 0x0
	scratch_store_b128 off, v[10:13], s45
	s_wait_xcnt 0x0
	s_mov_b32 s45, s23
	s_cbranch_vccnz .LBB8_981
.LBB8_982:                              ;   in Loop: Header=BB8_943 Depth=2
	s_or_b32 exec_lo, exec_lo, s44
	s_clause 0x1
	scratch_load_b128 v[14:17], off, s33 offset:176
	scratch_load_b128 v[10:13], off, s33 offset:160
	s_wait_loadcnt 0x0
	v_lshlrev_b32_e32 v33, 16, v10
	s_delay_alu instid0(VALU_DEP_1) | instskip(NEXT) | instid1(VALU_DEP_1)
	v_dual_max_num_f32 v33, v33, v33 :: v_dual_lshlrev_b32 v32, 16, v14
	v_max_num_f32_e32 v32, v32, v32
	s_delay_alu instid0(VALU_DEP_1) | instskip(NEXT) | instid1(VALU_DEP_1)
	v_dual_min_num_f32 v34, v33, v32 :: v_dual_max_num_f32 v32, v33, v32
	v_cndmask_b32_e64 v33, v32, v34, s10
	s_delay_alu instid0(VALU_DEP_1) | instskip(NEXT) | instid1(VALU_DEP_1)
	v_and_b32_e32 v32, 0x7f800000, v33
	v_cmp_ne_u32_e32 vcc_lo, 0x7f800000, v32
                                        ; implicit-def: $vgpr32
	s_wait_xcnt 0x0
	s_and_saveexec_b32 s11, vcc_lo
	s_delay_alu instid0(SALU_CYCLE_1)
	s_xor_b32 s11, exec_lo, s11
; %bb.983:                              ;   in Loop: Header=BB8_943 Depth=2
	v_bfe_u32 v32, v33, 16, 1
	s_delay_alu instid0(VALU_DEP_1)
	v_add3_u32 v32, v33, v32, 0x7fff
                                        ; implicit-def: $vgpr33
; %bb.984:                              ;   in Loop: Header=BB8_943 Depth=2
	s_and_not1_saveexec_b32 s11, s11
; %bb.985:                              ;   in Loop: Header=BB8_943 Depth=2
	v_and_b32_e32 v32, 0xffff, v33
	v_or_b32_e32 v34, 0x10000, v33
	s_delay_alu instid0(VALU_DEP_2) | instskip(NEXT) | instid1(VALU_DEP_2)
	v_cmp_eq_u32_e32 vcc_lo, 0, v32
	v_cndmask_b32_e32 v32, v34, v33, vcc_lo
; %bb.986:                              ;   in Loop: Header=BB8_943 Depth=2
	s_or_b32 exec_lo, exec_lo, s11
	v_and_b32_e32 v14, 0xffff0000, v14
	v_and_b32_e32 v10, 0xffff0000, v10
	s_delay_alu instid0(VALU_DEP_2) | instskip(NEXT) | instid1(VALU_DEP_2)
	v_max_num_f32_e32 v14, v14, v14
	v_max_num_f32_e32 v10, v10, v10
	s_delay_alu instid0(VALU_DEP_1) | instskip(NEXT) | instid1(VALU_DEP_1)
	v_dual_min_num_f32 v33, v10, v14 :: v_dual_max_num_f32 v10, v10, v14
	v_cndmask_b32_e64 v14, v10, v33, s10
	s_delay_alu instid0(VALU_DEP_1) | instskip(NEXT) | instid1(VALU_DEP_1)
	v_and_b32_e32 v10, 0x7f800000, v14
	v_cmp_ne_u32_e32 vcc_lo, 0x7f800000, v10
                                        ; implicit-def: $vgpr10
	s_and_saveexec_b32 s11, vcc_lo
	s_delay_alu instid0(SALU_CYCLE_1)
	s_xor_b32 s11, exec_lo, s11
; %bb.987:                              ;   in Loop: Header=BB8_943 Depth=2
	v_bfe_u32 v10, v14, 16, 1
	s_delay_alu instid0(VALU_DEP_1)
	v_add3_u32 v10, v14, v10, 0x7fff
                                        ; implicit-def: $vgpr14
; %bb.988:                              ;   in Loop: Header=BB8_943 Depth=2
	s_and_not1_saveexec_b32 s11, s11
; %bb.989:                              ;   in Loop: Header=BB8_943 Depth=2
	v_and_b32_e32 v10, 0xffff, v14
	v_or_b32_e32 v33, 0x10000, v14
	s_delay_alu instid0(VALU_DEP_2) | instskip(NEXT) | instid1(VALU_DEP_2)
	v_cmp_eq_u32_e32 vcc_lo, 0, v10
	v_cndmask_b32_e32 v10, v33, v14, vcc_lo
; %bb.990:                              ;   in Loop: Header=BB8_943 Depth=2
	s_or_b32 exec_lo, exec_lo, s11
	v_lshlrev_b32_e32 v33, 16, v11
	s_delay_alu instid0(VALU_DEP_1) | instskip(NEXT) | instid1(VALU_DEP_1)
	v_dual_max_num_f32 v33, v33, v33 :: v_dual_lshlrev_b32 v14, 16, v15
	v_max_num_f32_e32 v14, v14, v14
	s_delay_alu instid0(VALU_DEP_1) | instskip(NEXT) | instid1(VALU_DEP_1)
	v_dual_min_num_f32 v34, v33, v14 :: v_dual_max_num_f32 v14, v33, v14
	v_cndmask_b32_e64 v33, v14, v34, s10
	s_delay_alu instid0(VALU_DEP_1) | instskip(NEXT) | instid1(VALU_DEP_1)
	v_and_b32_e32 v14, 0x7f800000, v33
	v_cmp_ne_u32_e32 vcc_lo, 0x7f800000, v14
                                        ; implicit-def: $vgpr14
	s_and_saveexec_b32 s11, vcc_lo
	s_delay_alu instid0(SALU_CYCLE_1)
	s_xor_b32 s11, exec_lo, s11
; %bb.991:                              ;   in Loop: Header=BB8_943 Depth=2
	v_bfe_u32 v14, v33, 16, 1
	s_delay_alu instid0(VALU_DEP_1)
	v_add3_u32 v14, v33, v14, 0x7fff
                                        ; implicit-def: $vgpr33
; %bb.992:                              ;   in Loop: Header=BB8_943 Depth=2
	s_and_not1_saveexec_b32 s11, s11
; %bb.993:                              ;   in Loop: Header=BB8_943 Depth=2
	v_and_b32_e32 v14, 0xffff, v33
	v_or_b32_e32 v34, 0x10000, v33
	s_delay_alu instid0(VALU_DEP_2) | instskip(NEXT) | instid1(VALU_DEP_2)
	v_cmp_eq_u32_e32 vcc_lo, 0, v14
	v_cndmask_b32_e32 v14, v34, v33, vcc_lo
; %bb.994:                              ;   in Loop: Header=BB8_943 Depth=2
	s_or_b32 exec_lo, exec_lo, s11
	v_and_b32_e32 v15, 0xffff0000, v15
	v_and_b32_e32 v11, 0xffff0000, v11
	s_delay_alu instid0(VALU_DEP_2) | instskip(NEXT) | instid1(VALU_DEP_2)
	v_max_num_f32_e32 v15, v15, v15
	v_max_num_f32_e32 v11, v11, v11
	s_delay_alu instid0(VALU_DEP_1) | instskip(NEXT) | instid1(VALU_DEP_1)
	v_dual_min_num_f32 v33, v11, v15 :: v_dual_max_num_f32 v11, v11, v15
	v_cndmask_b32_e64 v15, v11, v33, s10
	s_delay_alu instid0(VALU_DEP_1) | instskip(NEXT) | instid1(VALU_DEP_1)
	v_and_b32_e32 v11, 0x7f800000, v15
	v_cmp_ne_u32_e32 vcc_lo, 0x7f800000, v11
                                        ; implicit-def: $vgpr11
	s_and_saveexec_b32 s11, vcc_lo
	s_delay_alu instid0(SALU_CYCLE_1)
	s_xor_b32 s11, exec_lo, s11
; %bb.995:                              ;   in Loop: Header=BB8_943 Depth=2
	v_bfe_u32 v11, v15, 16, 1
	s_delay_alu instid0(VALU_DEP_1)
	v_add3_u32 v11, v15, v11, 0x7fff
                                        ; implicit-def: $vgpr15
; %bb.996:                              ;   in Loop: Header=BB8_943 Depth=2
	s_and_not1_saveexec_b32 s11, s11
; %bb.997:                              ;   in Loop: Header=BB8_943 Depth=2
	v_and_b32_e32 v11, 0xffff, v15
	v_or_b32_e32 v33, 0x10000, v15
	s_delay_alu instid0(VALU_DEP_2) | instskip(NEXT) | instid1(VALU_DEP_2)
	v_cmp_eq_u32_e32 vcc_lo, 0, v11
	v_cndmask_b32_e32 v11, v33, v15, vcc_lo
; %bb.998:                              ;   in Loop: Header=BB8_943 Depth=2
	s_or_b32 exec_lo, exec_lo, s11
	v_lshlrev_b32_e32 v33, 16, v12
	s_delay_alu instid0(VALU_DEP_1) | instskip(NEXT) | instid1(VALU_DEP_1)
	v_dual_lshlrev_b32 v15, 16, v16 :: v_dual_max_num_f32 v33, v33, v33
	v_max_num_f32_e32 v15, v15, v15
	s_delay_alu instid0(VALU_DEP_1) | instskip(NEXT) | instid1(VALU_DEP_1)
	v_dual_min_num_f32 v34, v33, v15 :: v_dual_max_num_f32 v15, v33, v15
	v_cndmask_b32_e64 v33, v15, v34, s10
	s_delay_alu instid0(VALU_DEP_1) | instskip(NEXT) | instid1(VALU_DEP_1)
	v_and_b32_e32 v15, 0x7f800000, v33
	v_cmp_ne_u32_e32 vcc_lo, 0x7f800000, v15
                                        ; implicit-def: $vgpr15
	s_and_saveexec_b32 s11, vcc_lo
	s_delay_alu instid0(SALU_CYCLE_1)
	s_xor_b32 s11, exec_lo, s11
; %bb.999:                              ;   in Loop: Header=BB8_943 Depth=2
	v_bfe_u32 v15, v33, 16, 1
	s_delay_alu instid0(VALU_DEP_1)
	v_add3_u32 v15, v33, v15, 0x7fff
                                        ; implicit-def: $vgpr33
; %bb.1000:                             ;   in Loop: Header=BB8_943 Depth=2
	s_and_not1_saveexec_b32 s11, s11
; %bb.1001:                             ;   in Loop: Header=BB8_943 Depth=2
	v_and_b32_e32 v15, 0xffff, v33
	v_or_b32_e32 v34, 0x10000, v33
	s_delay_alu instid0(VALU_DEP_2) | instskip(NEXT) | instid1(VALU_DEP_2)
	v_cmp_eq_u32_e32 vcc_lo, 0, v15
	v_cndmask_b32_e32 v15, v34, v33, vcc_lo
; %bb.1002:                             ;   in Loop: Header=BB8_943 Depth=2
	s_or_b32 exec_lo, exec_lo, s11
	v_and_b32_e32 v16, 0xffff0000, v16
	v_and_b32_e32 v12, 0xffff0000, v12
	s_delay_alu instid0(VALU_DEP_2) | instskip(NEXT) | instid1(VALU_DEP_2)
	v_max_num_f32_e32 v16, v16, v16
	v_max_num_f32_e32 v12, v12, v12
	s_delay_alu instid0(VALU_DEP_1) | instskip(NEXT) | instid1(VALU_DEP_1)
	v_dual_min_num_f32 v33, v12, v16 :: v_dual_max_num_f32 v12, v12, v16
	v_cndmask_b32_e64 v16, v12, v33, s10
	s_delay_alu instid0(VALU_DEP_1) | instskip(NEXT) | instid1(VALU_DEP_1)
	v_and_b32_e32 v12, 0x7f800000, v16
	v_cmp_ne_u32_e32 vcc_lo, 0x7f800000, v12
                                        ; implicit-def: $vgpr12
	s_and_saveexec_b32 s11, vcc_lo
	s_delay_alu instid0(SALU_CYCLE_1)
	s_xor_b32 s11, exec_lo, s11
; %bb.1003:                             ;   in Loop: Header=BB8_943 Depth=2
	v_bfe_u32 v12, v16, 16, 1
	s_delay_alu instid0(VALU_DEP_1)
	v_add3_u32 v12, v16, v12, 0x7fff
                                        ; implicit-def: $vgpr16
; %bb.1004:                             ;   in Loop: Header=BB8_943 Depth=2
	s_and_not1_saveexec_b32 s11, s11
; %bb.1005:                             ;   in Loop: Header=BB8_943 Depth=2
	v_and_b32_e32 v12, 0xffff, v16
	v_or_b32_e32 v33, 0x10000, v16
	s_delay_alu instid0(VALU_DEP_2) | instskip(NEXT) | instid1(VALU_DEP_2)
	v_cmp_eq_u32_e32 vcc_lo, 0, v12
	v_cndmask_b32_e32 v12, v33, v16, vcc_lo
; %bb.1006:                             ;   in Loop: Header=BB8_943 Depth=2
	s_or_b32 exec_lo, exec_lo, s11
	v_lshlrev_b32_e32 v16, 16, v17
	s_delay_alu instid0(VALU_DEP_1) | instskip(NEXT) | instid1(VALU_DEP_1)
	v_dual_max_num_f32 v16, v16, v16 :: v_dual_lshlrev_b32 v33, 16, v13
	v_max_num_f32_e32 v33, v33, v33
	s_delay_alu instid0(VALU_DEP_1) | instskip(NEXT) | instid1(VALU_DEP_1)
	v_dual_min_num_f32 v34, v33, v16 :: v_dual_max_num_f32 v16, v33, v16
	v_cndmask_b32_e64 v33, v16, v34, s10
	s_delay_alu instid0(VALU_DEP_1) | instskip(NEXT) | instid1(VALU_DEP_1)
	v_and_b32_e32 v16, 0x7f800000, v33
	v_cmp_ne_u32_e32 vcc_lo, 0x7f800000, v16
                                        ; implicit-def: $vgpr16
	s_and_saveexec_b32 s11, vcc_lo
	s_delay_alu instid0(SALU_CYCLE_1)
	s_xor_b32 s11, exec_lo, s11
; %bb.1007:                             ;   in Loop: Header=BB8_943 Depth=2
	v_bfe_u32 v16, v33, 16, 1
	s_delay_alu instid0(VALU_DEP_1)
	v_add3_u32 v16, v33, v16, 0x7fff
                                        ; implicit-def: $vgpr33
; %bb.1008:                             ;   in Loop: Header=BB8_943 Depth=2
	s_and_not1_saveexec_b32 s11, s11
; %bb.1009:                             ;   in Loop: Header=BB8_943 Depth=2
	v_and_b32_e32 v16, 0xffff, v33
	v_or_b32_e32 v34, 0x10000, v33
	s_delay_alu instid0(VALU_DEP_2) | instskip(NEXT) | instid1(VALU_DEP_2)
	v_cmp_eq_u32_e32 vcc_lo, 0, v16
	v_cndmask_b32_e32 v16, v34, v33, vcc_lo
; %bb.1010:                             ;   in Loop: Header=BB8_943 Depth=2
	s_or_b32 exec_lo, exec_lo, s11
	v_and_b32_e32 v17, 0xffff0000, v17
	v_and_b32_e32 v13, 0xffff0000, v13
	s_delay_alu instid0(VALU_DEP_2) | instskip(NEXT) | instid1(VALU_DEP_2)
	v_max_num_f32_e32 v17, v17, v17
	v_max_num_f32_e32 v13, v13, v13
	s_delay_alu instid0(VALU_DEP_1) | instskip(NEXT) | instid1(VALU_DEP_1)
	v_dual_min_num_f32 v33, v13, v17 :: v_dual_max_num_f32 v13, v13, v17
	v_cndmask_b32_e64 v17, v13, v33, s10
	s_delay_alu instid0(VALU_DEP_1) | instskip(NEXT) | instid1(VALU_DEP_1)
	v_and_b32_e32 v13, 0x7f800000, v17
	v_cmp_ne_u32_e32 vcc_lo, 0x7f800000, v13
                                        ; implicit-def: $vgpr13
	s_and_saveexec_b32 s11, vcc_lo
	s_delay_alu instid0(SALU_CYCLE_1)
	s_xor_b32 s11, exec_lo, s11
; %bb.1011:                             ;   in Loop: Header=BB8_943 Depth=2
	v_bfe_u32 v13, v17, 16, 1
	s_delay_alu instid0(VALU_DEP_1)
	v_add3_u32 v13, v17, v13, 0x7fff
                                        ; implicit-def: $vgpr17
; %bb.1012:                             ;   in Loop: Header=BB8_943 Depth=2
	s_and_not1_saveexec_b32 s11, s11
; %bb.1013:                             ;   in Loop: Header=BB8_943 Depth=2
	v_and_b32_e32 v13, 0xffff, v17
	v_or_b32_e32 v33, 0x10000, v17
	s_delay_alu instid0(VALU_DEP_2) | instskip(NEXT) | instid1(VALU_DEP_2)
	v_cmp_eq_u32_e32 vcc_lo, 0, v13
	v_cndmask_b32_e32 v13, v33, v17, vcc_lo
; %bb.1014:                             ;   in Loop: Header=BB8_943 Depth=2
	s_or_b32 exec_lo, exec_lo, s11
	v_dual_lshrrev_b32 v14, 16, v14 :: v_dual_lshrrev_b32 v17, 16, v32
	v_dual_lshrrev_b32 v15, 16, v15 :: v_dual_lshrrev_b32 v16, 16, v16
	v_sub_nc_u32_e32 v28, v28, v84
	s_delay_alu instid0(VALU_DEP_3) | instskip(NEXT) | instid1(VALU_DEP_4)
	v_and_or_b32 v11, 0xffff0000, v11, v14
	v_and_or_b32 v10, 0xffff0000, v10, v17
	s_delay_alu instid0(VALU_DEP_4)
	v_and_or_b32 v12, 0xffff0000, v12, v15
	v_and_or_b32 v13, 0xffff0000, v13, v16
	global_store_b128 v[18:19], v[10:13], off th:TH_STORE_NT
	s_wait_xcnt 0x0
	v_add_nc_u64_e32 v[18:19], 0x200, v[18:19]
	scratch_store_b128 off, v[10:13], s33 offset:160
	s_wait_xcnt 0x0
	s_and_saveexec_b32 s11, s43
	s_cbranch_execz .LBB8_942
; %bb.1015:                             ;   in Loop: Header=BB8_943 Depth=2
	v_add_nc_u64_e32 v[20:21], v[20:21], v[98:99]
	v_add_nc_u64_e32 v[22:23], v[22:23], v[98:99]
	;; [unrolled: 1-line block ×3, first 2 shown]
	v_dual_sub_nc_u32 v29, v29, v61 :: v_dual_sub_nc_u32 v28, v28, v84
	s_branch .LBB8_942
.LBB8_1016:                             ;   in Loop: Header=BB8_662 Depth=1
	s_or_b32 exec_lo, exec_lo, s41
	s_delay_alu instid0(SALU_CYCLE_1)
	s_and_b32 s10, s42, exec_lo
.LBB8_1017:                             ;   in Loop: Header=BB8_662 Depth=1
	s_or_b32 exec_lo, exec_lo, s40
	s_and_saveexec_b32 s11, s10
	s_cbranch_execz .LBB8_1051
; %bb.1018:                             ;   in Loop: Header=BB8_662 Depth=1
	s_clause 0x1
	scratch_load_b128 v[14:17], off, s33 offset:208
	scratch_load_b128 v[10:13], off, s33 offset:192
	s_and_b32 s10, 0xffff, s13
	s_delay_alu instid0(SALU_CYCLE_1) | instskip(SKIP_3) | instid1(VALU_DEP_1)
	s_cmp_eq_u32 s10, 0
	s_cselect_b32 vcc_lo, -1, 0
	s_wait_loadcnt 0x0
	v_lshlrev_b32_e32 v21, 16, v10
	v_dual_max_num_f32 v21, v21, v21 :: v_dual_lshlrev_b32 v20, 16, v14
	s_delay_alu instid0(VALU_DEP_1) | instskip(NEXT) | instid1(VALU_DEP_1)
	v_max_num_f32_e32 v20, v20, v20
	v_dual_min_num_f32 v22, v21, v20 :: v_dual_max_num_f32 v20, v21, v20
	s_delay_alu instid0(VALU_DEP_1) | instskip(NEXT) | instid1(VALU_DEP_1)
	v_cndmask_b32_e32 v21, v20, v22, vcc_lo
	v_and_b32_e32 v20, 0x7f800000, v21
	s_delay_alu instid0(VALU_DEP_1) | instskip(SKIP_2) | instid1(SALU_CYCLE_1)
	v_cmp_ne_u32_e64 s10, 0x7f800000, v20
                                        ; implicit-def: $vgpr20
	s_wait_xcnt 0x0
	s_and_saveexec_b32 s12, s10
	s_xor_b32 s10, exec_lo, s12
; %bb.1019:                             ;   in Loop: Header=BB8_662 Depth=1
	v_bfe_u32 v20, v21, 16, 1
	s_delay_alu instid0(VALU_DEP_1)
	v_add3_u32 v20, v21, v20, 0x7fff
                                        ; implicit-def: $vgpr21
; %bb.1020:                             ;   in Loop: Header=BB8_662 Depth=1
	s_and_not1_saveexec_b32 s12, s10
; %bb.1021:                             ;   in Loop: Header=BB8_662 Depth=1
	v_and_b32_e32 v20, 0xffff, v21
	v_or_b32_e32 v22, 0x10000, v21
	s_delay_alu instid0(VALU_DEP_2) | instskip(NEXT) | instid1(VALU_DEP_1)
	v_cmp_eq_u32_e64 s10, 0, v20
	v_cndmask_b32_e64 v20, v22, v21, s10
; %bb.1022:                             ;   in Loop: Header=BB8_662 Depth=1
	s_or_b32 exec_lo, exec_lo, s12
	v_and_b32_e32 v14, 0xffff0000, v14
	v_and_b32_e32 v10, 0xffff0000, v10
	s_delay_alu instid0(VALU_DEP_2) | instskip(NEXT) | instid1(VALU_DEP_2)
	v_max_num_f32_e32 v14, v14, v14
	v_max_num_f32_e32 v10, v10, v10
	s_delay_alu instid0(VALU_DEP_1) | instskip(NEXT) | instid1(VALU_DEP_1)
	v_dual_min_num_f32 v21, v10, v14 :: v_dual_max_num_f32 v10, v10, v14
	v_cndmask_b32_e32 v14, v10, v21, vcc_lo
	s_delay_alu instid0(VALU_DEP_1) | instskip(NEXT) | instid1(VALU_DEP_1)
	v_and_b32_e32 v10, 0x7f800000, v14
	v_cmp_ne_u32_e64 s10, 0x7f800000, v10
                                        ; implicit-def: $vgpr10
	s_and_saveexec_b32 s12, s10
	s_delay_alu instid0(SALU_CYCLE_1)
	s_xor_b32 s10, exec_lo, s12
; %bb.1023:                             ;   in Loop: Header=BB8_662 Depth=1
	v_bfe_u32 v10, v14, 16, 1
	s_delay_alu instid0(VALU_DEP_1)
	v_add3_u32 v10, v14, v10, 0x7fff
                                        ; implicit-def: $vgpr14
; %bb.1024:                             ;   in Loop: Header=BB8_662 Depth=1
	s_and_not1_saveexec_b32 s12, s10
; %bb.1025:                             ;   in Loop: Header=BB8_662 Depth=1
	v_and_b32_e32 v10, 0xffff, v14
	v_or_b32_e32 v21, 0x10000, v14
	s_delay_alu instid0(VALU_DEP_2) | instskip(NEXT) | instid1(VALU_DEP_1)
	v_cmp_eq_u32_e64 s10, 0, v10
	v_cndmask_b32_e64 v10, v21, v14, s10
; %bb.1026:                             ;   in Loop: Header=BB8_662 Depth=1
	s_or_b32 exec_lo, exec_lo, s12
	v_lshlrev_b32_e32 v21, 16, v11
	s_delay_alu instid0(VALU_DEP_1) | instskip(NEXT) | instid1(VALU_DEP_1)
	v_dual_max_num_f32 v21, v21, v21 :: v_dual_lshlrev_b32 v14, 16, v15
	v_max_num_f32_e32 v14, v14, v14
	s_delay_alu instid0(VALU_DEP_1) | instskip(NEXT) | instid1(VALU_DEP_1)
	v_dual_min_num_f32 v22, v21, v14 :: v_dual_max_num_f32 v14, v21, v14
	v_cndmask_b32_e32 v21, v14, v22, vcc_lo
	s_delay_alu instid0(VALU_DEP_1) | instskip(NEXT) | instid1(VALU_DEP_1)
	v_and_b32_e32 v14, 0x7f800000, v21
	v_cmp_ne_u32_e64 s10, 0x7f800000, v14
                                        ; implicit-def: $vgpr14
	s_and_saveexec_b32 s12, s10
	s_delay_alu instid0(SALU_CYCLE_1)
	s_xor_b32 s10, exec_lo, s12
; %bb.1027:                             ;   in Loop: Header=BB8_662 Depth=1
	v_bfe_u32 v14, v21, 16, 1
	s_delay_alu instid0(VALU_DEP_1)
	v_add3_u32 v14, v21, v14, 0x7fff
                                        ; implicit-def: $vgpr21
; %bb.1028:                             ;   in Loop: Header=BB8_662 Depth=1
	s_and_not1_saveexec_b32 s12, s10
; %bb.1029:                             ;   in Loop: Header=BB8_662 Depth=1
	v_and_b32_e32 v14, 0xffff, v21
	v_or_b32_e32 v22, 0x10000, v21
	s_delay_alu instid0(VALU_DEP_2) | instskip(NEXT) | instid1(VALU_DEP_1)
	v_cmp_eq_u32_e64 s10, 0, v14
	v_cndmask_b32_e64 v14, v22, v21, s10
; %bb.1030:                             ;   in Loop: Header=BB8_662 Depth=1
	s_or_b32 exec_lo, exec_lo, s12
	v_and_b32_e32 v15, 0xffff0000, v15
	v_and_b32_e32 v11, 0xffff0000, v11
	s_delay_alu instid0(VALU_DEP_2) | instskip(NEXT) | instid1(VALU_DEP_2)
	v_max_num_f32_e32 v15, v15, v15
	v_max_num_f32_e32 v11, v11, v11
	s_delay_alu instid0(VALU_DEP_1) | instskip(NEXT) | instid1(VALU_DEP_1)
	v_dual_min_num_f32 v21, v11, v15 :: v_dual_max_num_f32 v11, v11, v15
	v_cndmask_b32_e32 v15, v11, v21, vcc_lo
	s_delay_alu instid0(VALU_DEP_1) | instskip(NEXT) | instid1(VALU_DEP_1)
	v_and_b32_e32 v11, 0x7f800000, v15
	v_cmp_ne_u32_e64 s10, 0x7f800000, v11
                                        ; implicit-def: $vgpr11
	s_and_saveexec_b32 s12, s10
	s_delay_alu instid0(SALU_CYCLE_1)
	s_xor_b32 s10, exec_lo, s12
; %bb.1031:                             ;   in Loop: Header=BB8_662 Depth=1
	v_bfe_u32 v11, v15, 16, 1
	s_delay_alu instid0(VALU_DEP_1)
	v_add3_u32 v11, v15, v11, 0x7fff
                                        ; implicit-def: $vgpr15
; %bb.1032:                             ;   in Loop: Header=BB8_662 Depth=1
	s_and_not1_saveexec_b32 s12, s10
; %bb.1033:                             ;   in Loop: Header=BB8_662 Depth=1
	v_and_b32_e32 v11, 0xffff, v15
	v_or_b32_e32 v21, 0x10000, v15
	s_delay_alu instid0(VALU_DEP_2) | instskip(NEXT) | instid1(VALU_DEP_1)
	v_cmp_eq_u32_e64 s10, 0, v11
	v_cndmask_b32_e64 v11, v21, v15, s10
; %bb.1034:                             ;   in Loop: Header=BB8_662 Depth=1
	s_or_b32 exec_lo, exec_lo, s12
	v_lshlrev_b32_e32 v21, 16, v12
	s_delay_alu instid0(VALU_DEP_1) | instskip(NEXT) | instid1(VALU_DEP_1)
	v_dual_lshlrev_b32 v15, 16, v16 :: v_dual_max_num_f32 v21, v21, v21
	v_max_num_f32_e32 v15, v15, v15
	s_delay_alu instid0(VALU_DEP_1) | instskip(NEXT) | instid1(VALU_DEP_1)
	v_dual_min_num_f32 v22, v21, v15 :: v_dual_max_num_f32 v15, v21, v15
	v_cndmask_b32_e32 v21, v15, v22, vcc_lo
	s_delay_alu instid0(VALU_DEP_1) | instskip(NEXT) | instid1(VALU_DEP_1)
	v_and_b32_e32 v15, 0x7f800000, v21
	v_cmp_ne_u32_e64 s10, 0x7f800000, v15
                                        ; implicit-def: $vgpr15
	s_and_saveexec_b32 s12, s10
	s_delay_alu instid0(SALU_CYCLE_1)
	s_xor_b32 s10, exec_lo, s12
; %bb.1035:                             ;   in Loop: Header=BB8_662 Depth=1
	v_bfe_u32 v15, v21, 16, 1
	s_delay_alu instid0(VALU_DEP_1)
	v_add3_u32 v15, v21, v15, 0x7fff
                                        ; implicit-def: $vgpr21
; %bb.1036:                             ;   in Loop: Header=BB8_662 Depth=1
	s_and_not1_saveexec_b32 s12, s10
; %bb.1037:                             ;   in Loop: Header=BB8_662 Depth=1
	v_and_b32_e32 v15, 0xffff, v21
	v_or_b32_e32 v22, 0x10000, v21
	s_delay_alu instid0(VALU_DEP_2) | instskip(NEXT) | instid1(VALU_DEP_1)
	v_cmp_eq_u32_e64 s10, 0, v15
	v_cndmask_b32_e64 v15, v22, v21, s10
; %bb.1038:                             ;   in Loop: Header=BB8_662 Depth=1
	s_or_b32 exec_lo, exec_lo, s12
	v_and_b32_e32 v16, 0xffff0000, v16
	v_and_b32_e32 v12, 0xffff0000, v12
	s_delay_alu instid0(VALU_DEP_2) | instskip(NEXT) | instid1(VALU_DEP_2)
	v_max_num_f32_e32 v16, v16, v16
	v_max_num_f32_e32 v12, v12, v12
	s_delay_alu instid0(VALU_DEP_1) | instskip(NEXT) | instid1(VALU_DEP_1)
	v_dual_min_num_f32 v21, v12, v16 :: v_dual_max_num_f32 v12, v12, v16
	v_cndmask_b32_e32 v16, v12, v21, vcc_lo
	s_delay_alu instid0(VALU_DEP_1) | instskip(NEXT) | instid1(VALU_DEP_1)
	v_and_b32_e32 v12, 0x7f800000, v16
	v_cmp_ne_u32_e64 s10, 0x7f800000, v12
                                        ; implicit-def: $vgpr12
	s_and_saveexec_b32 s12, s10
	s_delay_alu instid0(SALU_CYCLE_1)
	s_xor_b32 s10, exec_lo, s12
; %bb.1039:                             ;   in Loop: Header=BB8_662 Depth=1
	v_bfe_u32 v12, v16, 16, 1
	s_delay_alu instid0(VALU_DEP_1)
	v_add3_u32 v12, v16, v12, 0x7fff
                                        ; implicit-def: $vgpr16
; %bb.1040:                             ;   in Loop: Header=BB8_662 Depth=1
	s_and_not1_saveexec_b32 s12, s10
; %bb.1041:                             ;   in Loop: Header=BB8_662 Depth=1
	v_and_b32_e32 v12, 0xffff, v16
	v_or_b32_e32 v21, 0x10000, v16
	s_delay_alu instid0(VALU_DEP_2) | instskip(NEXT) | instid1(VALU_DEP_1)
	v_cmp_eq_u32_e64 s10, 0, v12
	v_cndmask_b32_e64 v12, v21, v16, s10
; %bb.1042:                             ;   in Loop: Header=BB8_662 Depth=1
	s_or_b32 exec_lo, exec_lo, s12
	v_lshlrev_b32_e32 v16, 16, v17
	s_delay_alu instid0(VALU_DEP_1) | instskip(NEXT) | instid1(VALU_DEP_1)
	v_dual_max_num_f32 v16, v16, v16 :: v_dual_lshlrev_b32 v21, 16, v13
	v_max_num_f32_e32 v21, v21, v21
	s_delay_alu instid0(VALU_DEP_1) | instskip(NEXT) | instid1(VALU_DEP_1)
	v_dual_min_num_f32 v22, v21, v16 :: v_dual_max_num_f32 v16, v21, v16
	v_cndmask_b32_e32 v21, v16, v22, vcc_lo
	s_delay_alu instid0(VALU_DEP_1) | instskip(NEXT) | instid1(VALU_DEP_1)
	v_and_b32_e32 v16, 0x7f800000, v21
	v_cmp_ne_u32_e64 s10, 0x7f800000, v16
                                        ; implicit-def: $vgpr16
	s_and_saveexec_b32 s12, s10
	s_delay_alu instid0(SALU_CYCLE_1)
	s_xor_b32 s10, exec_lo, s12
; %bb.1043:                             ;   in Loop: Header=BB8_662 Depth=1
	v_bfe_u32 v16, v21, 16, 1
	s_delay_alu instid0(VALU_DEP_1)
	v_add3_u32 v16, v21, v16, 0x7fff
                                        ; implicit-def: $vgpr21
; %bb.1044:                             ;   in Loop: Header=BB8_662 Depth=1
	s_and_not1_saveexec_b32 s12, s10
; %bb.1045:                             ;   in Loop: Header=BB8_662 Depth=1
	v_and_b32_e32 v16, 0xffff, v21
	v_or_b32_e32 v22, 0x10000, v21
	s_delay_alu instid0(VALU_DEP_2) | instskip(NEXT) | instid1(VALU_DEP_1)
	v_cmp_eq_u32_e64 s10, 0, v16
	v_cndmask_b32_e64 v16, v22, v21, s10
; %bb.1046:                             ;   in Loop: Header=BB8_662 Depth=1
	s_or_b32 exec_lo, exec_lo, s12
	v_and_b32_e32 v17, 0xffff0000, v17
	v_and_b32_e32 v13, 0xffff0000, v13
	s_delay_alu instid0(VALU_DEP_2) | instskip(NEXT) | instid1(VALU_DEP_2)
	v_max_num_f32_e32 v17, v17, v17
	v_max_num_f32_e32 v13, v13, v13
	s_delay_alu instid0(VALU_DEP_1) | instskip(NEXT) | instid1(VALU_DEP_1)
	v_dual_min_num_f32 v21, v13, v17 :: v_dual_max_num_f32 v13, v13, v17
	v_cndmask_b32_e32 v17, v13, v21, vcc_lo
	s_delay_alu instid0(VALU_DEP_1) | instskip(NEXT) | instid1(VALU_DEP_1)
	v_and_b32_e32 v13, 0x7f800000, v17
	v_cmp_ne_u32_e32 vcc_lo, 0x7f800000, v13
                                        ; implicit-def: $vgpr13
	s_and_saveexec_b32 s10, vcc_lo
	s_delay_alu instid0(SALU_CYCLE_1)
	s_xor_b32 s10, exec_lo, s10
; %bb.1047:                             ;   in Loop: Header=BB8_662 Depth=1
	v_bfe_u32 v13, v17, 16, 1
	s_delay_alu instid0(VALU_DEP_1)
	v_add3_u32 v13, v17, v13, 0x7fff
                                        ; implicit-def: $vgpr17
; %bb.1048:                             ;   in Loop: Header=BB8_662 Depth=1
	s_and_not1_saveexec_b32 s10, s10
; %bb.1049:                             ;   in Loop: Header=BB8_662 Depth=1
	v_and_b32_e32 v13, 0xffff, v17
	v_or_b32_e32 v21, 0x10000, v17
	s_delay_alu instid0(VALU_DEP_2) | instskip(NEXT) | instid1(VALU_DEP_2)
	v_cmp_eq_u32_e32 vcc_lo, 0, v13
	v_cndmask_b32_e32 v13, v21, v17, vcc_lo
; %bb.1050:                             ;   in Loop: Header=BB8_662 Depth=1
	s_or_b32 exec_lo, exec_lo, s10
	v_dual_lshrrev_b32 v14, 16, v14 :: v_dual_lshrrev_b32 v17, 16, v20
	v_dual_lshrrev_b32 v15, 16, v15 :: v_dual_lshrrev_b32 v16, 16, v16
	s_delay_alu instid0(VALU_DEP_2) | instskip(NEXT) | instid1(VALU_DEP_3)
	v_and_or_b32 v11, 0xffff0000, v11, v14
	v_and_or_b32 v10, 0xffff0000, v10, v17
	s_delay_alu instid0(VALU_DEP_3) | instskip(NEXT) | instid1(VALU_DEP_4)
	v_and_or_b32 v12, 0xffff0000, v12, v15
	v_and_or_b32 v13, 0xffff0000, v13, v16
	global_store_b128 v[18:19], v[10:13], off th:TH_STORE_NT
.LBB8_1051:                             ;   in Loop: Header=BB8_662 Depth=1
	s_wait_xcnt 0x0
	s_or_b32 exec_lo, exec_lo, s11
	v_and_b32_e32 v11, 14, v74
	s_mov_b32 s11, s28
	s_mov_b32 s10, exec_lo
                                        ; implicit-def: $vgpr16
                                        ; implicit-def: $vgpr10
                                        ; implicit-def: $vgpr17
	s_delay_alu instid0(VALU_DEP_1) | instskip(NEXT) | instid1(VALU_DEP_1)
	v_cndmask_b32_e64 v74, v27, v11, s7
	v_cmpx_ne_u32_e32 0, v74
	s_cbranch_execz .LBB8_1053
; %bb.1052:                             ;   in Loop: Header=BB8_662 Depth=1
	v_cmp_lt_i32_e32 vcc_lo, 0, v28
	s_or_b32 s11, s28, exec_lo
	v_dual_cndmask_b32 v10, 0, v84 :: v_dual_sub_nc_u32 v11, v27, v11
	s_delay_alu instid0(VALU_DEP_1) | instskip(NEXT) | instid1(VALU_DEP_1)
	v_dual_cndmask_b32 v11, 0, v11, s7 :: v_dual_sub_nc_u32 v10, v10, v28
	v_add3_u32 v16, v26, v24, v11
	s_delay_alu instid0(VALU_DEP_2) | instskip(NEXT) | instid1(VALU_DEP_1)
	v_lshl_add_u32 v10, v10, 5, v25
	v_ashrrev_i32_e32 v12, 31, v10
	s_delay_alu instid0(VALU_DEP_1) | instskip(NEXT) | instid1(VALU_DEP_1)
	v_lshrrev_b32_e32 v12, 27, v12
	v_add_nc_u32_e32 v12, v10, v12
	s_delay_alu instid0(VALU_DEP_1) | instskip(NEXT) | instid1(VALU_DEP_1)
	v_and_b32_e32 v12, 0xffffffe0, v12
	v_sub_nc_u32_e32 v17, v10, v12
.LBB8_1053:                             ;   in Loop: Header=BB8_662 Depth=1
	s_or_b32 exec_lo, exec_lo, s10
	s_delay_alu instid0(SALU_CYCLE_1) | instskip(SKIP_1) | instid1(SALU_CYCLE_1)
	s_and_not1_b32 s7, s28, exec_lo
	s_and_b32 s10, s11, exec_lo
	s_or_b32 s28, s7, s10
.LBB8_1054:                             ;   in Loop: Header=BB8_662 Depth=1
	s_or_b32 exec_lo, exec_lo, s29
	s_and_saveexec_b32 s14, s28
	s_cbranch_execz .LBB8_1186
.LBB8_1055:                             ;   in Loop: Header=BB8_662 Depth=1
	s_delay_alu instid0(VALU_DEP_1) | instskip(SKIP_2) | instid1(VALU_DEP_3)
	v_dual_ashrrev_i32 v11, 31, v10 :: v_dual_mov_b32 v51, 0
	v_dual_mov_b32 v48, 0 :: v_dual_mov_b32 v37, 0
	v_dual_mov_b32 v22, 0 :: v_dual_mov_b32 v20, 0
	v_dual_lshrrev_b32 v11, 27, v11 :: v_dual_ashrrev_i32 v12, 31, v74
	v_dual_mov_b32 v47, 0 :: v_dual_mov_b32 v50, 0
	v_dual_mov_b32 v24, 0 :: v_dual_mov_b32 v23, 0
	s_delay_alu instid0(VALU_DEP_3) | instskip(NEXT) | instid1(VALU_DEP_4)
	v_dual_add_nc_u32 v10, v10, v11 :: v_dual_lshlrev_b32 v11, 1, v17
	v_dual_mov_b32 v21, 0 :: v_dual_lshrrev_b32 v12, 23, v12
	s_mov_b32 s7, 0
	s_delay_alu instid0(VALU_DEP_2) | instskip(NEXT) | instid1(VALU_DEP_2)
	v_dual_mov_b32 v35, 0 :: v_dual_ashrrev_i32 v10, 5, v10
	v_dual_mov_b32 v33, 0 :: v_dual_add_nc_u32 v12, v74, v12
	s_mov_b32 s10, exec_lo
	s_delay_alu instid0(VALU_DEP_2) | instskip(NEXT) | instid1(VALU_DEP_2)
	v_dual_lshlrev_b32 v13, 9, v10 :: v_dual_mov_b32 v39, 0
	v_dual_ashrrev_i32 v18, 9, v12 :: v_dual_mov_b32 v12, 0
	v_mov_b32_e32 v36, 0
	s_delay_alu instid0(VALU_DEP_3) | instskip(NEXT) | instid1(VALU_DEP_3)
	v_add3_u32 v14, v16, v11, v13
	v_dual_mov_b32 v13, 0 :: v_dual_sub_nc_u32 v19, v18, v10
	s_delay_alu instid0(VALU_DEP_2) | instskip(NEXT) | instid1(VALU_DEP_1)
	v_ashrrev_i32_e32 v15, 31, v14
	v_add_nc_u64_e32 v[10:11], v[44:45], v[14:15]
	s_delay_alu instid0(VALU_DEP_3)
	v_cmpx_lt_i32_e32 0, v19
	s_cbranch_execz .LBB8_1127
; %bb.1056:                             ;   in Loop: Header=BB8_662 Depth=1
	s_trap 2
	ds_load_b64 v[20:21], v0
	v_add_nc_u64_e32 v[12:13], v[14:15], v[42:43]
	s_and_b32 s7, s13, 0xff
	s_mov_b32 s15, 0
	s_cmp_eq_u32 s7, 0
	s_mov_b32 s12, 0
	s_cselect_b32 vcc_lo, -1, 0
                                        ; implicit-def: $sgpr11
                                        ; implicit-def: $vgpr57
                                        ; implicit-def: $vgpr46
                                        ; implicit-def: $vgpr49
                                        ; implicit-def: $vgpr38
                                        ; implicit-def: $vgpr34
                                        ; implicit-def: $vgpr32
                                        ; implicit-def: $vgpr29
                                        ; implicit-def: $vgpr28
                                        ; implicit-def: $vgpr22
                                        ; implicit-def: $vgpr23
                                        ; implicit-def: $vgpr24
                                        ; implicit-def: $vgpr25
                                        ; implicit-def: $vgpr26
                                        ; implicit-def: $vgpr27
	s_wait_dscnt 0x0
	v_add_nc_u64_e32 v[14:15], v[20:21], v[14:15]
                                        ; implicit-def: $vgpr20
                                        ; implicit-def: $vgpr21
	s_branch .LBB8_1058
.LBB8_1057:                             ;   in Loop: Header=BB8_1058 Depth=2
	s_or_b32 exec_lo, exec_lo, s28
	v_dual_cndmask_b32 v35, 0, v84, s15 :: v_dual_cndmask_b32 v91, 0, v115, s15
	v_add_nc_u64_e32 v[78:79], v[12:13], v[98:99]
	v_add_nc_u64_e32 v[88:89], v[14:15], v[98:99]
	v_cndmask_b32_e64 v90, 0x200, v114, s15
	s_delay_alu instid0(VALU_DEP_4)
	v_sub_nc_u32_e32 v19, v19, v35
	s_clause 0x7
	flat_store_d16_hi_b16 v[10:11], v77 th:TH_STORE_NT
	flat_store_d16_hi_b16 v[10:11], v75 offset:64 th:TH_STORE_NT
	flat_store_d16_hi_b16 v[10:11], v58 offset:128 th:TH_STORE_NT
	;; [unrolled: 1-line block ×7, first 2 shown]
	v_cndmask_b32_e64 v12, v12, v78, s15
	v_cmp_gt_i32_e64 s7, 1, v19
	s_wait_xcnt 0x0
	v_add_nc_u64_e32 v[10:11], v[10:11], v[90:91]
	v_dual_cndmask_b32 v13, v13, v79, s15 :: v_dual_cndmask_b32 v15, v15, v89, s15
	v_cndmask_b32_e64 v14, v14, v88, s15
	s_or_b32 s12, s7, s12
	s_and_not1_b32 s7, s11, exec_lo
	s_and_b32 s11, s15, exec_lo
	s_delay_alu instid0(SALU_CYCLE_1)
	s_or_b32 s11, s7, s11
	s_and_not1_b32 exec_lo, exec_lo, s12
	s_cbranch_execz .LBB8_1126
.LBB8_1058:                             ;   Parent Loop BB8_662 Depth=1
                                        ; =>  This Inner Loop Header: Depth=2
	s_clause 0x7
	flat_load_u16 v77, v[12:13] th:TH_LOAD_NT
	flat_load_u16 v75, v[12:13] offset:64 th:TH_LOAD_NT
	flat_load_u16 v58, v[12:13] offset:128 th:TH_LOAD_NT
	;; [unrolled: 1-line block ×7, first 2 shown]
	s_clause 0x7
	flat_load_u16 v78, v[14:15] th:TH_LOAD_NT
	flat_load_u16 v76, v[14:15] offset:64 th:TH_LOAD_NT
	flat_load_u16 v59, v[14:15] offset:128 th:TH_LOAD_NT
	;; [unrolled: 1-line block ×7, first 2 shown]
	s_wait_xcnt 0x0
	s_and_saveexec_b32 s28, s15
	s_cbranch_execz .LBB8_1092
; %bb.1059:                             ;   in Loop: Header=BB8_1058 Depth=2
	v_dual_lshlrev_b32 v79, 16, v20 :: v_dual_lshlrev_b32 v57, 16, v57
	s_delay_alu instid0(VALU_DEP_1) | instskip(NEXT) | instid1(VALU_DEP_1)
	v_dual_max_num_f32 v79, v79, v79 :: v_dual_max_num_f32 v57, v57, v57
	v_dual_min_num_f32 v88, v57, v79 :: v_dual_max_num_f32 v57, v57, v79
	s_delay_alu instid0(VALU_DEP_1) | instskip(NEXT) | instid1(VALU_DEP_1)
	v_cndmask_b32_e32 v79, v57, v88, vcc_lo
	v_and_b32_e32 v57, 0x7f800000, v79
	s_delay_alu instid0(VALU_DEP_1) | instskip(SKIP_1) | instid1(SALU_CYCLE_1)
	v_cmp_ne_u32_e64 s7, 0x7f800000, v57
                                        ; implicit-def: $vgpr57
	s_and_saveexec_b32 s15, s7
	s_xor_b32 s7, exec_lo, s15
; %bb.1060:                             ;   in Loop: Header=BB8_1058 Depth=2
	v_bfe_u32 v57, v79, 16, 1
	s_delay_alu instid0(VALU_DEP_1)
	v_add3_u32 v57, v79, v57, 0x7fff
                                        ; implicit-def: $vgpr79
; %bb.1061:                             ;   in Loop: Header=BB8_1058 Depth=2
	s_and_not1_saveexec_b32 s15, s7
; %bb.1062:                             ;   in Loop: Header=BB8_1058 Depth=2
	v_and_b32_e32 v57, 0xffff, v79
	v_or_b32_e32 v88, 0x10000, v79
	s_delay_alu instid0(VALU_DEP_2) | instskip(NEXT) | instid1(VALU_DEP_1)
	v_cmp_eq_u32_e64 s7, 0, v57
	v_cndmask_b32_e64 v57, v88, v79, s7
; %bb.1063:                             ;   in Loop: Header=BB8_1058 Depth=2
	s_or_b32 exec_lo, exec_lo, s15
	v_dual_lshlrev_b32 v79, 16, v21 :: v_dual_lshlrev_b32 v46, 16, v46
	s_delay_alu instid0(VALU_DEP_1) | instskip(NEXT) | instid1(VALU_DEP_1)
	v_dual_max_num_f32 v79, v79, v79 :: v_dual_max_num_f32 v46, v46, v46
	v_dual_min_num_f32 v88, v46, v79 :: v_dual_max_num_f32 v46, v46, v79
	s_delay_alu instid0(VALU_DEP_1) | instskip(NEXT) | instid1(VALU_DEP_1)
	v_cndmask_b32_e32 v79, v46, v88, vcc_lo
	v_and_b32_e32 v46, 0x7f800000, v79
	s_delay_alu instid0(VALU_DEP_1) | instskip(SKIP_1) | instid1(SALU_CYCLE_1)
	v_cmp_ne_u32_e64 s7, 0x7f800000, v46
                                        ; implicit-def: $vgpr46
	s_and_saveexec_b32 s15, s7
	s_xor_b32 s7, exec_lo, s15
; %bb.1064:                             ;   in Loop: Header=BB8_1058 Depth=2
	v_bfe_u32 v46, v79, 16, 1
	s_delay_alu instid0(VALU_DEP_1)
	v_add3_u32 v46, v79, v46, 0x7fff
                                        ; implicit-def: $vgpr79
; %bb.1065:                             ;   in Loop: Header=BB8_1058 Depth=2
	s_and_not1_saveexec_b32 s15, s7
; %bb.1066:                             ;   in Loop: Header=BB8_1058 Depth=2
	v_and_b32_e32 v46, 0xffff, v79
	v_or_b32_e32 v88, 0x10000, v79
	s_delay_alu instid0(VALU_DEP_2) | instskip(NEXT) | instid1(VALU_DEP_1)
	v_cmp_eq_u32_e64 s7, 0, v46
	v_cndmask_b32_e64 v46, v88, v79, s7
; %bb.1067:                             ;   in Loop: Header=BB8_1058 Depth=2
	s_or_b32 exec_lo, exec_lo, s15
	v_dual_lshlrev_b32 v79, 16, v22 :: v_dual_lshlrev_b32 v49, 16, v49
	s_delay_alu instid0(VALU_DEP_1) | instskip(NEXT) | instid1(VALU_DEP_1)
	v_dual_max_num_f32 v79, v79, v79 :: v_dual_max_num_f32 v49, v49, v49
	v_dual_min_num_f32 v88, v49, v79 :: v_dual_max_num_f32 v49, v49, v79
	s_delay_alu instid0(VALU_DEP_1) | instskip(NEXT) | instid1(VALU_DEP_1)
	v_cndmask_b32_e32 v79, v49, v88, vcc_lo
	v_and_b32_e32 v49, 0x7f800000, v79
	s_delay_alu instid0(VALU_DEP_1) | instskip(SKIP_1) | instid1(SALU_CYCLE_1)
	v_cmp_ne_u32_e64 s7, 0x7f800000, v49
                                        ; implicit-def: $vgpr49
	s_and_saveexec_b32 s15, s7
	s_xor_b32 s7, exec_lo, s15
; %bb.1068:                             ;   in Loop: Header=BB8_1058 Depth=2
	v_bfe_u32 v49, v79, 16, 1
	s_delay_alu instid0(VALU_DEP_1)
	v_add3_u32 v49, v79, v49, 0x7fff
                                        ; implicit-def: $vgpr79
; %bb.1069:                             ;   in Loop: Header=BB8_1058 Depth=2
	s_and_not1_saveexec_b32 s15, s7
; %bb.1070:                             ;   in Loop: Header=BB8_1058 Depth=2
	v_and_b32_e32 v49, 0xffff, v79
	v_or_b32_e32 v88, 0x10000, v79
	s_delay_alu instid0(VALU_DEP_2) | instskip(NEXT) | instid1(VALU_DEP_1)
	v_cmp_eq_u32_e64 s7, 0, v49
	v_cndmask_b32_e64 v49, v88, v79, s7
; %bb.1071:                             ;   in Loop: Header=BB8_1058 Depth=2
	s_or_b32 exec_lo, exec_lo, s15
	v_dual_lshlrev_b32 v79, 16, v23 :: v_dual_lshlrev_b32 v38, 16, v38
	s_delay_alu instid0(VALU_DEP_1) | instskip(NEXT) | instid1(VALU_DEP_1)
	v_dual_max_num_f32 v79, v79, v79 :: v_dual_max_num_f32 v38, v38, v38
	v_dual_min_num_f32 v88, v38, v79 :: v_dual_max_num_f32 v38, v38, v79
	s_delay_alu instid0(VALU_DEP_1) | instskip(NEXT) | instid1(VALU_DEP_1)
	v_cndmask_b32_e32 v79, v38, v88, vcc_lo
	v_and_b32_e32 v38, 0x7f800000, v79
	s_delay_alu instid0(VALU_DEP_1) | instskip(SKIP_1) | instid1(SALU_CYCLE_1)
	v_cmp_ne_u32_e64 s7, 0x7f800000, v38
                                        ; implicit-def: $vgpr38
	s_and_saveexec_b32 s15, s7
	s_xor_b32 s7, exec_lo, s15
; %bb.1072:                             ;   in Loop: Header=BB8_1058 Depth=2
	v_bfe_u32 v38, v79, 16, 1
	s_delay_alu instid0(VALU_DEP_1)
	v_add3_u32 v38, v79, v38, 0x7fff
                                        ; implicit-def: $vgpr79
; %bb.1073:                             ;   in Loop: Header=BB8_1058 Depth=2
	s_and_not1_saveexec_b32 s15, s7
; %bb.1074:                             ;   in Loop: Header=BB8_1058 Depth=2
	v_and_b32_e32 v38, 0xffff, v79
	v_or_b32_e32 v88, 0x10000, v79
	s_delay_alu instid0(VALU_DEP_2) | instskip(NEXT) | instid1(VALU_DEP_1)
	v_cmp_eq_u32_e64 s7, 0, v38
	v_cndmask_b32_e64 v38, v88, v79, s7
; %bb.1075:                             ;   in Loop: Header=BB8_1058 Depth=2
	s_or_b32 exec_lo, exec_lo, s15
	v_dual_lshlrev_b32 v79, 16, v24 :: v_dual_lshlrev_b32 v34, 16, v34
	s_delay_alu instid0(VALU_DEP_1) | instskip(NEXT) | instid1(VALU_DEP_1)
	v_dual_max_num_f32 v79, v79, v79 :: v_dual_max_num_f32 v34, v34, v34
	v_dual_min_num_f32 v88, v34, v79 :: v_dual_max_num_f32 v34, v34, v79
	s_delay_alu instid0(VALU_DEP_1) | instskip(NEXT) | instid1(VALU_DEP_1)
	v_cndmask_b32_e32 v79, v34, v88, vcc_lo
	v_and_b32_e32 v34, 0x7f800000, v79
	s_delay_alu instid0(VALU_DEP_1) | instskip(SKIP_1) | instid1(SALU_CYCLE_1)
	v_cmp_ne_u32_e64 s7, 0x7f800000, v34
                                        ; implicit-def: $vgpr34
	s_and_saveexec_b32 s15, s7
	s_xor_b32 s7, exec_lo, s15
; %bb.1076:                             ;   in Loop: Header=BB8_1058 Depth=2
	v_bfe_u32 v34, v79, 16, 1
	s_delay_alu instid0(VALU_DEP_1)
	v_add3_u32 v34, v79, v34, 0x7fff
                                        ; implicit-def: $vgpr79
; %bb.1077:                             ;   in Loop: Header=BB8_1058 Depth=2
	s_and_not1_saveexec_b32 s15, s7
; %bb.1078:                             ;   in Loop: Header=BB8_1058 Depth=2
	v_and_b32_e32 v34, 0xffff, v79
	v_or_b32_e32 v88, 0x10000, v79
	s_delay_alu instid0(VALU_DEP_2) | instskip(NEXT) | instid1(VALU_DEP_1)
	v_cmp_eq_u32_e64 s7, 0, v34
	v_cndmask_b32_e64 v34, v88, v79, s7
; %bb.1079:                             ;   in Loop: Header=BB8_1058 Depth=2
	s_or_b32 exec_lo, exec_lo, s15
	v_dual_lshlrev_b32 v79, 16, v25 :: v_dual_lshlrev_b32 v32, 16, v32
	s_delay_alu instid0(VALU_DEP_1) | instskip(NEXT) | instid1(VALU_DEP_1)
	v_dual_max_num_f32 v79, v79, v79 :: v_dual_max_num_f32 v32, v32, v32
	v_dual_min_num_f32 v88, v32, v79 :: v_dual_max_num_f32 v32, v32, v79
	s_delay_alu instid0(VALU_DEP_1) | instskip(NEXT) | instid1(VALU_DEP_1)
	v_cndmask_b32_e32 v79, v32, v88, vcc_lo
	v_and_b32_e32 v32, 0x7f800000, v79
	s_delay_alu instid0(VALU_DEP_1) | instskip(SKIP_1) | instid1(SALU_CYCLE_1)
	v_cmp_ne_u32_e64 s7, 0x7f800000, v32
                                        ; implicit-def: $vgpr32
	s_and_saveexec_b32 s15, s7
	s_xor_b32 s7, exec_lo, s15
; %bb.1080:                             ;   in Loop: Header=BB8_1058 Depth=2
	v_bfe_u32 v32, v79, 16, 1
	s_delay_alu instid0(VALU_DEP_1)
	v_add3_u32 v32, v79, v32, 0x7fff
                                        ; implicit-def: $vgpr79
; %bb.1081:                             ;   in Loop: Header=BB8_1058 Depth=2
	s_and_not1_saveexec_b32 s15, s7
; %bb.1082:                             ;   in Loop: Header=BB8_1058 Depth=2
	v_and_b32_e32 v32, 0xffff, v79
	v_or_b32_e32 v88, 0x10000, v79
	s_delay_alu instid0(VALU_DEP_2) | instskip(NEXT) | instid1(VALU_DEP_1)
	v_cmp_eq_u32_e64 s7, 0, v32
	v_cndmask_b32_e64 v32, v88, v79, s7
; %bb.1083:                             ;   in Loop: Header=BB8_1058 Depth=2
	s_or_b32 exec_lo, exec_lo, s15
	v_dual_lshlrev_b32 v79, 16, v26 :: v_dual_lshlrev_b32 v29, 16, v29
	s_delay_alu instid0(VALU_DEP_1) | instskip(NEXT) | instid1(VALU_DEP_1)
	v_dual_max_num_f32 v79, v79, v79 :: v_dual_max_num_f32 v29, v29, v29
	v_dual_min_num_f32 v88, v29, v79 :: v_dual_max_num_f32 v29, v29, v79
	s_delay_alu instid0(VALU_DEP_1) | instskip(NEXT) | instid1(VALU_DEP_1)
	v_cndmask_b32_e32 v79, v29, v88, vcc_lo
	v_and_b32_e32 v29, 0x7f800000, v79
	s_delay_alu instid0(VALU_DEP_1) | instskip(SKIP_1) | instid1(SALU_CYCLE_1)
	v_cmp_ne_u32_e64 s7, 0x7f800000, v29
                                        ; implicit-def: $vgpr29
	s_and_saveexec_b32 s15, s7
	s_xor_b32 s7, exec_lo, s15
; %bb.1084:                             ;   in Loop: Header=BB8_1058 Depth=2
	v_bfe_u32 v29, v79, 16, 1
	s_delay_alu instid0(VALU_DEP_1)
	v_add3_u32 v29, v79, v29, 0x7fff
                                        ; implicit-def: $vgpr79
; %bb.1085:                             ;   in Loop: Header=BB8_1058 Depth=2
	s_and_not1_saveexec_b32 s15, s7
; %bb.1086:                             ;   in Loop: Header=BB8_1058 Depth=2
	v_and_b32_e32 v29, 0xffff, v79
	v_or_b32_e32 v88, 0x10000, v79
	s_delay_alu instid0(VALU_DEP_2) | instskip(NEXT) | instid1(VALU_DEP_1)
	v_cmp_eq_u32_e64 s7, 0, v29
	v_cndmask_b32_e64 v29, v88, v79, s7
; %bb.1087:                             ;   in Loop: Header=BB8_1058 Depth=2
	s_or_b32 exec_lo, exec_lo, s15
	v_dual_lshlrev_b32 v79, 16, v27 :: v_dual_lshlrev_b32 v28, 16, v28
	s_delay_alu instid0(VALU_DEP_1) | instskip(NEXT) | instid1(VALU_DEP_1)
	v_dual_max_num_f32 v79, v79, v79 :: v_dual_max_num_f32 v28, v28, v28
	v_dual_min_num_f32 v88, v28, v79 :: v_dual_max_num_f32 v28, v28, v79
	s_delay_alu instid0(VALU_DEP_1) | instskip(NEXT) | instid1(VALU_DEP_1)
	v_cndmask_b32_e32 v79, v28, v88, vcc_lo
	v_and_b32_e32 v28, 0x7f800000, v79
	s_delay_alu instid0(VALU_DEP_1) | instskip(SKIP_1) | instid1(SALU_CYCLE_1)
	v_cmp_ne_u32_e64 s7, 0x7f800000, v28
                                        ; implicit-def: $vgpr28
	s_and_saveexec_b32 s15, s7
	s_xor_b32 s7, exec_lo, s15
; %bb.1088:                             ;   in Loop: Header=BB8_1058 Depth=2
	v_bfe_u32 v28, v79, 16, 1
	s_delay_alu instid0(VALU_DEP_1)
	v_add3_u32 v28, v79, v28, 0x7fff
                                        ; implicit-def: $vgpr79
; %bb.1089:                             ;   in Loop: Header=BB8_1058 Depth=2
	s_and_not1_saveexec_b32 s15, s7
; %bb.1090:                             ;   in Loop: Header=BB8_1058 Depth=2
	v_and_b32_e32 v28, 0xffff, v79
	v_or_b32_e32 v88, 0x10000, v79
	s_delay_alu instid0(VALU_DEP_2) | instskip(NEXT) | instid1(VALU_DEP_1)
	v_cmp_eq_u32_e64 s7, 0, v28
	v_cndmask_b32_e64 v28, v88, v79, s7
; %bb.1091:                             ;   in Loop: Header=BB8_1058 Depth=2
	s_or_b32 exec_lo, exec_lo, s15
	v_dual_lshrrev_b32 v34, 16, v34 :: v_dual_lshrrev_b32 v57, 16, v57
	v_dual_lshrrev_b32 v46, 16, v46 :: v_dual_lshrrev_b32 v49, 16, v49
	s_delay_alu instid0(VALU_DEP_3)
	v_dual_lshrrev_b32 v38, 16, v38 :: v_dual_lshrrev_b32 v28, 16, v28
	v_dual_lshrrev_b32 v29, 16, v29 :: v_dual_lshrrev_b32 v32, 16, v32
	s_clause 0x7
	flat_store_b16 v[10:11], v57 th:TH_STORE_NT
	flat_store_b16 v[10:11], v46 offset:64 th:TH_STORE_NT
	flat_store_b16 v[10:11], v49 offset:128 th:TH_STORE_NT
	;; [unrolled: 1-line block ×7, first 2 shown]
	s_wait_xcnt 0x0
	v_add_nc_u64_e32 v[10:11], v[10:11], v[114:115]
.LBB8_1092:                             ;   in Loop: Header=BB8_1058 Depth=2
	s_or_b32 exec_lo, exec_lo, s28
	v_sub_nc_u32_e32 v19, v19, v84
	v_add_nc_u64_e32 v[12:13], v[12:13], v[114:115]
	v_add_nc_u64_e32 v[14:15], v[14:15], v[114:115]
	s_delay_alu instid0(VALU_DEP_3)
	v_cmp_lt_i32_e64 s15, 0, v19
	s_and_saveexec_b32 s7, s15
	s_cbranch_execz .LBB8_1094
; %bb.1093:                             ;   in Loop: Header=BB8_1058 Depth=2
	s_clause 0x7
	flat_load_u16 v57, v[12:13] th:TH_LOAD_NT
	flat_load_u16 v46, v[12:13] offset:64 th:TH_LOAD_NT
	flat_load_u16 v49, v[12:13] offset:128 th:TH_LOAD_NT
	;; [unrolled: 1-line block ×7, first 2 shown]
	s_clause 0x7
	flat_load_u16 v20, v[14:15] th:TH_LOAD_NT
	flat_load_u16 v21, v[14:15] offset:64 th:TH_LOAD_NT
	flat_load_u16 v22, v[14:15] offset:128 th:TH_LOAD_NT
	;; [unrolled: 1-line block ×7, first 2 shown]
	s_wait_xcnt 0x8
	v_add_nc_u64_e32 v[12:13], 0x200, v[12:13]
	s_wait_xcnt 0x0
	v_add_nc_u64_e32 v[14:15], 0x200, v[14:15]
.LBB8_1094:                             ;   in Loop: Header=BB8_1058 Depth=2
	s_or_b32 exec_lo, exec_lo, s7
	s_wait_loadcnt_dscnt 0x707
	v_dual_lshlrev_b32 v78, 16, v78 :: v_dual_lshlrev_b32 v77, 16, v77
	s_delay_alu instid0(VALU_DEP_1) | instskip(NEXT) | instid1(VALU_DEP_1)
	v_dual_max_num_f32 v78, v78, v78 :: v_dual_max_num_f32 v77, v77, v77
	v_dual_min_num_f32 v79, v77, v78 :: v_dual_max_num_f32 v77, v77, v78
	s_delay_alu instid0(VALU_DEP_1) | instskip(NEXT) | instid1(VALU_DEP_1)
	v_cndmask_b32_e32 v78, v77, v79, vcc_lo
	v_and_b32_e32 v77, 0x7f800000, v78
	s_delay_alu instid0(VALU_DEP_1) | instskip(SKIP_1) | instid1(SALU_CYCLE_1)
	v_cmp_ne_u32_e64 s7, 0x7f800000, v77
                                        ; implicit-def: $vgpr77
	s_and_saveexec_b32 s28, s7
	s_xor_b32 s7, exec_lo, s28
; %bb.1095:                             ;   in Loop: Header=BB8_1058 Depth=2
	v_bfe_u32 v77, v78, 16, 1
	s_delay_alu instid0(VALU_DEP_1)
	v_add3_u32 v77, v78, v77, 0x7fff
                                        ; implicit-def: $vgpr78
; %bb.1096:                             ;   in Loop: Header=BB8_1058 Depth=2
	s_and_not1_saveexec_b32 s28, s7
; %bb.1097:                             ;   in Loop: Header=BB8_1058 Depth=2
	v_and_b32_e32 v77, 0xffff, v78
	v_or_b32_e32 v79, 0x10000, v78
	s_delay_alu instid0(VALU_DEP_2) | instskip(NEXT) | instid1(VALU_DEP_1)
	v_cmp_eq_u32_e64 s7, 0, v77
	v_cndmask_b32_e64 v77, v79, v78, s7
; %bb.1098:                             ;   in Loop: Header=BB8_1058 Depth=2
	s_or_b32 exec_lo, exec_lo, s28
	s_wait_loadcnt_dscnt 0x606
	v_dual_lshlrev_b32 v76, 16, v76 :: v_dual_lshlrev_b32 v75, 16, v75
	s_delay_alu instid0(VALU_DEP_1) | instskip(NEXT) | instid1(VALU_DEP_1)
	v_dual_max_num_f32 v76, v76, v76 :: v_dual_max_num_f32 v75, v75, v75
	v_dual_min_num_f32 v78, v75, v76 :: v_dual_max_num_f32 v75, v75, v76
	s_delay_alu instid0(VALU_DEP_1) | instskip(NEXT) | instid1(VALU_DEP_1)
	v_cndmask_b32_e32 v76, v75, v78, vcc_lo
	v_and_b32_e32 v75, 0x7f800000, v76
	s_delay_alu instid0(VALU_DEP_1) | instskip(SKIP_1) | instid1(SALU_CYCLE_1)
	v_cmp_ne_u32_e64 s7, 0x7f800000, v75
                                        ; implicit-def: $vgpr75
	s_and_saveexec_b32 s28, s7
	s_xor_b32 s7, exec_lo, s28
; %bb.1099:                             ;   in Loop: Header=BB8_1058 Depth=2
	v_bfe_u32 v75, v76, 16, 1
	s_delay_alu instid0(VALU_DEP_1)
	v_add3_u32 v75, v76, v75, 0x7fff
                                        ; implicit-def: $vgpr76
; %bb.1100:                             ;   in Loop: Header=BB8_1058 Depth=2
	s_and_not1_saveexec_b32 s28, s7
; %bb.1101:                             ;   in Loop: Header=BB8_1058 Depth=2
	v_and_b32_e32 v75, 0xffff, v76
	v_or_b32_e32 v78, 0x10000, v76
	s_delay_alu instid0(VALU_DEP_2) | instskip(NEXT) | instid1(VALU_DEP_1)
	v_cmp_eq_u32_e64 s7, 0, v75
	v_cndmask_b32_e64 v75, v78, v76, s7
; %bb.1102:                             ;   in Loop: Header=BB8_1058 Depth=2
	s_or_b32 exec_lo, exec_lo, s28
	s_wait_loadcnt_dscnt 0x505
	v_dual_lshlrev_b32 v59, 16, v59 :: v_dual_lshlrev_b32 v58, 16, v58
	s_delay_alu instid0(VALU_DEP_1) | instskip(NEXT) | instid1(VALU_DEP_1)
	v_dual_max_num_f32 v59, v59, v59 :: v_dual_max_num_f32 v58, v58, v58
	v_dual_min_num_f32 v76, v58, v59 :: v_dual_max_num_f32 v58, v58, v59
	s_delay_alu instid0(VALU_DEP_1) | instskip(NEXT) | instid1(VALU_DEP_1)
	v_cndmask_b32_e32 v59, v58, v76, vcc_lo
	v_and_b32_e32 v58, 0x7f800000, v59
	s_delay_alu instid0(VALU_DEP_1) | instskip(SKIP_1) | instid1(SALU_CYCLE_1)
	v_cmp_ne_u32_e64 s7, 0x7f800000, v58
                                        ; implicit-def: $vgpr58
	s_and_saveexec_b32 s28, s7
	s_xor_b32 s7, exec_lo, s28
; %bb.1103:                             ;   in Loop: Header=BB8_1058 Depth=2
	v_bfe_u32 v58, v59, 16, 1
	s_delay_alu instid0(VALU_DEP_1)
	v_add3_u32 v58, v59, v58, 0x7fff
                                        ; implicit-def: $vgpr59
; %bb.1104:                             ;   in Loop: Header=BB8_1058 Depth=2
	s_and_not1_saveexec_b32 s28, s7
; %bb.1105:                             ;   in Loop: Header=BB8_1058 Depth=2
	v_and_b32_e32 v58, 0xffff, v59
	v_or_b32_e32 v76, 0x10000, v59
	s_delay_alu instid0(VALU_DEP_2) | instskip(NEXT) | instid1(VALU_DEP_1)
	v_cmp_eq_u32_e64 s7, 0, v58
	v_cndmask_b32_e64 v58, v76, v59, s7
; %bb.1106:                             ;   in Loop: Header=BB8_1058 Depth=2
	s_or_b32 exec_lo, exec_lo, s28
	s_wait_loadcnt_dscnt 0x404
	v_dual_lshlrev_b32 v56, 16, v56 :: v_dual_lshlrev_b32 v47, 16, v47
	s_delay_alu instid0(VALU_DEP_1) | instskip(NEXT) | instid1(VALU_DEP_1)
	v_dual_max_num_f32 v56, v56, v56 :: v_dual_max_num_f32 v47, v47, v47
	v_dual_min_num_f32 v59, v47, v56 :: v_dual_max_num_f32 v47, v47, v56
	s_delay_alu instid0(VALU_DEP_1) | instskip(NEXT) | instid1(VALU_DEP_1)
	v_cndmask_b32_e32 v56, v47, v59, vcc_lo
	v_and_b32_e32 v47, 0x7f800000, v56
	s_delay_alu instid0(VALU_DEP_1) | instskip(SKIP_1) | instid1(SALU_CYCLE_1)
	v_cmp_ne_u32_e64 s7, 0x7f800000, v47
                                        ; implicit-def: $vgpr47
	s_and_saveexec_b32 s28, s7
	s_xor_b32 s7, exec_lo, s28
; %bb.1107:                             ;   in Loop: Header=BB8_1058 Depth=2
	v_bfe_u32 v47, v56, 16, 1
	s_delay_alu instid0(VALU_DEP_1)
	v_add3_u32 v47, v56, v47, 0x7fff
                                        ; implicit-def: $vgpr56
; %bb.1108:                             ;   in Loop: Header=BB8_1058 Depth=2
	s_and_not1_saveexec_b32 s28, s7
; %bb.1109:                             ;   in Loop: Header=BB8_1058 Depth=2
	v_and_b32_e32 v47, 0xffff, v56
	v_or_b32_e32 v59, 0x10000, v56
	s_delay_alu instid0(VALU_DEP_2) | instskip(NEXT) | instid1(VALU_DEP_1)
	v_cmp_eq_u32_e64 s7, 0, v47
	v_cndmask_b32_e64 v47, v59, v56, s7
; %bb.1110:                             ;   in Loop: Header=BB8_1058 Depth=2
	s_or_b32 exec_lo, exec_lo, s28
	s_wait_loadcnt_dscnt 0x303
	v_dual_lshlrev_b32 v51, 16, v51 :: v_dual_lshlrev_b32 v50, 16, v50
	s_delay_alu instid0(VALU_DEP_1) | instskip(NEXT) | instid1(VALU_DEP_1)
	v_dual_max_num_f32 v51, v51, v51 :: v_dual_max_num_f32 v50, v50, v50
	v_dual_min_num_f32 v56, v50, v51 :: v_dual_max_num_f32 v50, v50, v51
	s_delay_alu instid0(VALU_DEP_1) | instskip(NEXT) | instid1(VALU_DEP_1)
	v_cndmask_b32_e32 v51, v50, v56, vcc_lo
	v_and_b32_e32 v50, 0x7f800000, v51
	s_delay_alu instid0(VALU_DEP_1) | instskip(SKIP_1) | instid1(SALU_CYCLE_1)
	v_cmp_ne_u32_e64 s7, 0x7f800000, v50
                                        ; implicit-def: $vgpr50
	s_and_saveexec_b32 s28, s7
	s_xor_b32 s7, exec_lo, s28
; %bb.1111:                             ;   in Loop: Header=BB8_1058 Depth=2
	v_bfe_u32 v50, v51, 16, 1
	s_delay_alu instid0(VALU_DEP_1)
	v_add3_u32 v50, v51, v50, 0x7fff
                                        ; implicit-def: $vgpr51
; %bb.1112:                             ;   in Loop: Header=BB8_1058 Depth=2
	s_and_not1_saveexec_b32 s28, s7
; %bb.1113:                             ;   in Loop: Header=BB8_1058 Depth=2
	v_and_b32_e32 v50, 0xffff, v51
	v_or_b32_e32 v56, 0x10000, v51
	s_delay_alu instid0(VALU_DEP_2) | instskip(NEXT) | instid1(VALU_DEP_1)
	v_cmp_eq_u32_e64 s7, 0, v50
	v_cndmask_b32_e64 v50, v56, v51, s7
; %bb.1114:                             ;   in Loop: Header=BB8_1058 Depth=2
	s_or_b32 exec_lo, exec_lo, s28
	s_wait_loadcnt_dscnt 0x202
	v_dual_lshlrev_b32 v48, 16, v48 :: v_dual_lshlrev_b32 v39, 16, v39
	s_delay_alu instid0(VALU_DEP_1) | instskip(NEXT) | instid1(VALU_DEP_1)
	v_dual_max_num_f32 v48, v48, v48 :: v_dual_max_num_f32 v39, v39, v39
	v_dual_min_num_f32 v51, v39, v48 :: v_dual_max_num_f32 v39, v39, v48
	s_delay_alu instid0(VALU_DEP_1) | instskip(NEXT) | instid1(VALU_DEP_1)
	v_cndmask_b32_e32 v48, v39, v51, vcc_lo
	v_and_b32_e32 v39, 0x7f800000, v48
	s_delay_alu instid0(VALU_DEP_1) | instskip(SKIP_1) | instid1(SALU_CYCLE_1)
	v_cmp_ne_u32_e64 s7, 0x7f800000, v39
                                        ; implicit-def: $vgpr39
	s_and_saveexec_b32 s28, s7
	s_xor_b32 s7, exec_lo, s28
; %bb.1115:                             ;   in Loop: Header=BB8_1058 Depth=2
	v_bfe_u32 v39, v48, 16, 1
	s_delay_alu instid0(VALU_DEP_1)
	v_add3_u32 v39, v48, v39, 0x7fff
                                        ; implicit-def: $vgpr48
; %bb.1116:                             ;   in Loop: Header=BB8_1058 Depth=2
	s_and_not1_saveexec_b32 s28, s7
; %bb.1117:                             ;   in Loop: Header=BB8_1058 Depth=2
	v_and_b32_e32 v39, 0xffff, v48
	v_or_b32_e32 v51, 0x10000, v48
	s_delay_alu instid0(VALU_DEP_2) | instskip(NEXT) | instid1(VALU_DEP_1)
	v_cmp_eq_u32_e64 s7, 0, v39
	v_cndmask_b32_e64 v39, v51, v48, s7
; %bb.1118:                             ;   in Loop: Header=BB8_1058 Depth=2
	s_or_b32 exec_lo, exec_lo, s28
	s_wait_loadcnt_dscnt 0x101
	v_dual_lshlrev_b32 v37, 16, v37 :: v_dual_lshlrev_b32 v36, 16, v36
	s_delay_alu instid0(VALU_DEP_1) | instskip(NEXT) | instid1(VALU_DEP_1)
	v_dual_max_num_f32 v37, v37, v37 :: v_dual_max_num_f32 v36, v36, v36
	v_dual_min_num_f32 v48, v36, v37 :: v_dual_max_num_f32 v36, v36, v37
	s_delay_alu instid0(VALU_DEP_1) | instskip(NEXT) | instid1(VALU_DEP_1)
	v_cndmask_b32_e32 v37, v36, v48, vcc_lo
	v_and_b32_e32 v36, 0x7f800000, v37
	s_delay_alu instid0(VALU_DEP_1) | instskip(SKIP_1) | instid1(SALU_CYCLE_1)
	v_cmp_ne_u32_e64 s7, 0x7f800000, v36
                                        ; implicit-def: $vgpr36
	s_and_saveexec_b32 s28, s7
	s_xor_b32 s7, exec_lo, s28
; %bb.1119:                             ;   in Loop: Header=BB8_1058 Depth=2
	v_bfe_u32 v36, v37, 16, 1
	s_delay_alu instid0(VALU_DEP_1)
	v_add3_u32 v36, v37, v36, 0x7fff
                                        ; implicit-def: $vgpr37
; %bb.1120:                             ;   in Loop: Header=BB8_1058 Depth=2
	s_and_not1_saveexec_b32 s28, s7
; %bb.1121:                             ;   in Loop: Header=BB8_1058 Depth=2
	v_and_b32_e32 v36, 0xffff, v37
	v_or_b32_e32 v48, 0x10000, v37
	s_delay_alu instid0(VALU_DEP_2) | instskip(NEXT) | instid1(VALU_DEP_1)
	v_cmp_eq_u32_e64 s7, 0, v36
	v_cndmask_b32_e64 v36, v48, v37, s7
; %bb.1122:                             ;   in Loop: Header=BB8_1058 Depth=2
	s_or_b32 exec_lo, exec_lo, s28
	s_wait_loadcnt_dscnt 0x0
	v_dual_lshlrev_b32 v35, 16, v35 :: v_dual_lshlrev_b32 v33, 16, v33
	s_delay_alu instid0(VALU_DEP_1) | instskip(NEXT) | instid1(VALU_DEP_1)
	v_dual_max_num_f32 v35, v35, v35 :: v_dual_max_num_f32 v33, v33, v33
	v_dual_min_num_f32 v37, v33, v35 :: v_dual_max_num_f32 v33, v33, v35
	s_delay_alu instid0(VALU_DEP_1) | instskip(NEXT) | instid1(VALU_DEP_1)
	v_cndmask_b32_e32 v35, v33, v37, vcc_lo
	v_and_b32_e32 v33, 0x7f800000, v35
	s_delay_alu instid0(VALU_DEP_1) | instskip(SKIP_1) | instid1(SALU_CYCLE_1)
	v_cmp_ne_u32_e64 s7, 0x7f800000, v33
                                        ; implicit-def: $vgpr33
	s_and_saveexec_b32 s28, s7
	s_xor_b32 s7, exec_lo, s28
; %bb.1123:                             ;   in Loop: Header=BB8_1058 Depth=2
	v_bfe_u32 v33, v35, 16, 1
	s_delay_alu instid0(VALU_DEP_1)
	v_add3_u32 v33, v35, v33, 0x7fff
                                        ; implicit-def: $vgpr35
; %bb.1124:                             ;   in Loop: Header=BB8_1058 Depth=2
	s_and_not1_saveexec_b32 s28, s7
	s_cbranch_execz .LBB8_1057
; %bb.1125:                             ;   in Loop: Header=BB8_1058 Depth=2
	v_and_b32_e32 v33, 0xffff, v35
	v_or_b32_e32 v37, 0x10000, v35
	s_delay_alu instid0(VALU_DEP_2) | instskip(NEXT) | instid1(VALU_DEP_1)
	v_cmp_eq_u32_e64 s7, 0, v33
	v_cndmask_b32_e64 v33, v37, v35, s7
	s_branch .LBB8_1057
.LBB8_1126:                             ;   in Loop: Header=BB8_662 Depth=1
	s_or_b32 exec_lo, exec_lo, s12
	v_dual_lshlrev_b32 v51, 16, v57 :: v_dual_lshlrev_b32 v47, 16, v20
	v_dual_lshlrev_b32 v48, 16, v46 :: v_dual_lshlrev_b32 v50, 16, v21
	;; [unrolled: 1-line block ×8, first 2 shown]
	s_and_b32 s7, s11, exec_lo
.LBB8_1127:                             ;   in Loop: Header=BB8_662 Depth=1
	s_or_b32 exec_lo, exec_lo, s10
	s_and_saveexec_b32 s10, s7
	s_cbranch_execz .LBB8_1161
; %bb.1128:                             ;   in Loop: Header=BB8_662 Depth=1
	v_max_num_f32_e32 v14, v47, v47
	v_max_num_f32_e32 v15, v51, v51
	s_and_b32 s7, s13, 0xff
	s_delay_alu instid0(SALU_CYCLE_1) | instskip(NEXT) | instid1(VALU_DEP_1)
	s_cmp_eq_u32 s7, 0
	v_dual_min_num_f32 v25, v15, v14 :: v_dual_max_num_f32 v14, v15, v14
	s_cselect_b32 vcc_lo, -1, 0
	s_delay_alu instid0(VALU_DEP_1) | instskip(NEXT) | instid1(VALU_DEP_1)
	v_cndmask_b32_e32 v15, v14, v25, vcc_lo
	v_and_b32_e32 v14, 0x7f800000, v15
	s_delay_alu instid0(VALU_DEP_1) | instskip(SKIP_1) | instid1(SALU_CYCLE_1)
	v_cmp_ne_u32_e64 s7, 0x7f800000, v14
                                        ; implicit-def: $vgpr14
	s_and_saveexec_b32 s11, s7
	s_xor_b32 s7, exec_lo, s11
; %bb.1129:                             ;   in Loop: Header=BB8_662 Depth=1
	v_bfe_u32 v14, v15, 16, 1
	s_delay_alu instid0(VALU_DEP_1)
	v_add3_u32 v14, v15, v14, 0x7fff
                                        ; implicit-def: $vgpr15
; %bb.1130:                             ;   in Loop: Header=BB8_662 Depth=1
	s_and_not1_saveexec_b32 s11, s7
; %bb.1131:                             ;   in Loop: Header=BB8_662 Depth=1
	v_and_b32_e32 v14, 0xffff, v15
	v_or_b32_e32 v25, 0x10000, v15
	s_delay_alu instid0(VALU_DEP_2) | instskip(NEXT) | instid1(VALU_DEP_1)
	v_cmp_eq_u32_e64 s7, 0, v14
	v_cndmask_b32_e64 v14, v25, v15, s7
; %bb.1132:                             ;   in Loop: Header=BB8_662 Depth=1
	s_or_b32 exec_lo, exec_lo, s11
	v_dual_max_num_f32 v15, v50, v50 :: v_dual_max_num_f32 v25, v48, v48
	s_delay_alu instid0(VALU_DEP_1) | instskip(NEXT) | instid1(VALU_DEP_1)
	v_dual_min_num_f32 v26, v25, v15 :: v_dual_max_num_f32 v15, v25, v15
	v_cndmask_b32_e32 v25, v15, v26, vcc_lo
	s_delay_alu instid0(VALU_DEP_1) | instskip(NEXT) | instid1(VALU_DEP_1)
	v_and_b32_e32 v15, 0x7f800000, v25
	v_cmp_ne_u32_e64 s7, 0x7f800000, v15
                                        ; implicit-def: $vgpr15
	s_and_saveexec_b32 s11, s7
	s_delay_alu instid0(SALU_CYCLE_1)
	s_xor_b32 s7, exec_lo, s11
; %bb.1133:                             ;   in Loop: Header=BB8_662 Depth=1
	v_bfe_u32 v15, v25, 16, 1
	s_delay_alu instid0(VALU_DEP_1)
	v_add3_u32 v15, v25, v15, 0x7fff
                                        ; implicit-def: $vgpr25
; %bb.1134:                             ;   in Loop: Header=BB8_662 Depth=1
	s_and_not1_saveexec_b32 s11, s7
; %bb.1135:                             ;   in Loop: Header=BB8_662 Depth=1
	v_and_b32_e32 v15, 0xffff, v25
	v_or_b32_e32 v26, 0x10000, v25
	s_delay_alu instid0(VALU_DEP_2) | instskip(NEXT) | instid1(VALU_DEP_1)
	v_cmp_eq_u32_e64 s7, 0, v15
	v_cndmask_b32_e64 v15, v26, v25, s7
; %bb.1136:                             ;   in Loop: Header=BB8_662 Depth=1
	s_or_b32 exec_lo, exec_lo, s11
	v_dual_max_num_f32 v25, v39, v39 :: v_dual_max_num_f32 v26, v37, v37
	s_delay_alu instid0(VALU_DEP_1) | instskip(NEXT) | instid1(VALU_DEP_1)
	v_dual_min_num_f32 v27, v26, v25 :: v_dual_max_num_f32 v25, v26, v25
	v_cndmask_b32_e32 v26, v25, v27, vcc_lo
	s_delay_alu instid0(VALU_DEP_1) | instskip(NEXT) | instid1(VALU_DEP_1)
	v_and_b32_e32 v25, 0x7f800000, v26
	v_cmp_ne_u32_e64 s7, 0x7f800000, v25
                                        ; implicit-def: $vgpr25
	s_and_saveexec_b32 s11, s7
	s_delay_alu instid0(SALU_CYCLE_1)
	s_xor_b32 s7, exec_lo, s11
; %bb.1137:                             ;   in Loop: Header=BB8_662 Depth=1
	v_bfe_u32 v25, v26, 16, 1
	s_delay_alu instid0(VALU_DEP_1)
	v_add3_u32 v25, v26, v25, 0x7fff
                                        ; implicit-def: $vgpr26
; %bb.1138:                             ;   in Loop: Header=BB8_662 Depth=1
	s_and_not1_saveexec_b32 s11, s7
; %bb.1139:                             ;   in Loop: Header=BB8_662 Depth=1
	v_and_b32_e32 v25, 0xffff, v26
	v_or_b32_e32 v27, 0x10000, v26
	s_delay_alu instid0(VALU_DEP_2) | instskip(NEXT) | instid1(VALU_DEP_1)
	v_cmp_eq_u32_e64 s7, 0, v25
	v_cndmask_b32_e64 v25, v27, v26, s7
; %bb.1140:                             ;   in Loop: Header=BB8_662 Depth=1
	s_or_b32 exec_lo, exec_lo, s11
	v_dual_max_num_f32 v26, v36, v36 :: v_dual_max_num_f32 v27, v35, v35
	s_delay_alu instid0(VALU_DEP_1) | instskip(NEXT) | instid1(VALU_DEP_1)
	v_dual_min_num_f32 v28, v27, v26 :: v_dual_max_num_f32 v26, v27, v26
	v_cndmask_b32_e32 v27, v26, v28, vcc_lo
	s_delay_alu instid0(VALU_DEP_1) | instskip(NEXT) | instid1(VALU_DEP_1)
	v_and_b32_e32 v26, 0x7f800000, v27
	v_cmp_ne_u32_e64 s7, 0x7f800000, v26
                                        ; implicit-def: $vgpr26
	s_and_saveexec_b32 s11, s7
	s_delay_alu instid0(SALU_CYCLE_1)
	s_xor_b32 s7, exec_lo, s11
; %bb.1141:                             ;   in Loop: Header=BB8_662 Depth=1
	v_bfe_u32 v26, v27, 16, 1
	s_delay_alu instid0(VALU_DEP_1)
	v_add3_u32 v26, v27, v26, 0x7fff
                                        ; implicit-def: $vgpr27
; %bb.1142:                             ;   in Loop: Header=BB8_662 Depth=1
	s_and_not1_saveexec_b32 s11, s7
; %bb.1143:                             ;   in Loop: Header=BB8_662 Depth=1
	v_and_b32_e32 v26, 0xffff, v27
	v_or_b32_e32 v28, 0x10000, v27
	s_delay_alu instid0(VALU_DEP_2) | instskip(NEXT) | instid1(VALU_DEP_1)
	v_cmp_eq_u32_e64 s7, 0, v26
	v_cndmask_b32_e64 v26, v28, v27, s7
; %bb.1144:                             ;   in Loop: Header=BB8_662 Depth=1
	s_or_b32 exec_lo, exec_lo, s11
	v_dual_max_num_f32 v24, v24, v24 :: v_dual_max_num_f32 v27, v33, v33
	s_delay_alu instid0(VALU_DEP_1) | instskip(NEXT) | instid1(VALU_DEP_1)
	v_dual_min_num_f32 v28, v27, v24 :: v_dual_max_num_f32 v24, v27, v24
	v_cndmask_b32_e32 v27, v24, v28, vcc_lo
	s_delay_alu instid0(VALU_DEP_1) | instskip(NEXT) | instid1(VALU_DEP_1)
	v_and_b32_e32 v24, 0x7f800000, v27
	v_cmp_ne_u32_e64 s7, 0x7f800000, v24
                                        ; implicit-def: $vgpr24
	s_and_saveexec_b32 s11, s7
	s_delay_alu instid0(SALU_CYCLE_1)
	s_xor_b32 s7, exec_lo, s11
; %bb.1145:                             ;   in Loop: Header=BB8_662 Depth=1
	v_bfe_u32 v24, v27, 16, 1
	s_delay_alu instid0(VALU_DEP_1)
	v_add3_u32 v24, v27, v24, 0x7fff
                                        ; implicit-def: $vgpr27
; %bb.1146:                             ;   in Loop: Header=BB8_662 Depth=1
	s_and_not1_saveexec_b32 s11, s7
; %bb.1147:                             ;   in Loop: Header=BB8_662 Depth=1
	v_and_b32_e32 v24, 0xffff, v27
	v_or_b32_e32 v28, 0x10000, v27
	s_delay_alu instid0(VALU_DEP_2) | instskip(NEXT) | instid1(VALU_DEP_1)
	v_cmp_eq_u32_e64 s7, 0, v24
	v_cndmask_b32_e64 v24, v28, v27, s7
; %bb.1148:                             ;   in Loop: Header=BB8_662 Depth=1
	s_or_b32 exec_lo, exec_lo, s11
	v_dual_max_num_f32 v23, v23, v23 :: v_dual_max_num_f32 v22, v22, v22
	s_delay_alu instid0(VALU_DEP_1) | instskip(NEXT) | instid1(VALU_DEP_1)
	v_dual_min_num_f32 v27, v22, v23 :: v_dual_max_num_f32 v22, v22, v23
	v_cndmask_b32_e32 v23, v22, v27, vcc_lo
	s_delay_alu instid0(VALU_DEP_1) | instskip(NEXT) | instid1(VALU_DEP_1)
	v_and_b32_e32 v22, 0x7f800000, v23
	v_cmp_ne_u32_e64 s7, 0x7f800000, v22
                                        ; implicit-def: $vgpr22
	s_and_saveexec_b32 s11, s7
	s_delay_alu instid0(SALU_CYCLE_1)
	s_xor_b32 s7, exec_lo, s11
; %bb.1149:                             ;   in Loop: Header=BB8_662 Depth=1
	v_bfe_u32 v22, v23, 16, 1
	s_delay_alu instid0(VALU_DEP_1)
	v_add3_u32 v22, v23, v22, 0x7fff
                                        ; implicit-def: $vgpr23
; %bb.1150:                             ;   in Loop: Header=BB8_662 Depth=1
	s_and_not1_saveexec_b32 s11, s7
; %bb.1151:                             ;   in Loop: Header=BB8_662 Depth=1
	v_and_b32_e32 v22, 0xffff, v23
	v_or_b32_e32 v27, 0x10000, v23
	s_delay_alu instid0(VALU_DEP_2) | instskip(NEXT) | instid1(VALU_DEP_1)
	v_cmp_eq_u32_e64 s7, 0, v22
	v_cndmask_b32_e64 v22, v27, v23, s7
; %bb.1152:                             ;   in Loop: Header=BB8_662 Depth=1
	s_or_b32 exec_lo, exec_lo, s11
	v_dual_max_num_f32 v21, v21, v21 :: v_dual_max_num_f32 v20, v20, v20
	s_delay_alu instid0(VALU_DEP_1) | instskip(NEXT) | instid1(VALU_DEP_1)
	v_dual_min_num_f32 v23, v20, v21 :: v_dual_max_num_f32 v20, v20, v21
	v_cndmask_b32_e32 v21, v20, v23, vcc_lo
	s_delay_alu instid0(VALU_DEP_1) | instskip(NEXT) | instid1(VALU_DEP_1)
	v_and_b32_e32 v20, 0x7f800000, v21
	v_cmp_ne_u32_e64 s7, 0x7f800000, v20
                                        ; implicit-def: $vgpr20
	s_and_saveexec_b32 s11, s7
	s_delay_alu instid0(SALU_CYCLE_1)
	s_xor_b32 s7, exec_lo, s11
; %bb.1153:                             ;   in Loop: Header=BB8_662 Depth=1
	v_bfe_u32 v20, v21, 16, 1
	s_delay_alu instid0(VALU_DEP_1)
	v_add3_u32 v20, v21, v20, 0x7fff
                                        ; implicit-def: $vgpr21
; %bb.1154:                             ;   in Loop: Header=BB8_662 Depth=1
	s_and_not1_saveexec_b32 s11, s7
; %bb.1155:                             ;   in Loop: Header=BB8_662 Depth=1
	v_and_b32_e32 v20, 0xffff, v21
	v_or_b32_e32 v23, 0x10000, v21
	s_delay_alu instid0(VALU_DEP_2) | instskip(NEXT) | instid1(VALU_DEP_1)
	v_cmp_eq_u32_e64 s7, 0, v20
	v_cndmask_b32_e64 v20, v23, v21, s7
; %bb.1156:                             ;   in Loop: Header=BB8_662 Depth=1
	s_or_b32 exec_lo, exec_lo, s11
	v_dual_max_num_f32 v13, v13, v13 :: v_dual_max_num_f32 v12, v12, v12
	s_delay_alu instid0(VALU_DEP_1) | instskip(NEXT) | instid1(VALU_DEP_1)
	v_dual_min_num_f32 v21, v12, v13 :: v_dual_max_num_f32 v12, v12, v13
	v_cndmask_b32_e32 v13, v12, v21, vcc_lo
	s_delay_alu instid0(VALU_DEP_1) | instskip(NEXT) | instid1(VALU_DEP_1)
	v_and_b32_e32 v12, 0x7f800000, v13
	v_cmp_ne_u32_e32 vcc_lo, 0x7f800000, v12
                                        ; implicit-def: $vgpr12
	s_and_saveexec_b32 s7, vcc_lo
	s_delay_alu instid0(SALU_CYCLE_1)
	s_xor_b32 s7, exec_lo, s7
; %bb.1157:                             ;   in Loop: Header=BB8_662 Depth=1
	v_bfe_u32 v12, v13, 16, 1
	s_delay_alu instid0(VALU_DEP_1)
	v_add3_u32 v12, v13, v12, 0x7fff
                                        ; implicit-def: $vgpr13
; %bb.1158:                             ;   in Loop: Header=BB8_662 Depth=1
	s_and_not1_saveexec_b32 s7, s7
; %bb.1159:                             ;   in Loop: Header=BB8_662 Depth=1
	v_and_b32_e32 v12, 0xffff, v13
	v_or_b32_e32 v21, 0x10000, v13
	s_delay_alu instid0(VALU_DEP_2) | instskip(NEXT) | instid1(VALU_DEP_2)
	v_cmp_eq_u32_e32 vcc_lo, 0, v12
	v_cndmask_b32_e32 v12, v21, v13, vcc_lo
; %bb.1160:                             ;   in Loop: Header=BB8_662 Depth=1
	s_or_b32 exec_lo, exec_lo, s7
	s_clause 0x7
	flat_store_d16_hi_b16 v[10:11], v14 th:TH_STORE_NT
	flat_store_d16_hi_b16 v[10:11], v15 offset:64 th:TH_STORE_NT
	flat_store_d16_hi_b16 v[10:11], v25 offset:128 th:TH_STORE_NT
	;; [unrolled: 1-line block ×7, first 2 shown]
.LBB8_1161:                             ;   in Loop: Header=BB8_662 Depth=1
	s_wait_xcnt 0x0
	s_or_b32 exec_lo, exec_lo, s10
	v_lshlrev_b32_e32 v10, 9, v18
	s_delay_alu instid0(VALU_DEP_1)
	v_cmp_ne_u32_e32 vcc_lo, v74, v10
	s_and_b32 exec_lo, exec_lo, vcc_lo
	s_cbranch_execz .LBB8_1186
; %bb.1162:                             ;   in Loop: Header=BB8_662 Depth=1
	v_lshlrev_b32_e32 v11, 5, v19
	s_delay_alu instid0(VALU_DEP_1) | instskip(NEXT) | instid1(VALU_DEP_1)
	v_sub_nc_u32_e32 v11, v17, v11
	v_ashrrev_i32_e32 v12, 31, v11
	s_delay_alu instid0(VALU_DEP_1) | instskip(NEXT) | instid1(VALU_DEP_1)
	v_lshrrev_b32_e32 v12, 27, v12
	v_add_nc_u32_e32 v12, v11, v12
	s_delay_alu instid0(VALU_DEP_1) | instskip(NEXT) | instid1(VALU_DEP_1)
	v_and_b32_e32 v13, 0x7fffffe0, v12
	v_dual_lshlrev_b32 v12, 1, v12 :: v_dual_sub_nc_u32 v11, v11, v13
	s_delay_alu instid0(VALU_DEP_1) | instskip(NEXT) | instid1(VALU_DEP_2)
	v_and_b32_e32 v12, 0xffffffc0, v12
	v_lshlrev_b32_e32 v11, 1, v11
	s_delay_alu instid0(VALU_DEP_1) | instskip(NEXT) | instid1(VALU_DEP_1)
	v_add3_u32 v10, v12, v11, v10
	v_sub_nc_u32_e32 v17, v74, v10
	s_delay_alu instid0(VALU_DEP_1)
	v_cmp_lt_i32_e32 vcc_lo, 1, v17
	s_and_b32 exec_lo, exec_lo, vcc_lo
	s_cbranch_execz .LBB8_1186
; %bb.1163:                             ;   in Loop: Header=BB8_662 Depth=1
	s_trap 2
	ds_load_b64 v[12:13], v0
	v_add_nc_u32_e32 v18, v10, v16
	s_and_b32 s7, s13, 0xff
	s_mov_b32 s29, 0
	s_cmp_eq_u32 s7, 0
	s_mov_b32 s15, 0
	v_ashrrev_i32_e32 v19, 31, v18
	s_cselect_b32 s7, -1, 0
                                        ; implicit-def: $sgpr28
	s_delay_alu instid0(VALU_DEP_1)
	v_add_nc_u64_e32 v[10:11], v[44:45], v[18:19]
	v_add_nc_u64_e32 v[14:15], v[18:19], v[42:43]
	s_wait_dscnt 0x0
	v_add_nc_u64_e32 v[12:13], v[12:13], v[18:19]
	s_branch .LBB8_1165
.LBB8_1164:                             ;   in Loop: Header=BB8_1165 Depth=2
	s_or_b32 exec_lo, exec_lo, s10
	s_delay_alu instid0(VALU_DEP_1) | instskip(SKIP_2) | instid1(VALU_DEP_3)
	v_dual_cndmask_b32 v22, 0, v62, s29 :: v_dual_lshrrev_b32 v24, 16, v17
	v_add_nc_u64_e32 v[18:19], v[12:13], v[100:101]
	v_dual_cndmask_b32 v21, 0, v117, s29 :: v_dual_cndmask_b32 v20, 64, v116, s29
	v_sub_nc_u32_e32 v17, v16, v22
	v_add_nc_u64_e32 v[22:23], v[14:15], v[100:101]
	flat_store_b16 v[10:11], v24 th:TH_STORE_NT
	scratch_store_b16 off, v24, s33 offset:160
	v_cndmask_b32_e64 v13, v13, v19, s29
	v_cmp_gt_i32_e32 vcc_lo, 2, v17
	s_wait_xcnt 0x1
	v_add_nc_u64_e32 v[10:11], v[10:11], v[20:21]
	v_dual_cndmask_b32 v12, v12, v18, s29 :: v_dual_cndmask_b32 v15, v15, v23, s29
	v_cndmask_b32_e64 v14, v14, v22, s29
	s_or_b32 s15, vcc_lo, s15
	s_and_not1_b32 s10, s28, exec_lo
	s_and_b32 s11, s29, exec_lo
	s_delay_alu instid0(SALU_CYCLE_1)
	s_or_b32 s28, s10, s11
	s_wait_xcnt 0x0
	s_and_not1_b32 exec_lo, exec_lo, s15
	s_cbranch_execz .LBB8_1180
.LBB8_1165:                             ;   Parent Loop BB8_662 Depth=1
                                        ; =>  This Loop Header: Depth=2
                                        ;       Child Loop BB8_1166 Depth 3
                                        ;       Child Loop BB8_1175 Depth 3
	s_add_co_i32 s10, s33, 0xa0
	s_mov_b64 s[12:13], 0
	s_mov_b32 s40, s10
	s_mov_b32 s41, -1
.LBB8_1166:                             ;   Parent Loop BB8_662 Depth=1
                                        ;     Parent Loop BB8_1165 Depth=2
                                        ; =>    This Inner Loop Header: Depth=3
	s_cmp_eq_u32 s12, 1
	s_cselect_b32 vcc_lo, -1, 0
	s_cmp_eq_u32 s12, 0
	v_dual_cndmask_b32 v19, v15, v13 :: v_dual_cndmask_b32 v18, v14, v12
	s_cselect_b32 s10, -1, 0
	s_and_b32 s11, exec_lo, s41
	s_mov_b64 s[12:13], 1
	s_mov_b32 s41, 0
	flat_load_u16 v16, v[18:19] th:TH_LOAD_NT
	s_wait_xcnt 0x0
	v_add_nc_u64_e32 v[18:19], 64, v[18:19]
	s_delay_alu instid0(VALU_DEP_1)
	v_dual_cndmask_b32 v13, v13, v19 :: v_dual_cndmask_b32 v12, v12, v18
	v_dual_cndmask_b32 v15, v15, v19, s10 :: v_dual_cndmask_b32 v14, v14, v18, s10
	s_add_co_i32 s10, s33, 0xc0
	s_mov_b32 vcc_lo, s11
	s_wait_loadcnt_dscnt 0x0
	scratch_store_b16 off, v16, s40
	s_wait_xcnt 0x0
	s_mov_b32 s40, s10
	s_cbranch_vccnz .LBB8_1166
; %bb.1167:                             ;   in Loop: Header=BB8_1165 Depth=2
	s_and_saveexec_b32 s10, s29
	s_cbranch_execz .LBB8_1173
; %bb.1168:                             ;   in Loop: Header=BB8_1165 Depth=2
	s_clause 0x1
	scratch_load_u16 v16, off, s33 offset:146
	scratch_load_u16 v18, off, s33 offset:144
	s_wait_loadcnt 0x0
	v_dual_lshlrev_b32 v16, 16, v16 :: v_dual_lshlrev_b32 v18, 16, v18
	s_delay_alu instid0(VALU_DEP_1) | instskip(NEXT) | instid1(VALU_DEP_1)
	v_dual_max_num_f32 v16, v16, v16 :: v_dual_max_num_f32 v18, v18, v18
	v_dual_min_num_f32 v19, v18, v16 :: v_dual_max_num_f32 v16, v18, v16
	s_delay_alu instid0(VALU_DEP_1) | instskip(NEXT) | instid1(VALU_DEP_1)
	v_cndmask_b32_e64 v16, v16, v19, s7
	v_and_b32_e32 v18, 0x7f800000, v16
	s_delay_alu instid0(VALU_DEP_1) | instskip(SKIP_2) | instid1(SALU_CYCLE_1)
	v_cmp_ne_u32_e32 vcc_lo, 0x7f800000, v18
                                        ; implicit-def: $vgpr18
	s_wait_xcnt 0x0
	s_and_saveexec_b32 s11, vcc_lo
	s_xor_b32 s11, exec_lo, s11
; %bb.1169:                             ;   in Loop: Header=BB8_1165 Depth=2
	v_bfe_u32 v18, v16, 16, 1
	s_delay_alu instid0(VALU_DEP_1)
	v_add3_u32 v18, v16, v18, 0x7fff
                                        ; implicit-def: $vgpr16
; %bb.1170:                             ;   in Loop: Header=BB8_1165 Depth=2
	s_and_not1_saveexec_b32 s11, s11
; %bb.1171:                             ;   in Loop: Header=BB8_1165 Depth=2
	v_and_b32_e32 v18, 0xffff, v16
	v_or_b32_e32 v19, 0x10000, v16
	s_delay_alu instid0(VALU_DEP_2) | instskip(NEXT) | instid1(VALU_DEP_2)
	v_cmp_eq_u32_e32 vcc_lo, 0, v18
	v_cndmask_b32_e32 v18, v19, v16, vcc_lo
; %bb.1172:                             ;   in Loop: Header=BB8_1165 Depth=2
	s_or_b32 exec_lo, exec_lo, s11
	s_delay_alu instid0(VALU_DEP_1)
	v_lshrrev_b32_e32 v16, 16, v18
	flat_store_b16 v[10:11], v16 th:TH_STORE_NT
	s_wait_xcnt 0x0
	v_add_nc_u64_e32 v[10:11], v[10:11], v[116:117]
	scratch_store_b16 off, v16, s33 offset:144
.LBB8_1173:                             ;   in Loop: Header=BB8_1165 Depth=2
	s_wait_xcnt 0x0
	s_or_b32 exec_lo, exec_lo, s10
	v_sub_nc_u32_e32 v16, v17, v62
	v_add_nc_u64_e32 v[14:15], v[14:15], v[100:101]
	v_add_nc_u64_e32 v[12:13], v[12:13], v[100:101]
	s_delay_alu instid0(VALU_DEP_3)
	v_cmp_lt_i32_e64 s29, 1, v16
	s_and_saveexec_b32 s40, s29
	s_cbranch_execz .LBB8_1176
; %bb.1174:                             ;   in Loop: Header=BB8_1165 Depth=2
	s_add_co_i32 s10, s33, 0x90
	s_mov_b64 s[12:13], 0
	s_mov_b32 s41, s10
	s_mov_b32 s42, -1
.LBB8_1175:                             ;   Parent Loop BB8_662 Depth=1
                                        ;     Parent Loop BB8_1165 Depth=2
                                        ; =>    This Inner Loop Header: Depth=3
	s_cmp_eq_u32 s12, 1
	s_cselect_b32 vcc_lo, -1, 0
	s_cmp_eq_u32 s12, 0
	v_dual_cndmask_b32 v19, v15, v13 :: v_dual_cndmask_b32 v18, v14, v12
	s_cselect_b32 s10, -1, 0
	s_and_b32 s11, exec_lo, s42
	s_mov_b64 s[12:13], 1
	s_mov_b32 s42, 0
	flat_load_u16 v17, v[18:19] th:TH_LOAD_NT
	s_wait_xcnt 0x0
	v_add_nc_u64_e32 v[18:19], 64, v[18:19]
	s_delay_alu instid0(VALU_DEP_1)
	v_dual_cndmask_b32 v15, v15, v19, s10 :: v_dual_cndmask_b32 v14, v14, v18, s10
	v_dual_cndmask_b32 v13, v13, v19 :: v_dual_cndmask_b32 v12, v12, v18
	s_add_co_i32 s10, s33, 0x92
	s_mov_b32 vcc_lo, s11
	s_wait_loadcnt_dscnt 0x0
	scratch_store_b16 off, v17, s41
	s_wait_xcnt 0x0
	s_mov_b32 s41, s10
	s_cbranch_vccnz .LBB8_1175
.LBB8_1176:                             ;   in Loop: Header=BB8_1165 Depth=2
	s_or_b32 exec_lo, exec_lo, s40
	s_clause 0x1
	scratch_load_u16 v17, off, s33 offset:192
	scratch_load_u16 v18, off, s33 offset:160
	s_wait_loadcnt 0x0
	v_dual_lshlrev_b32 v17, 16, v17 :: v_dual_lshlrev_b32 v18, 16, v18
	s_delay_alu instid0(VALU_DEP_1) | instskip(NEXT) | instid1(VALU_DEP_1)
	v_dual_max_num_f32 v17, v17, v17 :: v_dual_max_num_f32 v18, v18, v18
	v_dual_min_num_f32 v19, v18, v17 :: v_dual_max_num_f32 v17, v18, v17
	s_delay_alu instid0(VALU_DEP_1) | instskip(NEXT) | instid1(VALU_DEP_1)
	v_cndmask_b32_e64 v18, v17, v19, s7
	v_and_b32_e32 v17, 0x7f800000, v18
	s_delay_alu instid0(VALU_DEP_1) | instskip(SKIP_2) | instid1(SALU_CYCLE_1)
	v_cmp_ne_u32_e32 vcc_lo, 0x7f800000, v17
                                        ; implicit-def: $vgpr17
	s_wait_xcnt 0x0
	s_and_saveexec_b32 s10, vcc_lo
	s_xor_b32 s10, exec_lo, s10
; %bb.1177:                             ;   in Loop: Header=BB8_1165 Depth=2
	v_bfe_u32 v17, v18, 16, 1
	s_delay_alu instid0(VALU_DEP_1)
	v_add3_u32 v17, v18, v17, 0x7fff
                                        ; implicit-def: $vgpr18
; %bb.1178:                             ;   in Loop: Header=BB8_1165 Depth=2
	s_and_not1_saveexec_b32 s10, s10
	s_cbranch_execz .LBB8_1164
; %bb.1179:                             ;   in Loop: Header=BB8_1165 Depth=2
	v_and_b32_e32 v17, 0xffff, v18
	v_or_b32_e32 v19, 0x10000, v18
	s_delay_alu instid0(VALU_DEP_2) | instskip(NEXT) | instid1(VALU_DEP_2)
	v_cmp_eq_u32_e32 vcc_lo, 0, v17
	v_cndmask_b32_e32 v17, v19, v18, vcc_lo
	s_branch .LBB8_1164
.LBB8_1180:                             ;   in Loop: Header=BB8_662 Depth=1
	s_or_b32 exec_lo, exec_lo, s15
	s_delay_alu instid0(SALU_CYCLE_1)
	s_and_b32 exec_lo, exec_lo, s28
	s_cbranch_execz .LBB8_1186
; %bb.1181:                             ;   in Loop: Header=BB8_662 Depth=1
	s_clause 0x1
	scratch_load_u16 v12, off, s33 offset:146
	scratch_load_u16 v13, off, s33 offset:144
	s_wait_loadcnt 0x0
	v_dual_lshlrev_b32 v12, 16, v12 :: v_dual_lshlrev_b32 v13, 16, v13
	s_delay_alu instid0(VALU_DEP_1) | instskip(NEXT) | instid1(VALU_DEP_1)
	v_dual_max_num_f32 v12, v12, v12 :: v_dual_max_num_f32 v13, v13, v13
	v_dual_min_num_f32 v14, v13, v12 :: v_dual_max_num_f32 v12, v13, v12
	s_delay_alu instid0(VALU_DEP_1) | instskip(NEXT) | instid1(VALU_DEP_1)
	v_cndmask_b32_e64 v12, v12, v14, s7
	v_and_b32_e32 v13, 0x7f800000, v12
	s_delay_alu instid0(VALU_DEP_1) | instskip(SKIP_2) | instid1(SALU_CYCLE_1)
	v_cmp_ne_u32_e32 vcc_lo, 0x7f800000, v13
                                        ; implicit-def: $vgpr13
	s_wait_xcnt 0x0
	s_and_saveexec_b32 s7, vcc_lo
	s_xor_b32 s7, exec_lo, s7
; %bb.1182:                             ;   in Loop: Header=BB8_662 Depth=1
	v_bfe_u32 v13, v12, 16, 1
	s_delay_alu instid0(VALU_DEP_1)
	v_add3_u32 v13, v12, v13, 0x7fff
                                        ; implicit-def: $vgpr12
; %bb.1183:                             ;   in Loop: Header=BB8_662 Depth=1
	s_and_not1_saveexec_b32 s7, s7
; %bb.1184:                             ;   in Loop: Header=BB8_662 Depth=1
	v_and_b32_e32 v13, 0xffff, v12
	v_or_b32_e32 v14, 0x10000, v12
	s_delay_alu instid0(VALU_DEP_2) | instskip(NEXT) | instid1(VALU_DEP_2)
	v_cmp_eq_u32_e32 vcc_lo, 0, v13
	v_cndmask_b32_e32 v13, v14, v12, vcc_lo
; %bb.1185:                             ;   in Loop: Header=BB8_662 Depth=1
	s_or_b32 exec_lo, exec_lo, s7
	flat_store_d16_hi_b16 v[10:11], v13 th:TH_STORE_NT
.LBB8_1186:                             ;   in Loop: Header=BB8_662 Depth=1
	s_wait_xcnt 0x0
	s_or_b32 exec_lo, exec_lo, s14
	v_cmp_ne_u32_e64 s7, 0, v86
	s_and_saveexec_b32 s10, s2
	s_cbranch_execz .LBB8_1205
.LBB8_1187:                             ;   in Loop: Header=BB8_662 Depth=1
	s_and_saveexec_b32 s11, s3
	s_delay_alu instid0(SALU_CYCLE_1)
	s_xor_b32 s11, exec_lo, s11
	s_cbranch_execz .LBB8_1202
; %bb.1188:                             ;   in Loop: Header=BB8_662 Depth=1
	s_and_saveexec_b32 s12, s4
	s_cbranch_execz .LBB8_1201
; %bb.1189:                             ;   in Loop: Header=BB8_662 Depth=1
	s_mov_b32 s14, exec_lo
	s_mov_b32 s13, exec_lo
	v_mbcnt_lo_u32_b32 v10, s14, 0
	global_wb scope:SCOPE_DEV
	s_wait_storecnt 0x0
	s_wait_loadcnt_dscnt 0x0
	global_inv scope:SCOPE_DEV
	v_cmpx_eq_u32_e32 0, v10
	s_cbranch_execz .LBB8_1191
; %bb.1190:                             ;   in Loop: Header=BB8_662 Depth=1
	s_bcnt1_i32_b32 s14, s14
	s_delay_alu instid0(SALU_CYCLE_1)
	v_mov_b32_e32 v86, s14
	s_wait_loadcnt 0x0
	ds_add_u64 v0, v[86:87]
	s_trap 2
.LBB8_1191:                             ;   in Loop: Header=BB8_662 Depth=1
	s_or_b32 exec_lo, exec_lo, s13
	s_trap 2
	ds_load_b64 v[10:11], v0
	s_wait_dscnt 0x0
	v_add_nc_u64_e32 v[80:81], v[80:81], v[84:85]
	s_mov_b32 s13, exec_lo
	s_delay_alu instid0(VALU_DEP_1)
	v_cmpx_lt_u64_e64 v[10:11], v[80:81]
	s_cbranch_execz .LBB8_1200
; %bb.1192:                             ;   in Loop: Header=BB8_662 Depth=1
	s_mov_b32 s14, 0
	s_mov_b32 s29, 0
                                        ; implicit-def: $sgpr15
                                        ; implicit-def: $sgpr28
	s_branch .LBB8_1194
.LBB8_1193:                             ;   in Loop: Header=BB8_1194 Depth=2
	s_or_b32 exec_lo, exec_lo, s41
	s_delay_alu instid0(SALU_CYCLE_1) | instskip(NEXT) | instid1(SALU_CYCLE_1)
	s_and_b32 s40, exec_lo, s42
	s_or_b32 s14, s40, s14
	s_and_not1_b32 s15, s15, exec_lo
	s_and_b32 s40, s28, exec_lo
	s_delay_alu instid0(SALU_CYCLE_1)
	s_or_b32 s15, s15, s40
	s_and_not1_b32 exec_lo, exec_lo, s14
	s_cbranch_execz .LBB8_1198
.LBB8_1194:                             ;   Parent Loop BB8_662 Depth=1
                                        ; =>  This Inner Loop Header: Depth=2
	s_add_co_i32 s29, s29, 1
	s_delay_alu instid0(SALU_CYCLE_1) | instskip(SKIP_1) | instid1(SALU_CYCLE_1)
	s_cmp_lg_u32 s29, 0x2710
	s_cselect_b32 s40, -1, 0
	s_and_b32 vcc_lo, exec_lo, s40
	s_cbranch_vccz .LBB8_1196
; %bb.1195:                             ;   in Loop: Header=BB8_1194 Depth=2
	s_mov_b32 s42, -1
	s_or_b32 s28, s28, exec_lo
	s_and_saveexec_b32 s41, s40
	s_cbranch_execz .LBB8_1193
	s_branch .LBB8_1197
.LBB8_1196:                             ;   in Loop: Header=BB8_1194 Depth=2
	s_trap 2
	ds_load_b64 v[10:11], v0
	s_and_not1_b32 s40, s40, exec_lo
	s_mov_b32 s29, 0
	s_wait_loadcnt_dscnt 0x0
	flat_load_b32 v10, v[10:11] scope:SCOPE_SYS
	s_wait_loadcnt_dscnt 0x0
	global_inv scope:SCOPE_SYS
	v_cmp_eq_u32_e32 vcc_lo, 0, v10
	s_and_b32 s41, vcc_lo, exec_lo
	s_delay_alu instid0(SALU_CYCLE_1)
	s_or_b32 s40, s40, s41
	s_mov_b32 s42, -1
	s_or_b32 s28, s28, exec_lo
	s_and_saveexec_b32 s41, s40
	s_cbranch_execz .LBB8_1193
.LBB8_1197:                             ;   in Loop: Header=BB8_1194 Depth=2
	s_sleep 1
	s_trap 2
	ds_load_b64 v[10:11], v0
	s_wait_dscnt 0x0
	s_and_not1_b32 s28, s28, exec_lo
	v_cmp_ge_u64_e32 vcc_lo, v[10:11], v[80:81]
	s_or_not1_b32 s42, vcc_lo, exec_lo
	s_branch .LBB8_1193
.LBB8_1198:                             ;   in Loop: Header=BB8_662 Depth=1
	s_or_b32 exec_lo, exec_lo, s14
	s_and_saveexec_b32 s14, s15
	s_delay_alu instid0(SALU_CYCLE_1)
	s_xor_b32 s14, exec_lo, s14
	s_cbranch_execz .LBB8_1200
; %bb.1199:                             ;   in Loop: Header=BB8_662 Depth=1
	ds_store_b32 v0, v73
	s_trap 2
.LBB8_1200:                             ;   in Loop: Header=BB8_662 Depth=1
	s_or_b32 exec_lo, exec_lo, s13
	;;#ASMSTART
	s_wakeup
	;;#ASMEND
.LBB8_1201:                             ;   in Loop: Header=BB8_662 Depth=1
	s_or_b32 exec_lo, exec_lo, s12
.LBB8_1202:                             ;   in Loop: Header=BB8_662 Depth=1
	s_and_not1_saveexec_b32 s11, s11
	s_cbranch_execz .LBB8_1204
; %bb.1203:                             ;   in Loop: Header=BB8_662 Depth=1
	global_wb scope:SCOPE_DEV
	s_wait_storecnt 0x0
	s_wait_loadcnt_dscnt 0x0
	global_inv scope:SCOPE_DEV
	s_barrier_signal -1
	s_barrier_wait -1
.LBB8_1204:                             ;   in Loop: Header=BB8_662 Depth=1
	s_or_b32 exec_lo, exec_lo, s11
.LBB8_1205:                             ;   in Loop: Header=BB8_662 Depth=1
	s_delay_alu instid0(SALU_CYCLE_1) | instskip(SKIP_1) | instid1(VALU_DEP_1)
	s_or_b32 exec_lo, exec_lo, s10
	v_and_b32_e32 v10, 16, v30
	v_cmp_ne_u32_e32 vcc_lo, 0, v10
	s_and_b32 s10, vcc_lo, s7
	s_delay_alu instid0(SALU_CYCLE_1)
	s_and_saveexec_b32 s7, s10
	s_cbranch_execz .LBB8_1207
; %bb.1206:                             ;   in Loop: Header=BB8_662 Depth=1
	global_wb scope:SCOPE_SYS
	s_wait_storecnt 0x0
	s_wait_loadcnt_dscnt 0x0
	global_inv scope:SCOPE_SYS
.LBB8_1207:                             ;   in Loop: Header=BB8_662 Depth=1
	s_or_b32 exec_lo, exec_lo, s7
	v_and_b32_e32 v10, 32, v30
	s_mov_b32 s7, exec_lo
	s_delay_alu instid0(VALU_DEP_1)
	v_cmpx_ne_u32_e32 0, v10
	s_cbranch_execz .LBB8_1209
; %bb.1208:                             ;   in Loop: Header=BB8_662 Depth=1
	v_add_nc_u64_e32 v[8:9], 1, v[8:9]
	global_wb scope:SCOPE_SYS
	s_wait_storecnt 0x0
	s_wait_loadcnt_dscnt 0x0
	flat_store_b64 v[64:65], v[8:9] scope:SCOPE_SYS
.LBB8_1209:                             ;   in Loop: Header=BB8_662 Depth=1
	s_wait_xcnt 0x0
	s_or_b32 exec_lo, exec_lo, s7
	v_mov_b32_e32 v14, v41
.LBB8_1210:                             ;   in Loop: Header=BB8_662 Depth=1
	s_or_b32 exec_lo, exec_lo, s27
	s_and_saveexec_b32 s10, s26
	s_cbranch_execz .LBB8_661
; %bb.1211:                             ;   in Loop: Header=BB8_662 Depth=1
	v_and_b32_e32 v10, 4, v30
	s_mov_b32 s11, exec_lo
	s_delay_alu instid0(VALU_DEP_1)
	v_cmpx_ne_u32_e32 0, v10
	s_cbranch_execz .LBB8_1233
; %bb.1212:                             ;   in Loop: Header=BB8_662 Depth=1
	s_wait_dscnt 0x0
	v_add_nc_u64_e32 v[10:11], 1, v[8:9]
	s_mov_b32 s12, exec_lo
	s_wait_loadcnt 0x0
	s_delay_alu instid0(VALU_DEP_1)
	v_cmpx_lt_u64_e64 v[70:71], v[10:11]
	s_cbranch_execz .LBB8_1224
; %bb.1213:                             ;   in Loop: Header=BB8_662 Depth=1
	v_and_b32_e32 v9, 64, v30
	s_mov_b32 s13, 0
	s_mov_b32 s27, 0
                                        ; implicit-def: $sgpr14
                                        ; implicit-def: $sgpr15
                                        ; implicit-def: $sgpr26
	s_delay_alu instid0(VALU_DEP_1)
	v_cmp_eq_u32_e32 vcc_lo, 0, v9
	s_branch .LBB8_1217
.LBB8_1214:                             ;   in Loop: Header=BB8_1217 Depth=2
	s_wait_loadcnt_dscnt 0x0
	v_cmp_ge_u64_e64 s7, v[70:71], v[10:11]
	s_or_b32 s40, s40, exec_lo
	s_or_not1_b32 s29, s7, exec_lo
.LBB8_1215:                             ;   in Loop: Header=BB8_1217 Depth=2
	s_or_b32 exec_lo, exec_lo, s42
	s_delay_alu instid0(SALU_CYCLE_1)
	s_and_not1_b32 s7, s26, exec_lo
	s_and_b32 s26, s40, exec_lo
	s_and_not1_b32 s15, s15, exec_lo
	s_and_b32 s29, s29, exec_lo
	s_or_b32 s26, s7, s26
	s_or_b32 s15, s15, s29
.LBB8_1216:                             ;   in Loop: Header=BB8_1217 Depth=2
	s_or_b32 exec_lo, exec_lo, s28
	s_delay_alu instid0(SALU_CYCLE_1) | instskip(NEXT) | instid1(SALU_CYCLE_1)
	s_and_b32 s7, exec_lo, s15
	s_or_b32 s13, s7, s13
	s_and_not1_b32 s7, s14, exec_lo
	s_and_b32 s14, s26, exec_lo
	s_delay_alu instid0(SALU_CYCLE_1)
	s_or_b32 s14, s7, s14
	s_and_not1_b32 exec_lo, exec_lo, s13
	s_cbranch_execz .LBB8_1221
.LBB8_1217:                             ;   Parent Loop BB8_662 Depth=1
                                        ; =>  This Inner Loop Header: Depth=2
	s_sleep 1
	s_wait_loadcnt_dscnt 0x0
	flat_load_b64 v[70:71], v[64:65] scope:SCOPE_SYS
	s_or_b32 s26, s26, exec_lo
	s_or_b32 s15, s15, exec_lo
                                        ; implicit-def: $vgpr9
	s_wait_xcnt 0x0
	s_and_saveexec_b32 s28, vcc_lo
	s_cbranch_execz .LBB8_1216
; %bb.1218:                             ;   in Loop: Header=BB8_1217 Depth=2
	s_cmp_lt_i32 s27, 0x270f
	s_mov_b32 s29, -1
	s_cselect_b32 s41, -1, 0
	s_cmp_gt_i32 s27, 0x270e
	s_cbranch_scc0 .LBB8_1220
; %bb.1219:                             ;   in Loop: Header=BB8_1217 Depth=2
	s_trap 2
	ds_load_b64 v[12:13], v0
	s_and_not1_b32 s27, s41, exec_lo
	s_mov_b32 s40, 0
	s_wait_storecnt 0x0
	s_wait_loadcnt_dscnt 0x0
	flat_load_b32 v9, v[12:13] scope:SCOPE_SYS
	s_wait_loadcnt_dscnt 0x0
	global_inv scope:SCOPE_SYS
	v_cmp_eq_u32_e64 s7, 0, v9
	s_and_b32 s7, s7, exec_lo
	s_delay_alu instid0(SALU_CYCLE_1)
	s_or_b32 s41, s27, s7
	s_mov_b32 s27, 0
	s_and_saveexec_b32 s42, s41
	s_cbranch_execz .LBB8_1215
	s_branch .LBB8_1214
.LBB8_1220:                             ;   in Loop: Header=BB8_1217 Depth=2
	s_add_co_i32 s27, s27, 1
	s_mov_b32 s40, -1
                                        ; implicit-def: $vgpr9
	s_and_saveexec_b32 s42, s41
	s_cbranch_execz .LBB8_1215
	s_branch .LBB8_1214
.LBB8_1221:                             ;   in Loop: Header=BB8_662 Depth=1
	s_or_b32 exec_lo, exec_lo, s13
	s_xor_b32 s7, s14, -1
	s_delay_alu instid0(SALU_CYCLE_1) | instskip(NEXT) | instid1(SALU_CYCLE_1)
	s_and_saveexec_b32 s13, s7
	s_xor_b32 s7, exec_lo, s13
	s_cbranch_execz .LBB8_1223
; %bb.1222:                             ;   in Loop: Header=BB8_662 Depth=1
	v_or_b32_e32 v30, 64, v30
	s_wait_storecnt 0x0
	s_wait_loadcnt_dscnt 0x0
	ds_store_b32 v0, v9
	s_trap 2
.LBB8_1223:                             ;   in Loop: Header=BB8_662 Depth=1
	s_or_b32 exec_lo, exec_lo, s7
.LBB8_1224:                             ;   in Loop: Header=BB8_662 Depth=1
	s_delay_alu instid0(SALU_CYCLE_1) | instskip(SKIP_4) | instid1(VALU_DEP_2)
	s_or_b32 exec_lo, exec_lo, s12
	v_and_b32_e32 v9, 0x100, v30
	v_and_b32_e32 v86, 7, v8
	s_mov_b32 s7, -1
	;;#ASMSTART
	s_wakeup
	;;#ASMEND
	v_cmp_ne_u32_e32 vcc_lo, 0, v9
                                        ; implicit-def: $vgpr8_vgpr9
	s_and_saveexec_b32 s12, vcc_lo
	s_cbranch_execz .LBB8_1228
; %bb.1225:                             ;   in Loop: Header=BB8_662 Depth=1
	v_mad_nc_u64_u32 v[12:13], v86, 24, v[6:7]
	flat_load_b32 v8, v[12:13]
	s_wait_loadcnt_dscnt 0x0
	v_cmp_eq_u32_e64 s7, 1, v8
	v_cmp_ne_u32_e32 vcc_lo, 1, v8
                                        ; implicit-def: $vgpr8_vgpr9
	s_wait_xcnt 0x0
	s_and_saveexec_b32 s13, s7
	s_cbranch_execz .LBB8_1227
; %bb.1226:                             ;   in Loop: Header=BB8_662 Depth=1
	flat_load_b32 v8, v[12:13] offset:4 scope:SCOPE_SYS
	s_wait_loadcnt_dscnt 0x0
	v_ashrrev_i32_e32 v9, 31, v8
	s_delay_alu instid0(VALU_DEP_1)
	v_lshrrev_b64 v[8:9], 1, v[8:9]
.LBB8_1227:                             ;   in Loop: Header=BB8_662 Depth=1
	s_wait_xcnt 0x0
	s_or_b32 exec_lo, exec_lo, s13
	s_delay_alu instid0(SALU_CYCLE_1)
	s_or_not1_b32 s7, vcc_lo, exec_lo
.LBB8_1228:                             ;   in Loop: Header=BB8_662 Depth=1
	s_or_b32 exec_lo, exec_lo, s12
	s_and_saveexec_b32 s12, s7
; %bb.1229:                             ;   in Loop: Header=BB8_662 Depth=1
	v_mul_u64_e32 v[8:9], v[86:87], v[66:67]
; %bb.1230:                             ;   in Loop: Header=BB8_662 Depth=1
	s_or_b32 exec_lo, exec_lo, s12
	v_and_b32_e32 v12, 0x2000, v30
	s_delay_alu instid0(VALU_DEP_2)
	v_lshl_add_u64 v[8:9], v[8:9], 1, v[68:69]
	s_mov_b32 s7, exec_lo
	ds_store_b64 v0, v[8:9] offset:728
	v_cmpx_ne_u32_e32 0, v12
	s_cbranch_execz .LBB8_1232
; %bb.1231:                             ;   in Loop: Header=BB8_662 Depth=1
	ds_load_b64 v[8:9], v0 offset:872
	s_wait_dscnt 0x0
	v_add_nc_u64_e32 v[8:9], 1, v[8:9]
	ds_store_b64 v0, v[8:9] offset:872
.LBB8_1232:                             ;   in Loop: Header=BB8_662 Depth=1
	s_or_b32 exec_lo, exec_lo, s7
	v_mov_b64_e32 v[8:9], v[10:11]
.LBB8_1233:                             ;   in Loop: Header=BB8_662 Depth=1
	s_or_b32 exec_lo, exec_lo, s11
	s_and_saveexec_b32 s7, s2
	s_cbranch_execz .LBB8_1252
; %bb.1234:                             ;   in Loop: Header=BB8_662 Depth=1
	s_and_saveexec_b32 s11, s3
	s_delay_alu instid0(SALU_CYCLE_1)
	s_xor_b32 s11, exec_lo, s11
	s_cbranch_execz .LBB8_1249
; %bb.1235:                             ;   in Loop: Header=BB8_662 Depth=1
	s_and_saveexec_b32 s12, s4
	s_cbranch_execz .LBB8_1248
; %bb.1236:                             ;   in Loop: Header=BB8_662 Depth=1
	s_mov_b32 s14, exec_lo
	s_mov_b32 s13, exec_lo
	v_mbcnt_lo_u32_b32 v10, s14, 0
	global_wb scope:SCOPE_DEV
	s_wait_storecnt 0x0
	s_wait_loadcnt_dscnt 0x0
	global_inv scope:SCOPE_DEV
	v_cmpx_eq_u32_e32 0, v10
	s_cbranch_execz .LBB8_1238
; %bb.1237:                             ;   in Loop: Header=BB8_662 Depth=1
	s_bcnt1_i32_b32 s14, s14
	s_delay_alu instid0(SALU_CYCLE_1)
	v_mov_b32_e32 v86, s14
	s_wait_loadcnt 0x0
	ds_add_u64 v0, v[86:87]
	s_trap 2
.LBB8_1238:                             ;   in Loop: Header=BB8_662 Depth=1
	s_or_b32 exec_lo, exec_lo, s13
	s_trap 2
	ds_load_b64 v[10:11], v0
	s_wait_dscnt 0x0
	v_add_nc_u64_e32 v[80:81], v[80:81], v[84:85]
	s_mov_b32 s13, exec_lo
	s_delay_alu instid0(VALU_DEP_1)
	v_cmpx_lt_u64_e64 v[10:11], v[80:81]
	s_cbranch_execz .LBB8_1247
; %bb.1239:                             ;   in Loop: Header=BB8_662 Depth=1
	s_mov_b32 s14, 0
	s_mov_b32 s27, 0
                                        ; implicit-def: $sgpr15
                                        ; implicit-def: $sgpr26
	s_branch .LBB8_1241
.LBB8_1240:                             ;   in Loop: Header=BB8_1241 Depth=2
	s_or_b32 exec_lo, exec_lo, s29
	s_delay_alu instid0(SALU_CYCLE_1) | instskip(NEXT) | instid1(SALU_CYCLE_1)
	s_and_b32 s28, exec_lo, s40
	s_or_b32 s14, s28, s14
	s_and_not1_b32 s15, s15, exec_lo
	s_and_b32 s28, s26, exec_lo
	s_delay_alu instid0(SALU_CYCLE_1)
	s_or_b32 s15, s15, s28
	s_and_not1_b32 exec_lo, exec_lo, s14
	s_cbranch_execz .LBB8_1245
.LBB8_1241:                             ;   Parent Loop BB8_662 Depth=1
                                        ; =>  This Inner Loop Header: Depth=2
	s_add_co_i32 s27, s27, 1
	s_delay_alu instid0(SALU_CYCLE_1) | instskip(SKIP_1) | instid1(SALU_CYCLE_1)
	s_cmp_lg_u32 s27, 0x2710
	s_cselect_b32 s28, -1, 0
	s_and_b32 vcc_lo, exec_lo, s28
	s_cbranch_vccz .LBB8_1243
; %bb.1242:                             ;   in Loop: Header=BB8_1241 Depth=2
	s_mov_b32 s40, -1
	s_or_b32 s26, s26, exec_lo
	s_and_saveexec_b32 s29, s28
	s_cbranch_execz .LBB8_1240
	s_branch .LBB8_1244
.LBB8_1243:                             ;   in Loop: Header=BB8_1241 Depth=2
	s_trap 2
	ds_load_b64 v[10:11], v0
	s_and_not1_b32 s28, s28, exec_lo
	s_mov_b32 s27, 0
	s_wait_loadcnt_dscnt 0x0
	flat_load_b32 v10, v[10:11] scope:SCOPE_SYS
	s_wait_loadcnt_dscnt 0x0
	global_inv scope:SCOPE_SYS
	v_cmp_eq_u32_e32 vcc_lo, 0, v10
	s_and_b32 s29, vcc_lo, exec_lo
	s_delay_alu instid0(SALU_CYCLE_1)
	s_or_b32 s28, s28, s29
	s_mov_b32 s40, -1
	s_or_b32 s26, s26, exec_lo
	s_and_saveexec_b32 s29, s28
	s_cbranch_execz .LBB8_1240
.LBB8_1244:                             ;   in Loop: Header=BB8_1241 Depth=2
	s_sleep 1
	s_trap 2
	ds_load_b64 v[10:11], v0
	s_wait_dscnt 0x0
	s_and_not1_b32 s26, s26, exec_lo
	v_cmp_ge_u64_e32 vcc_lo, v[10:11], v[80:81]
	s_or_not1_b32 s40, vcc_lo, exec_lo
	s_branch .LBB8_1240
.LBB8_1245:                             ;   in Loop: Header=BB8_662 Depth=1
	s_or_b32 exec_lo, exec_lo, s14
	s_and_saveexec_b32 s14, s15
	s_delay_alu instid0(SALU_CYCLE_1)
	s_xor_b32 s14, exec_lo, s14
	s_cbranch_execz .LBB8_1247
; %bb.1246:                             ;   in Loop: Header=BB8_662 Depth=1
	ds_store_b32 v0, v73
	s_trap 2
.LBB8_1247:                             ;   in Loop: Header=BB8_662 Depth=1
	s_or_b32 exec_lo, exec_lo, s13
	;;#ASMSTART
	s_wakeup
	;;#ASMEND
.LBB8_1248:                             ;   in Loop: Header=BB8_662 Depth=1
	s_or_b32 exec_lo, exec_lo, s12
.LBB8_1249:                             ;   in Loop: Header=BB8_662 Depth=1
	s_and_not1_saveexec_b32 s11, s11
	s_cbranch_execz .LBB8_1251
; %bb.1250:                             ;   in Loop: Header=BB8_662 Depth=1
	global_wb scope:SCOPE_DEV
	s_wait_storecnt 0x0
	s_wait_loadcnt_dscnt 0x0
	global_inv scope:SCOPE_DEV
	s_barrier_signal -1
	s_barrier_wait -1
.LBB8_1251:                             ;   in Loop: Header=BB8_662 Depth=1
	s_or_b32 exec_lo, exec_lo, s11
.LBB8_1252:                             ;   in Loop: Header=BB8_662 Depth=1
	s_delay_alu instid0(SALU_CYCLE_1) | instskip(SKIP_3) | instid1(VALU_DEP_1)
	s_or_b32 exec_lo, exec_lo, s7
	s_trap 2
	ds_load_b32 v10, v0
	v_sub_nc_u32_e32 v11, v40, v14
	v_min_i32_e32 v11, v41, v11
	s_delay_alu instid0(VALU_DEP_1) | instskip(SKIP_4) | instid1(VALU_DEP_1)
	v_cmp_lt_i32_e32 vcc_lo, 0, v11
	s_wait_dscnt 0x0
	v_readfirstlane_b32 s7, v10
	v_and_b32_e32 v10, 16, v30
	s_cmp_eq_u32 s7, 0
	v_cmp_ne_u32_e64 s7, 0, v10
	s_cselect_b32 s11, -1, 0
	s_delay_alu instid0(SALU_CYCLE_1) | instskip(NEXT) | instid1(SALU_CYCLE_1)
	s_and_b32 s11, vcc_lo, s11
	s_and_b32 s11, s7, s11
	s_delay_alu instid0(SALU_CYCLE_1)
	s_and_saveexec_b32 s7, s11
	s_cbranch_execz .LBB8_1254
; %bb.1253:                             ;   in Loop: Header=BB8_662 Depth=1
	global_wb scope:SCOPE_SYS
	s_wait_loadcnt 0x0
	s_wait_storecnt 0x0
	global_inv scope:SCOPE_SYS
.LBB8_1254:                             ;   in Loop: Header=BB8_662 Depth=1
	s_or_b32 exec_lo, exec_lo, s7
	v_and_b32_e32 v10, 32, v30
	s_mov_b32 s7, exec_lo
	s_delay_alu instid0(VALU_DEP_1)
	v_cmpx_ne_u32_e32 0, v10
	s_cbranch_execz .LBB8_660
; %bb.1255:                             ;   in Loop: Header=BB8_662 Depth=1
	v_add_nc_u64_e32 v[8:9], 1, v[8:9]
	global_wb scope:SCOPE_SYS
	s_wait_loadcnt 0x0
	s_wait_storecnt 0x0
	flat_store_b64 v[64:65], v[8:9] scope:SCOPE_SYS
	s_branch .LBB8_660
.LBB8_1256:
	s_or_b32 exec_lo, exec_lo, s22
.LBB8_1257:
	s_delay_alu instid0(SALU_CYCLE_1)
	s_or_b32 exec_lo, exec_lo, s20
.LBB8_1258:
	s_delay_alu instid0(SALU_CYCLE_1)
	s_or_b32 exec_lo, exec_lo, s19
                                        ; implicit-def: $vgpr52_vgpr53
                                        ; implicit-def: $vgpr4_vgpr5
                                        ; implicit-def: $vgpr84_vgpr85
                                        ; implicit-def: $vgpr66
                                        ; implicit-def: $vgpr70_vgpr71
                                        ; implicit-def: $vgpr68_vgpr69
                                        ; implicit-def: $vgpr64_vgpr65
                                        ; implicit-def: $vgpr0
                                        ; implicit-def: $vgpr15
                                        ; implicit-def: $vgpr82_vgpr83
.LBB8_1259:
	s_and_not1_saveexec_b32 s11, s18
	s_cbranch_execz .LBB8_1464
; %bb.1260:
	v_mov_b64_e32 v[80:81], 0
	s_mov_b32 s12, exec_lo
	v_cmpx_ne_u64_e32 0, v[4:5]
	s_cbranch_execz .LBB8_1463
; %bb.1261:
	v_dual_mov_b32 v97, 0 :: v_dual_lshrrev_b32 v86, 5, v1
	v_dual_ashrrev_i32 v67, 31, v66 :: v_dual_bitop2_b32 v73, 31, v0 bitop3:0x40
	s_delay_alu instid0(VALU_DEP_2) | instskip(NEXT) | instid1(VALU_DEP_3)
	v_dual_lshlrev_b32 v74, 9, v86 :: v_dual_bitop2_b32 v10, 31, v31 bitop3:0x40
	v_dual_lshlrev_b32 v75, 6, v86 :: v_dual_mov_b32 v87, v97
	v_lshl_add_u32 v98, v86, 11, 0xfffff800
	s_delay_alu instid0(VALU_DEP_3) | instskip(NEXT) | instid1(VALU_DEP_4)
	v_cmp_eq_u32_e64 s4, 0, v10
	v_dual_mov_b32 v113, v97 :: v_dual_add_nc_u32 v100, 0xfffffe00, v74
	s_delay_alu instid0(VALU_DEP_4) | instskip(NEXT) | instid1(VALU_DEP_4)
	v_subrev_nc_u32_e32 v102, 64, v75
	v_dual_ashrrev_i32 v99, 31, v98 :: v_dual_lshrrev_b32 v76, 5, v0
	s_delay_alu instid0(VALU_DEP_3) | instskip(NEXT) | instid1(VALU_DEP_3)
	v_dual_lshlrev_b32 v10, 4, v73 :: v_dual_ashrrev_i32 v101, 31, v100
	v_dual_ashrrev_i32 v103, 31, v102 :: v_dual_mov_b32 v77, 1
	s_lshr_b32 s2, s17, 27
	v_cmp_eq_u32_e32 vcc_lo, 32, v1
	v_add_nc_u64_e32 v[114:115], 0x800, v[98:99]
	v_add_nc_u64_e32 v[116:117], 0x200, v[100:101]
	;; [unrolled: 1-line block ×3, first 2 shown]
	v_mov_b64_e32 v[40:41], 0
	s_wait_dscnt 0x1
	v_cmp_ne_u64_e64 s7, 0, v[84:85]
	v_mov_b64_e32 v[42:43], 0
	v_mov_b64_e32 v[80:81], 0
	v_cmp_ge_u32_e64 s1, v0, v1
	s_add_co_i32 s17, s17, s2
	v_cmp_ne_u32_e64 s2, 32, v1
	v_cmp_ne_u32_e64 s3, v1, v72
	v_cmp_eq_u32_e64 s5, 0, v73
	v_cmp_lt_u32_e64 s6, v73, v15
	v_lshl_or_b32 v112, v76, 11, v10
	s_ashr_i32 s14, s17, 5
	s_mov_b32 s13, 0
	s_xor_b32 s15, vcc_lo, -1
	s_trap 2
	s_branch .LBB8_1265
.LBB8_1262:                             ;   in Loop: Header=BB8_1265 Depth=1
	s_wait_xcnt 0x0
	s_or_b32 exec_lo, exec_lo, s17
	v_add_nc_u64_e32 v[8:9], 1, v[8:9]
	global_wb scope:SCOPE_SYS
	s_wait_storecnt 0x0
	s_wait_loadcnt_dscnt 0x0
	flat_store_b64 v[64:65], v[8:9] scope:SCOPE_SYS
.LBB8_1263:                             ;   in Loop: Header=BB8_1265 Depth=1
	s_wait_xcnt 0x0
	s_or_b32 exec_lo, exec_lo, s10
.LBB8_1264:                             ;   in Loop: Header=BB8_1265 Depth=1
	s_delay_alu instid0(SALU_CYCLE_1) | instskip(SKIP_1) | instid1(VALU_DEP_1)
	s_or_b32 exec_lo, exec_lo, s18
	v_add_nc_u64_e32 v[42:43], v[42:43], v[82:83]
	v_cmp_ge_u64_e32 vcc_lo, v[42:43], v[4:5]
	s_or_b32 s13, vcc_lo, s13
	s_delay_alu instid0(SALU_CYCLE_1)
	s_and_not1_b32 exec_lo, exec_lo, s13
	s_cbranch_execz .LBB8_1462
.LBB8_1265:                             ; =>This Loop Header: Depth=1
                                        ;     Child Loop BB8_1274 Depth 2
                                        ;     Child Loop BB8_1298 Depth 2
	;; [unrolled: 1-line block ×10, first 2 shown]
	v_sub_nc_u64_e32 v[10:11], v[4:5], v[42:43]
	s_delay_alu instid0(VALU_DEP_1) | instskip(NEXT) | instid1(VALU_DEP_1)
	v_min_u64 v[44:45], v[82:83], v[10:11]
	v_add_nc_u32_e32 v10, 15, v44
	s_delay_alu instid0(VALU_DEP_2) | instskip(NEXT) | instid1(VALU_DEP_2)
	v_cmp_eq_u64_e32 vcc_lo, 0, v[44:45]
	v_and_b32_e32 v10, 0x3ffffff0, v10
	s_or_b32 s17, s1, vcc_lo
	s_delay_alu instid0(SALU_CYCLE_1) | instskip(NEXT) | instid1(VALU_DEP_1)
	s_xor_b32 s10, s17, -1
	v_dual_mov_b32 v10, 0 :: v_dual_max_i32 v45, s14, v10
	s_and_saveexec_b32 s18, s10
	s_cbranch_execz .LBB8_1413
; %bb.1266:                             ;   in Loop: Header=BB8_1265 Depth=1
	s_and_saveexec_b32 s10, s0
	s_cbranch_execz .LBB8_1268
; %bb.1267:                             ;   in Loop: Header=BB8_1265 Depth=1
	s_trap 2
	ds_load_b64 v[10:11], v0
	s_wait_dscnt 0x0
	v_lshl_add_u64 v[10:11], v[52:53], 1, v[10:11]
	s_delay_alu instid0(VALU_DEP_1)
	v_lshl_add_u64 v[10:11], v[42:43], 1, v[10:11]
	ds_store_b64 v0, v[10:11]
	ds_store_b64 v0, v[40:41]
.LBB8_1268:                             ;   in Loop: Header=BB8_1265 Depth=1
	s_or_b32 exec_lo, exec_lo, s10
	v_and_b32_e32 v10, 8, v30
	v_min_u32_e32 v45, v45, v44
	s_mov_b32 s19, exec_lo
	s_delay_alu instid0(VALU_DEP_2)
	v_cmpx_ne_u32_e32 0, v10
	s_cbranch_execz .LBB8_1290
; %bb.1269:                             ;   in Loop: Header=BB8_1265 Depth=1
	s_wait_loadcnt 0x0
	v_add_nc_u64_e32 v[12:13], 8, v[70:71]
	s_wait_dscnt 0x0
	v_add_nc_u64_e32 v[10:11], 1, v[8:9]
	s_mov_b32 s20, exec_lo
	s_delay_alu instid0(VALU_DEP_1)
	v_cmpx_lt_u64_e64 v[12:13], v[10:11]
	s_cbranch_execz .LBB8_1281
; %bb.1270:                             ;   in Loop: Header=BB8_1265 Depth=1
	v_and_b32_e32 v9, 64, v30
	s_mov_b32 s21, 0
	s_mov_b32 s25, 0
                                        ; implicit-def: $sgpr22
                                        ; implicit-def: $sgpr23
                                        ; implicit-def: $sgpr24
	s_delay_alu instid0(VALU_DEP_1)
	v_cmp_eq_u32_e32 vcc_lo, 0, v9
	s_branch .LBB8_1274
.LBB8_1271:                             ;   in Loop: Header=BB8_1274 Depth=2
	s_wait_loadcnt_dscnt 0x0
	v_add_nc_u64_e32 v[12:13], 8, v[70:71]
	s_or_b32 s28, s28, exec_lo
	s_delay_alu instid0(VALU_DEP_1)
	v_cmp_ge_u64_e64 s10, v[12:13], v[10:11]
	s_or_not1_b32 s27, s10, exec_lo
.LBB8_1272:                             ;   in Loop: Header=BB8_1274 Depth=2
	s_or_b32 exec_lo, exec_lo, s40
	s_delay_alu instid0(SALU_CYCLE_1)
	s_and_not1_b32 s10, s24, exec_lo
	s_and_b32 s24, s28, exec_lo
	s_and_not1_b32 s23, s23, exec_lo
	s_and_b32 s27, s27, exec_lo
	s_or_b32 s24, s10, s24
	s_or_b32 s23, s23, s27
.LBB8_1273:                             ;   in Loop: Header=BB8_1274 Depth=2
	s_or_b32 exec_lo, exec_lo, s26
	s_delay_alu instid0(SALU_CYCLE_1) | instskip(NEXT) | instid1(SALU_CYCLE_1)
	s_and_b32 s10, exec_lo, s23
	s_or_b32 s21, s10, s21
	s_and_not1_b32 s10, s22, exec_lo
	s_and_b32 s22, s24, exec_lo
	s_delay_alu instid0(SALU_CYCLE_1)
	s_or_b32 s22, s10, s22
	s_and_not1_b32 exec_lo, exec_lo, s21
	s_cbranch_execz .LBB8_1278
.LBB8_1274:                             ;   Parent Loop BB8_1265 Depth=1
                                        ; =>  This Inner Loop Header: Depth=2
	s_sleep 1
	s_wait_loadcnt_dscnt 0x0
	flat_load_b64 v[70:71], v[64:65] scope:SCOPE_SYS
	s_or_b32 s24, s24, exec_lo
	s_or_b32 s23, s23, exec_lo
                                        ; implicit-def: $vgpr9
	s_wait_xcnt 0x0
	s_and_saveexec_b32 s26, vcc_lo
	s_cbranch_execz .LBB8_1273
; %bb.1275:                             ;   in Loop: Header=BB8_1274 Depth=2
	s_cmp_lt_i32 s25, 0x270f
	s_mov_b32 s27, -1
	s_cselect_b32 s29, -1, 0
	s_cmp_gt_i32 s25, 0x270e
	s_cbranch_scc0 .LBB8_1277
; %bb.1276:                             ;   in Loop: Header=BB8_1274 Depth=2
	s_trap 2
	ds_load_b64 v[12:13], v0
	s_and_not1_b32 s25, s29, exec_lo
	s_mov_b32 s28, 0
	s_wait_storecnt 0x0
	s_wait_loadcnt_dscnt 0x0
	flat_load_b32 v9, v[12:13] scope:SCOPE_SYS
	s_wait_loadcnt_dscnt 0x0
	global_inv scope:SCOPE_SYS
	v_cmp_eq_u32_e64 s10, 0, v9
	s_and_b32 s10, s10, exec_lo
	s_delay_alu instid0(SALU_CYCLE_1)
	s_or_b32 s29, s25, s10
	s_mov_b32 s25, 0
	s_wait_xcnt 0x0
	s_and_saveexec_b32 s40, s29
	s_cbranch_execz .LBB8_1272
	s_branch .LBB8_1271
.LBB8_1277:                             ;   in Loop: Header=BB8_1274 Depth=2
	s_add_co_i32 s25, s25, 1
	s_mov_b32 s28, -1
                                        ; implicit-def: $vgpr9
	s_and_saveexec_b32 s40, s29
	s_cbranch_execz .LBB8_1272
	s_branch .LBB8_1271
.LBB8_1278:                             ;   in Loop: Header=BB8_1265 Depth=1
	s_or_b32 exec_lo, exec_lo, s21
	s_xor_b32 s10, s22, -1
	s_delay_alu instid0(SALU_CYCLE_1) | instskip(NEXT) | instid1(SALU_CYCLE_1)
	s_and_saveexec_b32 s21, s10
	s_xor_b32 s10, exec_lo, s21
	s_cbranch_execz .LBB8_1280
; %bb.1279:                             ;   in Loop: Header=BB8_1265 Depth=1
	v_or_b32_e32 v30, 64, v30
	s_wait_storecnt 0x0
	s_wait_loadcnt_dscnt 0x0
	ds_store_b32 v0, v9
	s_trap 2
.LBB8_1280:                             ;   in Loop: Header=BB8_1265 Depth=1
	s_or_b32 exec_lo, exec_lo, s10
.LBB8_1281:                             ;   in Loop: Header=BB8_1265 Depth=1
	s_delay_alu instid0(SALU_CYCLE_1) | instskip(SKIP_4) | instid1(VALU_DEP_2)
	s_or_b32 exec_lo, exec_lo, s20
	v_and_b32_e32 v9, 0x100, v30
	v_and_b32_e32 v96, 7, v8
	s_mov_b32 s10, -1
	;;#ASMSTART
	s_wakeup
	;;#ASMEND
	v_cmp_ne_u32_e32 vcc_lo, 0, v9
                                        ; implicit-def: $vgpr8_vgpr9
	s_and_saveexec_b32 s20, vcc_lo
	s_cbranch_execz .LBB8_1285
; %bb.1282:                             ;   in Loop: Header=BB8_1265 Depth=1
	v_mad_nc_u64_u32 v[12:13], v96, 24, v[6:7]
	v_dual_mov_b32 v9, v97 :: v_dual_lshlrev_b32 v8, 1, v45
	s_mov_b32 s21, exec_lo
	s_clause 0x1
	flat_load_b32 v14, v[12:13]
	flat_store_b64 v[12:13], v[8:9] offset:8
                                        ; implicit-def: $vgpr8_vgpr9
	s_wait_loadcnt_dscnt 0x1
	v_cmp_ne_u32_e32 vcc_lo, 1, v14
	s_wait_xcnt 0x0
	v_cmpx_eq_u32_e32 1, v14
	s_cbranch_execz .LBB8_1284
; %bb.1283:                             ;   in Loop: Header=BB8_1265 Depth=1
	flat_load_b32 v8, v[12:13] offset:4 scope:SCOPE_SYS
	s_wait_loadcnt_dscnt 0x0
	v_ashrrev_i32_e32 v9, 31, v8
	s_delay_alu instid0(VALU_DEP_1)
	v_lshrrev_b64 v[8:9], 1, v[8:9]
.LBB8_1284:                             ;   in Loop: Header=BB8_1265 Depth=1
	s_wait_xcnt 0x0
	s_or_b32 exec_lo, exec_lo, s21
	s_delay_alu instid0(SALU_CYCLE_1)
	s_or_not1_b32 s10, vcc_lo, exec_lo
.LBB8_1285:                             ;   in Loop: Header=BB8_1265 Depth=1
	s_or_b32 exec_lo, exec_lo, s20
	s_and_saveexec_b32 s20, s10
; %bb.1286:                             ;   in Loop: Header=BB8_1265 Depth=1
	v_mul_u64_e32 v[8:9], v[96:97], v[66:67]
; %bb.1287:                             ;   in Loop: Header=BB8_1265 Depth=1
	s_or_b32 exec_lo, exec_lo, s20
	v_and_b32_e32 v12, 0x2000, v30
	s_delay_alu instid0(VALU_DEP_2)
	v_lshl_add_u64 v[8:9], v[8:9], 1, v[68:69]
	s_mov_b32 s10, exec_lo
	ds_store_b64 v0, v[8:9] offset:784
	v_cmpx_ne_u32_e32 0, v12
	s_cbranch_execz .LBB8_1289
; %bb.1288:                             ;   in Loop: Header=BB8_1265 Depth=1
	ds_load_b64 v[8:9], v0 offset:872
	s_wait_dscnt 0x0
	v_add_nc_u64_e32 v[8:9], 1, v[8:9]
	ds_store_b64 v0, v[8:9] offset:872
.LBB8_1289:                             ;   in Loop: Header=BB8_1265 Depth=1
	s_or_b32 exec_lo, exec_lo, s10
	v_mov_b64_e32 v[8:9], v[10:11]
.LBB8_1290:                             ;   in Loop: Header=BB8_1265 Depth=1
	s_or_b32 exec_lo, exec_lo, s19
	s_and_saveexec_b32 s10, s2
	s_cbranch_execz .LBB8_1309
; %bb.1291:                             ;   in Loop: Header=BB8_1265 Depth=1
	s_and_saveexec_b32 s19, s3
	s_delay_alu instid0(SALU_CYCLE_1)
	s_xor_b32 s19, exec_lo, s19
	s_cbranch_execz .LBB8_1306
; %bb.1292:                             ;   in Loop: Header=BB8_1265 Depth=1
	s_and_saveexec_b32 s20, s4
	s_cbranch_execz .LBB8_1305
; %bb.1293:                             ;   in Loop: Header=BB8_1265 Depth=1
	s_mov_b32 s22, exec_lo
	s_mov_b32 s21, exec_lo
	v_mbcnt_lo_u32_b32 v10, s22, 0
	global_wb scope:SCOPE_DEV
	s_wait_storecnt 0x0
	s_wait_loadcnt_dscnt 0x0
	global_inv scope:SCOPE_DEV
	v_cmpx_eq_u32_e32 0, v10
	s_cbranch_execz .LBB8_1295
; %bb.1294:                             ;   in Loop: Header=BB8_1265 Depth=1
	s_bcnt1_i32_b32 s22, s22
	s_delay_alu instid0(SALU_CYCLE_1)
	v_mov_b32_e32 v96, s22
	s_wait_loadcnt 0x0
	ds_add_u64 v0, v[96:97]
	s_trap 2
.LBB8_1295:                             ;   in Loop: Header=BB8_1265 Depth=1
	s_or_b32 exec_lo, exec_lo, s21
	s_trap 2
	ds_load_b64 v[10:11], v0
	s_wait_dscnt 0x0
	v_add_nc_u64_e32 v[80:81], v[80:81], v[86:87]
	s_mov_b32 s21, exec_lo
	s_delay_alu instid0(VALU_DEP_1)
	v_cmpx_lt_u64_e64 v[10:11], v[80:81]
	s_cbranch_execz .LBB8_1304
; %bb.1296:                             ;   in Loop: Header=BB8_1265 Depth=1
	s_mov_b32 s22, 0
	s_mov_b32 s25, 0
                                        ; implicit-def: $sgpr23
                                        ; implicit-def: $sgpr24
	s_branch .LBB8_1298
.LBB8_1297:                             ;   in Loop: Header=BB8_1298 Depth=2
	s_or_b32 exec_lo, exec_lo, s27
	s_delay_alu instid0(SALU_CYCLE_1) | instskip(NEXT) | instid1(SALU_CYCLE_1)
	s_and_b32 s26, exec_lo, s28
	s_or_b32 s22, s26, s22
	s_and_not1_b32 s23, s23, exec_lo
	s_and_b32 s26, s24, exec_lo
	s_delay_alu instid0(SALU_CYCLE_1)
	s_or_b32 s23, s23, s26
	s_and_not1_b32 exec_lo, exec_lo, s22
	s_cbranch_execz .LBB8_1302
.LBB8_1298:                             ;   Parent Loop BB8_1265 Depth=1
                                        ; =>  This Inner Loop Header: Depth=2
	s_add_co_i32 s25, s25, 1
	s_delay_alu instid0(SALU_CYCLE_1) | instskip(SKIP_1) | instid1(SALU_CYCLE_1)
	s_cmp_lg_u32 s25, 0x2710
	s_cselect_b32 s26, -1, 0
	s_and_b32 vcc_lo, exec_lo, s26
	s_cbranch_vccz .LBB8_1300
; %bb.1299:                             ;   in Loop: Header=BB8_1298 Depth=2
	s_mov_b32 s28, -1
	s_or_b32 s24, s24, exec_lo
	s_and_saveexec_b32 s27, s26
	s_cbranch_execz .LBB8_1297
	s_branch .LBB8_1301
.LBB8_1300:                             ;   in Loop: Header=BB8_1298 Depth=2
	s_trap 2
	ds_load_b64 v[10:11], v0
	s_and_not1_b32 s26, s26, exec_lo
	s_mov_b32 s25, 0
	s_wait_loadcnt_dscnt 0x0
	flat_load_b32 v10, v[10:11] scope:SCOPE_SYS
	s_wait_loadcnt_dscnt 0x0
	global_inv scope:SCOPE_SYS
	v_cmp_eq_u32_e32 vcc_lo, 0, v10
	s_and_b32 s27, vcc_lo, exec_lo
	s_delay_alu instid0(SALU_CYCLE_1)
	s_or_b32 s26, s26, s27
	s_mov_b32 s28, -1
	s_or_b32 s24, s24, exec_lo
	s_wait_xcnt 0x0
	s_and_saveexec_b32 s27, s26
	s_cbranch_execz .LBB8_1297
.LBB8_1301:                             ;   in Loop: Header=BB8_1298 Depth=2
	s_sleep 1
	s_trap 2
	ds_load_b64 v[10:11], v0
	s_wait_dscnt 0x0
	s_and_not1_b32 s24, s24, exec_lo
	v_cmp_ge_u64_e32 vcc_lo, v[10:11], v[80:81]
	s_or_not1_b32 s28, vcc_lo, exec_lo
	s_branch .LBB8_1297
.LBB8_1302:                             ;   in Loop: Header=BB8_1265 Depth=1
	s_or_b32 exec_lo, exec_lo, s22
	s_and_saveexec_b32 s22, s23
	s_delay_alu instid0(SALU_CYCLE_1)
	s_xor_b32 s22, exec_lo, s22
	s_cbranch_execz .LBB8_1304
; %bb.1303:                             ;   in Loop: Header=BB8_1265 Depth=1
	ds_store_b32 v0, v77
	s_trap 2
.LBB8_1304:                             ;   in Loop: Header=BB8_1265 Depth=1
	s_or_b32 exec_lo, exec_lo, s21
	;;#ASMSTART
	s_wakeup
	;;#ASMEND
.LBB8_1305:                             ;   in Loop: Header=BB8_1265 Depth=1
	s_or_b32 exec_lo, exec_lo, s20
.LBB8_1306:                             ;   in Loop: Header=BB8_1265 Depth=1
	s_and_not1_saveexec_b32 s19, s19
	s_cbranch_execz .LBB8_1308
; %bb.1307:                             ;   in Loop: Header=BB8_1265 Depth=1
	global_wb scope:SCOPE_DEV
	s_wait_storecnt 0x0
	s_wait_loadcnt_dscnt 0x0
	global_inv scope:SCOPE_DEV
	s_barrier_signal -1
	s_barrier_wait -1
.LBB8_1308:                             ;   in Loop: Header=BB8_1265 Depth=1
	s_or_b32 exec_lo, exec_lo, s19
.LBB8_1309:                             ;   in Loop: Header=BB8_1265 Depth=1
	s_delay_alu instid0(SALU_CYCLE_1) | instskip(SKIP_3) | instid1(VALU_DEP_1)
	s_or_b32 exec_lo, exec_lo, s10
	s_trap 2
	ds_load_b32 v10, v0
	v_and_b32_e32 v11, 0x4000, v30
	v_cmp_ne_u32_e32 vcc_lo, 0, v11
	s_and_b32 s19, s15, vcc_lo
	s_delay_alu instid0(SALU_CYCLE_1)
	s_and_saveexec_b32 s10, s19
	s_cbranch_execz .LBB8_1328
; %bb.1310:                             ;   in Loop: Header=BB8_1265 Depth=1
	s_and_saveexec_b32 s19, s3
	s_delay_alu instid0(SALU_CYCLE_1)
	s_xor_b32 s19, exec_lo, s19
	s_cbranch_execz .LBB8_1325
; %bb.1311:                             ;   in Loop: Header=BB8_1265 Depth=1
	s_and_saveexec_b32 s20, s4
	s_cbranch_execz .LBB8_1324
; %bb.1312:                             ;   in Loop: Header=BB8_1265 Depth=1
	s_mov_b32 s22, exec_lo
	s_mov_b32 s21, exec_lo
	v_mbcnt_lo_u32_b32 v11, s22, 0
	global_wb scope:SCOPE_DEV
	s_wait_storecnt 0x0
	s_wait_loadcnt_dscnt 0x0
	global_inv scope:SCOPE_DEV
	v_cmpx_eq_u32_e32 0, v11
	s_cbranch_execz .LBB8_1314
; %bb.1313:                             ;   in Loop: Header=BB8_1265 Depth=1
	s_bcnt1_i32_b32 s22, s22
	s_delay_alu instid0(SALU_CYCLE_1)
	v_mov_b32_e32 v96, s22
	s_wait_loadcnt 0x0
	ds_add_u64 v0, v[96:97]
	s_trap 2
.LBB8_1314:                             ;   in Loop: Header=BB8_1265 Depth=1
	s_or_b32 exec_lo, exec_lo, s21
	s_trap 2
	ds_load_b64 v[12:13], v0
	s_wait_dscnt 0x0
	v_add_nc_u64_e32 v[80:81], v[80:81], v[86:87]
	s_mov_b32 s21, exec_lo
	s_delay_alu instid0(VALU_DEP_1)
	v_cmpx_lt_u64_e64 v[12:13], v[80:81]
	s_cbranch_execz .LBB8_1323
; %bb.1315:                             ;   in Loop: Header=BB8_1265 Depth=1
	s_mov_b32 s22, 0
	s_mov_b32 s25, 0
                                        ; implicit-def: $sgpr23
                                        ; implicit-def: $sgpr24
	s_branch .LBB8_1317
.LBB8_1316:                             ;   in Loop: Header=BB8_1317 Depth=2
	s_or_b32 exec_lo, exec_lo, s27
	s_delay_alu instid0(SALU_CYCLE_1) | instskip(NEXT) | instid1(SALU_CYCLE_1)
	s_and_b32 s26, exec_lo, s28
	s_or_b32 s22, s26, s22
	s_and_not1_b32 s23, s23, exec_lo
	s_and_b32 s26, s24, exec_lo
	s_delay_alu instid0(SALU_CYCLE_1)
	s_or_b32 s23, s23, s26
	s_and_not1_b32 exec_lo, exec_lo, s22
	s_cbranch_execz .LBB8_1321
.LBB8_1317:                             ;   Parent Loop BB8_1265 Depth=1
                                        ; =>  This Inner Loop Header: Depth=2
	s_add_co_i32 s25, s25, 1
	s_delay_alu instid0(SALU_CYCLE_1) | instskip(SKIP_1) | instid1(SALU_CYCLE_1)
	s_cmp_lg_u32 s25, 0x2710
	s_cselect_b32 s26, -1, 0
	s_and_b32 vcc_lo, exec_lo, s26
	s_cbranch_vccz .LBB8_1319
; %bb.1318:                             ;   in Loop: Header=BB8_1317 Depth=2
	s_mov_b32 s28, -1
	s_or_b32 s24, s24, exec_lo
	s_and_saveexec_b32 s27, s26
	s_cbranch_execz .LBB8_1316
	s_branch .LBB8_1320
.LBB8_1319:                             ;   in Loop: Header=BB8_1317 Depth=2
	s_trap 2
	ds_load_b64 v[12:13], v0
	s_and_not1_b32 s26, s26, exec_lo
	s_mov_b32 s25, 0
	s_wait_loadcnt_dscnt 0x0
	flat_load_b32 v11, v[12:13] scope:SCOPE_SYS
	s_wait_loadcnt_dscnt 0x0
	global_inv scope:SCOPE_SYS
	v_cmp_eq_u32_e32 vcc_lo, 0, v11
	s_and_b32 s27, vcc_lo, exec_lo
	s_delay_alu instid0(SALU_CYCLE_1)
	s_or_b32 s26, s26, s27
	s_mov_b32 s28, -1
	s_or_b32 s24, s24, exec_lo
	s_wait_xcnt 0x0
	s_and_saveexec_b32 s27, s26
	s_cbranch_execz .LBB8_1316
.LBB8_1320:                             ;   in Loop: Header=BB8_1317 Depth=2
	s_sleep 1
	s_trap 2
	ds_load_b64 v[12:13], v0
	s_wait_dscnt 0x0
	s_and_not1_b32 s24, s24, exec_lo
	v_cmp_ge_u64_e32 vcc_lo, v[12:13], v[80:81]
	s_or_not1_b32 s28, vcc_lo, exec_lo
	s_branch .LBB8_1316
.LBB8_1321:                             ;   in Loop: Header=BB8_1265 Depth=1
	s_or_b32 exec_lo, exec_lo, s22
	s_and_saveexec_b32 s22, s23
	s_delay_alu instid0(SALU_CYCLE_1)
	s_xor_b32 s22, exec_lo, s22
	s_cbranch_execz .LBB8_1323
; %bb.1322:                             ;   in Loop: Header=BB8_1265 Depth=1
	ds_store_b32 v0, v77
	s_trap 2
.LBB8_1323:                             ;   in Loop: Header=BB8_1265 Depth=1
	s_or_b32 exec_lo, exec_lo, s21
	;;#ASMSTART
	s_wakeup
	;;#ASMEND
.LBB8_1324:                             ;   in Loop: Header=BB8_1265 Depth=1
	s_or_b32 exec_lo, exec_lo, s20
.LBB8_1325:                             ;   in Loop: Header=BB8_1265 Depth=1
	s_and_not1_saveexec_b32 s19, s19
	s_cbranch_execz .LBB8_1327
; %bb.1326:                             ;   in Loop: Header=BB8_1265 Depth=1
	global_wb scope:SCOPE_DEV
	s_wait_storecnt 0x0
	s_wait_loadcnt_dscnt 0x0
	global_inv scope:SCOPE_DEV
	s_barrier_signal -1
	s_barrier_wait -1
.LBB8_1327:                             ;   in Loop: Header=BB8_1265 Depth=1
	s_or_b32 exec_lo, exec_lo, s19
.LBB8_1328:                             ;   in Loop: Header=BB8_1265 Depth=1
	s_delay_alu instid0(SALU_CYCLE_1)
	s_or_b32 exec_lo, exec_lo, s10
	s_trap 2
	ds_load_b64 v[46:47], v0
	s_wait_dscnt 0x0
	v_cmp_eq_u64_e32 vcc_lo, 0, v[46:47]
	s_cbranch_vccnz .LBB8_1336
; %bb.1329:                             ;   in Loop: Header=BB8_1265 Depth=1
	s_trap 2
	ds_load_b64 v[56:57], v0
	s_wait_dscnt 0x0
	v_cmp_eq_u64_e32 vcc_lo, 0, v[56:57]
	s_cbranch_vccnz .LBB8_1336
; %bb.1330:                             ;   in Loop: Header=BB8_1265 Depth=1
	s_mov_b32 s10, -1
	s_and_saveexec_b32 s19, s5
	s_cbranch_execz .LBB8_1332
; %bb.1331:                             ;   in Loop: Header=BB8_1265 Depth=1
	ds_load_b32 v11, v0 offset:720
	s_wait_dscnt 0x0
	v_and_b32_e32 v11, 15, v11
	s_delay_alu instid0(VALU_DEP_1)
	v_cmp_eq_u32_e32 vcc_lo, 0, v11
	s_or_not1_b32 s10, vcc_lo, exec_lo
.LBB8_1332:                             ;   in Loop: Header=BB8_1265 Depth=1
	s_or_b32 exec_lo, exec_lo, s19
	s_and_saveexec_b32 s19, s6
	s_cbranch_execz .LBB8_1334
; %bb.1333:                             ;   in Loop: Header=BB8_1265 Depth=1
	ds_load_b32 v11, v0 offset:784
	s_wait_dscnt 0x0
	v_and_b32_e32 v11, 15, v11
	s_delay_alu instid0(VALU_DEP_1) | instskip(SKIP_3) | instid1(SALU_CYCLE_1)
	v_cmp_eq_u32_e32 vcc_lo, 0, v11
	s_and_b32 s20, s10, vcc_lo
	s_and_not1_b32 s10, s10, exec_lo
	s_and_b32 s20, s20, exec_lo
	s_or_b32 s10, s10, s20
.LBB8_1334:                             ;   in Loop: Header=BB8_1265 Depth=1
	s_or_b32 exec_lo, exec_lo, s19
	s_xor_b32 s10, s10, -1
	s_mov_b32 s20, -1
	v_cndmask_b32_e64 v11, 0, 1, s10
	v_cmp_eq_u32_e64 s10, 0, v10
	s_delay_alu instid0(VALU_DEP_2)
	v_cmp_ne_u32_e32 vcc_lo, 0, v11
	s_cbranch_vccz .LBB8_1337
; %bb.1335:                             ;   in Loop: Header=BB8_1265 Depth=1
	s_mov_b32 s20, 0
	s_mov_b32 s19, -1
	s_branch .LBB8_1338
.LBB8_1336:                             ;   in Loop: Header=BB8_1265 Depth=1
	s_mov_b32 s10, 0
	s_and_saveexec_b32 s19, s2
	s_cbranch_execnz .LBB8_1388
	s_branch .LBB8_1406
.LBB8_1337:                             ;   in Loop: Header=BB8_1265 Depth=1
	s_mov_b32 s19, 0
.LBB8_1338:                             ;   in Loop: Header=BB8_1265 Depth=1
	v_dual_cndmask_b32 v96, 0, v45, s10 :: v_dual_mov_b32 v16, 0
	s_and_not1_b32 vcc_lo, exec_lo, s20
	s_delay_alu instid0(VALU_DEP_1)
	v_lshlrev_b32_e32 v78, 1, v96
	s_cbranch_vccnz .LBB8_1346
; %bb.1339:                             ;   in Loop: Header=BB8_1265 Depth=1
	v_lshrrev_b32_e32 v79, 10, v96
	v_add_nc_u64_e32 v[58:59], v[56:57], v[112:113]
	s_mov_b32 s20, 0
	s_mov_b32 s10, exec_lo
                                        ; implicit-def: $vgpr10_vgpr11
                                        ; implicit-def: $vgpr14_vgpr15
                                        ; implicit-def: $vgpr18_vgpr19
                                        ; implicit-def: $vgpr22_vgpr23
	s_delay_alu instid0(VALU_DEP_2) | instskip(NEXT) | instid1(VALU_DEP_1)
	v_sub_nc_u32_e32 v88, v79, v76
	v_cmpx_lt_i32_e32 0, v88
	s_cbranch_execz .LBB8_1348
; %bb.1340:                             ;   in Loop: Header=BB8_1265 Depth=1
	v_add_nc_u64_e32 v[60:61], v[46:47], v[112:113]
	s_mov_b32 s22, 0
                                        ; implicit-def: $sgpr21
                                        ; implicit-def: $vgpr10_vgpr11
                                        ; implicit-def: $vgpr14_vgpr15
                                        ; implicit-def: $vgpr18_vgpr19
                                        ; implicit-def: $vgpr22_vgpr23
	s_branch .LBB8_1342
.LBB8_1341:                             ;   in Loop: Header=BB8_1342 Depth=2
	s_or_b32 exec_lo, exec_lo, s23
	s_delay_alu instid0(VALU_DEP_1) | instskip(NEXT) | instid1(VALU_DEP_3)
	v_sub_nc_u32_e32 v88, v88, v89
	v_add_nc_u64_e32 v[90:91], v[58:59], v[62:63]
	s_wait_loadcnt 0x3
	global_store_b128 v[58:59], v[36:39], off th:TH_STORE_NT
	s_wait_loadcnt 0x2
	global_store_b128 v[58:59], v[48:51], off offset:512 th:TH_STORE_NT
	s_wait_loadcnt 0x1
	global_store_b128 v[58:59], v[26:29], off offset:1024 th:TH_STORE_NT
	;; [unrolled: 2-line block ×3, first 2 shown]
	v_add_nc_u64_e32 v[60:61], v[60:61], v[62:63]
	v_cmp_gt_i32_e32 vcc_lo, 1, v88
	s_wait_xcnt 0x0
	v_add_nc_u64_e32 v[58:59], 0x800, v[90:91]
	s_or_b32 s20, vcc_lo, s20
	s_and_not1_b32 s21, s21, exec_lo
	s_and_b32 s23, s22, exec_lo
	s_delay_alu instid0(SALU_CYCLE_1)
	s_or_b32 s21, s21, s23
	s_and_not1_b32 exec_lo, exec_lo, s20
	s_cbranch_execz .LBB8_1347
.LBB8_1342:                             ;   Parent Loop BB8_1265 Depth=1
                                        ; =>  This Inner Loop Header: Depth=2
	s_clause 0x3
	global_load_b128 v[36:39], v[60:61], off th:TH_LOAD_NT
	global_load_b128 v[48:51], v[60:61], off offset:512 th:TH_LOAD_NT
	global_load_b128 v[26:29], v[60:61], off offset:1024 th:TH_LOAD_NT
	;; [unrolled: 1-line block ×3, first 2 shown]
	s_wait_xcnt 0x0
	s_and_saveexec_b32 s23, s22
	s_cbranch_execz .LBB8_1344
; %bb.1343:                             ;   in Loop: Header=BB8_1342 Depth=2
	s_clause 0x3
	global_store_b128 v[58:59], v[10:13], off th:TH_STORE_NT
	global_store_b128 v[58:59], v[14:17], off offset:512 th:TH_STORE_NT
	global_store_b128 v[58:59], v[18:21], off offset:1024 th:TH_STORE_NT
	;; [unrolled: 1-line block ×3, first 2 shown]
	s_wait_xcnt 0x0
	v_add_nc_u64_e32 v[58:59], v[58:59], v[114:115]
.LBB8_1344:                             ;   in Loop: Header=BB8_1342 Depth=2
	s_or_b32 exec_lo, exec_lo, s23
	v_dual_mov_b32 v89, 0 :: v_dual_sub_nc_u32 v88, v88, v86
	v_add_nc_u64_e32 v[60:61], v[60:61], v[114:115]
	v_mov_b64_e32 v[62:63], 0
	s_delay_alu instid0(VALU_DEP_3)
	v_cmp_lt_i32_e64 s22, 0, v88
	s_and_saveexec_b32 s23, s22
	s_cbranch_execz .LBB8_1341
; %bb.1345:                             ;   in Loop: Header=BB8_1342 Depth=2
	s_clause 0x3
	global_load_b128 v[10:13], v[60:61], off th:TH_LOAD_NT
	global_load_b128 v[14:17], v[60:61], off offset:512 th:TH_LOAD_NT
	global_load_b128 v[18:21], v[60:61], off offset:1024 th:TH_LOAD_NT
	;; [unrolled: 1-line block ×3, first 2 shown]
	s_wait_xcnt 0x0
	v_add_nc_u64_e32 v[60:61], 0x800, v[60:61]
	v_mov_b64_e32 v[62:63], v[98:99]
	v_mov_b32_e32 v89, v86
	s_branch .LBB8_1341
.LBB8_1346:                             ;   in Loop: Header=BB8_1265 Depth=1
	v_dual_mov_b32 v10, v0 :: v_dual_mov_b32 v17, v73
	s_and_saveexec_b32 s10, s19
	s_cbranch_execnz .LBB8_1367
	s_branch .LBB8_1387
.LBB8_1347:                             ;   in Loop: Header=BB8_1265 Depth=1
	s_or_b32 exec_lo, exec_lo, s20
	s_delay_alu instid0(SALU_CYCLE_1)
	s_and_b32 s20, s21, exec_lo
.LBB8_1348:                             ;   in Loop: Header=BB8_1265 Depth=1
	s_or_b32 exec_lo, exec_lo, s10
	s_and_saveexec_b32 s10, s20
	s_cbranch_execz .LBB8_1350
; %bb.1349:                             ;   in Loop: Header=BB8_1265 Depth=1
	s_clause 0x3
	global_store_b128 v[58:59], v[10:13], off th:TH_STORE_NT
	global_store_b128 v[58:59], v[14:17], off offset:512 th:TH_STORE_NT
	global_store_b128 v[58:59], v[18:21], off offset:1024 th:TH_STORE_NT
	;; [unrolled: 1-line block ×3, first 2 shown]
.LBB8_1350:                             ;   in Loop: Header=BB8_1265 Depth=1
	s_wait_xcnt 0x0
	s_or_b32 exec_lo, exec_lo, s10
	v_lshlrev_b32_e32 v22, 11, v79
	s_mov_b32 s20, exec_lo
                                        ; implicit-def: $vgpr16
                                        ; implicit-def: $vgpr10
                                        ; implicit-def: $vgpr17
	s_delay_alu instid0(VALU_DEP_1)
	v_cmpx_ne_u32_e64 v78, v22
	s_cbranch_execz .LBB8_1366
; %bb.1351:                             ;   in Loop: Header=BB8_1265 Depth=1
	v_dual_lshlrev_b32 v10, 5, v88 :: v_dual_sub_nc_u32 v14, v78, v22
	s_mov_b32 s22, 0
	s_mov_b32 s21, exec_lo
	s_delay_alu instid0(VALU_DEP_1) | instskip(NEXT) | instid1(VALU_DEP_2)
	v_sub_nc_u32_e32 v10, v73, v10
	v_ashrrev_i32_e32 v13, 31, v14
	s_delay_alu instid0(VALU_DEP_2) | instskip(NEXT) | instid1(VALU_DEP_1)
	v_ashrrev_i32_e32 v11, 31, v10
	v_lshrrev_b32_e32 v11, 27, v11
	s_delay_alu instid0(VALU_DEP_1) | instskip(NEXT) | instid1(VALU_DEP_1)
	v_add_nc_u32_e32 v11, v10, v11
	v_and_b32_e32 v12, 0xffffffe0, v11
	s_delay_alu instid0(VALU_DEP_1) | instskip(NEXT) | instid1(VALU_DEP_1)
	v_dual_ashrrev_i32 v11, 5, v11 :: v_dual_sub_nc_u32 v23, v10, v12
	v_dual_lshrrev_b32 v10, 23, v13 :: v_dual_lshlrev_b32 v12, 4, v23
	s_delay_alu instid0(VALU_DEP_1) | instskip(NEXT) | instid1(VALU_DEP_2)
	v_add_nc_u32_e32 v10, v14, v10
	v_lshl_add_u32 v15, v11, 9, v12
	s_delay_alu instid0(VALU_DEP_2) | instskip(NEXT) | instid1(VALU_DEP_1)
	v_and_b32_e32 v24, 0xfffffe00, v10
	v_dual_add_nc_u32 v12, v15, v22 :: v_dual_sub_nc_u32 v25, v14, v24
	v_dual_ashrrev_i32 v10, 9, v10 :: v_dual_sub_nc_u32 v27, v14, v15
	s_delay_alu instid0(VALU_DEP_2) | instskip(NEXT) | instid1(VALU_DEP_3)
	v_ashrrev_i32_e32 v13, 31, v12
	v_cmp_lt_i32_e32 vcc_lo, 15, v25
	s_delay_alu instid0(VALU_DEP_2) | instskip(NEXT) | instid1(VALU_DEP_4)
	v_add_nc_u64_e32 v[18:19], v[12:13], v[56:57]
	v_add_co_ci_u32_e64 v10, null, 0, v10, vcc_lo
	s_delay_alu instid0(VALU_DEP_1)
	v_sub_nc_u32_e32 v26, v10, v11
                                        ; implicit-def: $vgpr10_vgpr11
	v_cmpx_lt_i32_e32 15, v27
	s_cbranch_execz .LBB8_1361
; %bb.1352:                             ;   in Loop: Header=BB8_1265 Depth=1
	v_add_nc_u64_e32 v[20:21], v[12:13], v[46:47]
	s_mov_b32 s24, 0
                                        ; implicit-def: $sgpr23
                                        ; implicit-def: $vgpr10_vgpr11
	s_branch .LBB8_1354
.LBB8_1353:                             ;   in Loop: Header=BB8_1354 Depth=2
	s_or_b32 exec_lo, exec_lo, s10
	s_delay_alu instid0(VALU_DEP_1) | instskip(SKIP_3) | instid1(SALU_CYCLE_1)
	v_cmp_gt_i32_e64 s10, 16, v27
	s_or_b32 s22, s10, s22
	s_and_not1_b32 s10, s23, exec_lo
	s_and_b32 s23, s24, exec_lo
	s_or_b32 s23, s10, s23
	s_and_not1_b32 exec_lo, exec_lo, s22
	s_cbranch_execz .LBB8_1360
.LBB8_1354:                             ;   Parent Loop BB8_1265 Depth=1
                                        ; =>  This Inner Loop Header: Depth=2
	global_load_b128 v[14:17], v[20:21], off th:TH_LOAD_NT
	s_wait_xcnt 0x0
	s_and_saveexec_b32 s10, s24
	s_cbranch_execz .LBB8_1356
; %bb.1355:                             ;   in Loop: Header=BB8_1354 Depth=2
	v_add_nc_u64_e32 v[28:29], v[18:19], v[116:117]
	global_store_b128 v[18:19], v[10:13], off th:TH_STORE_NT
	s_wait_xcnt 0x0
	v_mov_b64_e32 v[18:19], v[28:29]
.LBB8_1356:                             ;   in Loop: Header=BB8_1354 Depth=2
	s_or_b32 exec_lo, exec_lo, s10
	v_sub_nc_u32_e32 v27, v27, v74
	v_add_nc_u64_e32 v[20:21], v[20:21], v[116:117]
	s_delay_alu instid0(VALU_DEP_2)
	v_cmp_lt_i32_e64 s24, 15, v27
	s_and_saveexec_b32 s10, s24
	s_cbranch_execz .LBB8_1358
; %bb.1357:                             ;   in Loop: Header=BB8_1354 Depth=2
	global_load_b128 v[10:13], v[20:21], off th:TH_LOAD_NT
	s_wait_xcnt 0x0
	v_add_nc_u64_e32 v[20:21], 0x200, v[20:21]
.LBB8_1358:                             ;   in Loop: Header=BB8_1354 Depth=2
	s_or_b32 exec_lo, exec_lo, s10
	s_wait_loadcnt 0x0
	global_store_b128 v[18:19], v[14:17], off th:TH_STORE_NT
	s_wait_xcnt 0x0
	v_add_nc_u64_e32 v[18:19], 0x200, v[18:19]
	v_sub_nc_u32_e32 v26, v26, v86
	s_and_saveexec_b32 s10, s24
	s_cbranch_execz .LBB8_1353
; %bb.1359:                             ;   in Loop: Header=BB8_1354 Depth=2
	v_add_nc_u64_e32 v[20:21], v[20:21], v[100:101]
	s_delay_alu instid0(VALU_DEP_3)
	v_add_nc_u64_e32 v[18:19], v[18:19], v[100:101]
	v_sub_nc_u32_e32 v26, v26, v86
	v_sub_nc_u32_e32 v27, v27, v74
	s_branch .LBB8_1353
.LBB8_1360:                             ;   in Loop: Header=BB8_1265 Depth=1
	s_or_b32 exec_lo, exec_lo, s22
	s_delay_alu instid0(SALU_CYCLE_1)
	s_and_b32 s22, s23, exec_lo
.LBB8_1361:                             ;   in Loop: Header=BB8_1265 Depth=1
	s_or_b32 exec_lo, exec_lo, s21
	s_and_saveexec_b32 s10, s22
	s_cbranch_execz .LBB8_1363
; %bb.1362:                             ;   in Loop: Header=BB8_1265 Depth=1
	global_store_b128 v[18:19], v[10:13], off th:TH_STORE_NT
.LBB8_1363:                             ;   in Loop: Header=BB8_1265 Depth=1
	s_wait_xcnt 0x0
	s_or_b32 exec_lo, exec_lo, s10
	v_and_b32_e32 v11, 14, v78
	s_mov_b32 s22, s19
	s_mov_b32 s21, exec_lo
                                        ; implicit-def: $vgpr16
                                        ; implicit-def: $vgpr10
                                        ; implicit-def: $vgpr17
	s_delay_alu instid0(VALU_DEP_1) | instskip(NEXT) | instid1(VALU_DEP_1)
	v_cndmask_b32_e32 v78, v25, v11, vcc_lo
	v_cmpx_ne_u32_e32 0, v78
	s_cbranch_execz .LBB8_1365
; %bb.1364:                             ;   in Loop: Header=BB8_1265 Depth=1
	v_cmp_lt_i32_e64 s10, 0, v26
	s_or_b32 s22, s19, exec_lo
	v_dual_sub_nc_u32 v11, v25, v11 :: v_dual_cndmask_b32 v10, 0, v86, s10
	s_delay_alu instid0(VALU_DEP_1) | instskip(NEXT) | instid1(VALU_DEP_1)
	v_dual_cndmask_b32 v11, 0, v11 :: v_dual_sub_nc_u32 v10, v10, v26
	v_add3_u32 v16, v24, v22, v11
	s_delay_alu instid0(VALU_DEP_2) | instskip(NEXT) | instid1(VALU_DEP_1)
	v_lshl_add_u32 v10, v10, 5, v23
	v_ashrrev_i32_e32 v12, 31, v10
	s_delay_alu instid0(VALU_DEP_1) | instskip(NEXT) | instid1(VALU_DEP_1)
	v_lshrrev_b32_e32 v12, 27, v12
	v_add_nc_u32_e32 v12, v10, v12
	s_delay_alu instid0(VALU_DEP_1) | instskip(NEXT) | instid1(VALU_DEP_1)
	v_and_b32_e32 v12, 0xffffffe0, v12
	v_sub_nc_u32_e32 v17, v10, v12
.LBB8_1365:                             ;   in Loop: Header=BB8_1265 Depth=1
	s_or_b32 exec_lo, exec_lo, s21
	s_delay_alu instid0(SALU_CYCLE_1) | instskip(SKIP_1) | instid1(SALU_CYCLE_1)
	s_and_not1_b32 s10, s19, exec_lo
	s_and_b32 s19, s22, exec_lo
	s_or_b32 s19, s10, s19
.LBB8_1366:                             ;   in Loop: Header=BB8_1265 Depth=1
	s_or_b32 exec_lo, exec_lo, s20
	s_and_saveexec_b32 s10, s19
	s_cbranch_execz .LBB8_1387
.LBB8_1367:                             ;   in Loop: Header=BB8_1265 Depth=1
	s_delay_alu instid0(VALU_DEP_1) | instskip(SKIP_2) | instid1(VALU_DEP_1)
	v_ashrrev_i32_e32 v11, 31, v10
	s_mov_b32 s20, 0
	s_mov_b32 s19, exec_lo
                                        ; implicit-def: $vgpr19
                                        ; implicit-def: $vgpr20
                                        ; implicit-def: $vgpr21
                                        ; implicit-def: $vgpr22
                                        ; implicit-def: $vgpr23
                                        ; implicit-def: $vgpr24
                                        ; implicit-def: $vgpr25
                                        ; implicit-def: $vgpr26
	v_dual_lshlrev_b32 v13, 1, v17 :: v_dual_lshrrev_b32 v11, 27, v11
	s_delay_alu instid0(VALU_DEP_1) | instskip(NEXT) | instid1(VALU_DEP_1)
	v_dual_add_nc_u32 v10, v10, v11 :: v_dual_ashrrev_i32 v11, 31, v78
	v_dual_ashrrev_i32 v10, 5, v10 :: v_dual_lshrrev_b32 v11, 23, v11
	s_delay_alu instid0(VALU_DEP_1) | instskip(NEXT) | instid1(VALU_DEP_1)
	v_lshlrev_b32_e32 v12, 9, v10
	v_add3_u32 v12, v16, v13, v12
	s_delay_alu instid0(VALU_DEP_1) | instskip(NEXT) | instid1(VALU_DEP_1)
	v_dual_add_nc_u32 v11, v78, v11 :: v_dual_ashrrev_i32 v13, 31, v12
	v_ashrrev_i32_e32 v18, 9, v11
	s_delay_alu instid0(VALU_DEP_1) | instskip(NEXT) | instid1(VALU_DEP_3)
	v_sub_nc_u32_e32 v27, v18, v10
	v_add_nc_u64_e32 v[10:11], v[56:57], v[12:13]
	s_delay_alu instid0(VALU_DEP_2)
	v_cmpx_lt_i32_e32 0, v27
	s_cbranch_execz .LBB8_1375
; %bb.1368:                             ;   in Loop: Header=BB8_1265 Depth=1
	v_add_nc_u64_e32 v[12:13], v[12:13], v[46:47]
	s_mov_b32 s22, 0
                                        ; implicit-def: $sgpr21
                                        ; implicit-def: $vgpr19
                                        ; implicit-def: $vgpr20
                                        ; implicit-def: $vgpr21
                                        ; implicit-def: $vgpr22
                                        ; implicit-def: $vgpr23
                                        ; implicit-def: $vgpr24
                                        ; implicit-def: $vgpr25
                                        ; implicit-def: $vgpr26
	s_branch .LBB8_1370
.LBB8_1369:                             ;   in Loop: Header=BB8_1370 Depth=2
	s_or_b32 exec_lo, exec_lo, s23
	s_delay_alu instid0(VALU_DEP_1) | instskip(NEXT) | instid1(VALU_DEP_3)
	v_sub_nc_u32_e32 v27, v27, v38
	v_add_nc_u64_e32 v[38:39], v[10:11], v[14:15]
	s_wait_loadcnt_dscnt 0x707
	flat_store_b16 v[10:11], v28 th:TH_STORE_NT
	s_wait_loadcnt_dscnt 0x607
	flat_store_b16 v[10:11], v29 offset:64 th:TH_STORE_NT
	s_wait_loadcnt_dscnt 0x507
	flat_store_b16 v[10:11], v32 offset:128 th:TH_STORE_NT
	;; [unrolled: 2-line block ×7, first 2 shown]
	v_add_nc_u64_e32 v[12:13], v[12:13], v[14:15]
	v_cmp_gt_i32_e32 vcc_lo, 1, v27
	s_wait_xcnt 0x0
	v_add_nc_u64_e32 v[10:11], 0x200, v[38:39]
	s_or_b32 s20, vcc_lo, s20
	s_and_not1_b32 s21, s21, exec_lo
	s_and_b32 s23, s22, exec_lo
	s_delay_alu instid0(SALU_CYCLE_1)
	s_or_b32 s21, s21, s23
	s_and_not1_b32 exec_lo, exec_lo, s20
	s_cbranch_execz .LBB8_1374
.LBB8_1370:                             ;   Parent Loop BB8_1265 Depth=1
                                        ; =>  This Inner Loop Header: Depth=2
	s_clause 0x7
	flat_load_u16 v28, v[12:13] th:TH_LOAD_NT
	flat_load_u16 v29, v[12:13] offset:64 th:TH_LOAD_NT
	flat_load_u16 v32, v[12:13] offset:128 th:TH_LOAD_NT
	;; [unrolled: 1-line block ×7, first 2 shown]
	s_wait_xcnt 0x0
	s_and_saveexec_b32 s23, s22
	s_cbranch_execz .LBB8_1372
; %bb.1371:                             ;   in Loop: Header=BB8_1370 Depth=2
	s_clause 0x7
	flat_store_b16 v[10:11], v19 th:TH_STORE_NT
	flat_store_b16 v[10:11], v20 offset:64 th:TH_STORE_NT
	flat_store_b16 v[10:11], v21 offset:128 th:TH_STORE_NT
	;; [unrolled: 1-line block ×7, first 2 shown]
	s_wait_xcnt 0x0
	v_add_nc_u64_e32 v[10:11], v[10:11], v[116:117]
.LBB8_1372:                             ;   in Loop: Header=BB8_1370 Depth=2
	s_or_b32 exec_lo, exec_lo, s23
	v_dual_mov_b32 v38, 0 :: v_dual_sub_nc_u32 v27, v27, v86
	v_add_nc_u64_e32 v[12:13], v[12:13], v[116:117]
	v_mov_b64_e32 v[14:15], 0
	s_delay_alu instid0(VALU_DEP_3)
	v_cmp_lt_i32_e64 s22, 0, v27
	s_and_saveexec_b32 s23, s22
	s_cbranch_execz .LBB8_1369
; %bb.1373:                             ;   in Loop: Header=BB8_1370 Depth=2
	s_clause 0x7
	flat_load_u16 v19, v[12:13] th:TH_LOAD_NT
	flat_load_u16 v20, v[12:13] offset:64 th:TH_LOAD_NT
	flat_load_u16 v21, v[12:13] offset:128 th:TH_LOAD_NT
	;; [unrolled: 1-line block ×7, first 2 shown]
	s_wait_xcnt 0x0
	v_add_nc_u64_e32 v[12:13], 0x200, v[12:13]
	v_mov_b64_e32 v[14:15], v[100:101]
	v_mov_b32_e32 v38, v86
	s_branch .LBB8_1369
.LBB8_1374:                             ;   in Loop: Header=BB8_1265 Depth=1
	s_or_b32 exec_lo, exec_lo, s20
	s_delay_alu instid0(SALU_CYCLE_1)
	s_and_b32 s20, s21, exec_lo
.LBB8_1375:                             ;   in Loop: Header=BB8_1265 Depth=1
	s_or_b32 exec_lo, exec_lo, s19
	s_and_saveexec_b32 s19, s20
	s_cbranch_execz .LBB8_1377
; %bb.1376:                             ;   in Loop: Header=BB8_1265 Depth=1
	s_clause 0x7
	flat_store_b16 v[10:11], v19 th:TH_STORE_NT
	flat_store_b16 v[10:11], v20 offset:64 th:TH_STORE_NT
	flat_store_b16 v[10:11], v21 offset:128 th:TH_STORE_NT
	;; [unrolled: 1-line block ×7, first 2 shown]
.LBB8_1377:                             ;   in Loop: Header=BB8_1265 Depth=1
	s_wait_xcnt 0x0
	s_or_b32 exec_lo, exec_lo, s19
	v_lshlrev_b32_e32 v10, 9, v18
	s_delay_alu instid0(VALU_DEP_1)
	v_cmp_ne_u32_e32 vcc_lo, v78, v10
	s_and_b32 exec_lo, exec_lo, vcc_lo
	s_cbranch_execz .LBB8_1387
; %bb.1378:                             ;   in Loop: Header=BB8_1265 Depth=1
	v_lshlrev_b32_e32 v11, 5, v27
	s_delay_alu instid0(VALU_DEP_1) | instskip(NEXT) | instid1(VALU_DEP_1)
	v_sub_nc_u32_e32 v11, v17, v11
	v_ashrrev_i32_e32 v12, 31, v11
	s_delay_alu instid0(VALU_DEP_1) | instskip(NEXT) | instid1(VALU_DEP_1)
	v_lshrrev_b32_e32 v12, 27, v12
	v_add_nc_u32_e32 v12, v11, v12
	s_delay_alu instid0(VALU_DEP_1) | instskip(NEXT) | instid1(VALU_DEP_1)
	v_and_b32_e32 v13, 0x7fffffe0, v12
	v_dual_lshlrev_b32 v12, 1, v12 :: v_dual_sub_nc_u32 v11, v11, v13
	s_delay_alu instid0(VALU_DEP_1) | instskip(NEXT) | instid1(VALU_DEP_2)
	v_and_b32_e32 v12, 0xffffffc0, v12
	v_lshlrev_b32_e32 v11, 1, v11
	s_delay_alu instid0(VALU_DEP_1) | instskip(NEXT) | instid1(VALU_DEP_1)
	v_add3_u32 v10, v12, v11, v10
	v_sub_nc_u32_e32 v17, v78, v10
	s_delay_alu instid0(VALU_DEP_1)
	v_cmp_lt_i32_e32 vcc_lo, 1, v17
	s_and_b32 exec_lo, exec_lo, vcc_lo
	s_cbranch_execz .LBB8_1387
; %bb.1379:                             ;   in Loop: Header=BB8_1265 Depth=1
	v_add_nc_u32_e32 v12, v10, v16
	s_mov_b32 s21, 0
	s_mov_b32 s19, 0
                                        ; implicit-def: $sgpr20
                                        ; implicit-def: $vgpr16
	s_delay_alu instid0(VALU_DEP_1) | instskip(NEXT) | instid1(VALU_DEP_1)
	v_ashrrev_i32_e32 v13, 31, v12
	v_add_nc_u64_e32 v[10:11], v[56:57], v[12:13]
	v_add_nc_u64_e32 v[12:13], v[12:13], v[46:47]
	s_branch .LBB8_1381
.LBB8_1380:                             ;   in Loop: Header=BB8_1381 Depth=2
	s_or_b32 exec_lo, exec_lo, s22
	s_delay_alu instid0(VALU_DEP_1) | instskip(NEXT) | instid1(VALU_DEP_3)
	v_sub_nc_u32_e32 v17, v17, v19
	v_add_nc_u64_e32 v[20:21], v[10:11], v[14:15]
	s_wait_loadcnt_dscnt 0x0
	flat_store_b16 v[10:11], v18 th:TH_STORE_NT
	v_add_nc_u64_e32 v[12:13], v[12:13], v[14:15]
	v_cmp_gt_i32_e32 vcc_lo, 2, v17
	s_wait_xcnt 0x0
	v_add_nc_u64_e32 v[10:11], 64, v[20:21]
	s_or_b32 s19, vcc_lo, s19
	s_and_not1_b32 s20, s20, exec_lo
	s_and_b32 s22, s21, exec_lo
	s_delay_alu instid0(SALU_CYCLE_1)
	s_or_b32 s20, s20, s22
	s_and_not1_b32 exec_lo, exec_lo, s19
	s_cbranch_execz .LBB8_1385
.LBB8_1381:                             ;   Parent Loop BB8_1265 Depth=1
                                        ; =>  This Inner Loop Header: Depth=2
	flat_load_u16 v18, v[12:13] th:TH_LOAD_NT
	s_wait_xcnt 0x0
	s_and_saveexec_b32 s22, s21
	s_cbranch_execz .LBB8_1383
; %bb.1382:                             ;   in Loop: Header=BB8_1381 Depth=2
	v_add_nc_u64_e32 v[14:15], v[10:11], v[118:119]
	flat_store_b16 v[10:11], v16 th:TH_STORE_NT
	s_wait_xcnt 0x0
	v_mov_b64_e32 v[10:11], v[14:15]
.LBB8_1383:                             ;   in Loop: Header=BB8_1381 Depth=2
	s_or_b32 exec_lo, exec_lo, s22
	v_dual_sub_nc_u32 v17, v17, v75 :: v_dual_mov_b32 v19, 0
	v_add_nc_u64_e32 v[12:13], v[12:13], v[118:119]
	v_mov_b64_e32 v[14:15], 0
	s_delay_alu instid0(VALU_DEP_3)
	v_cmp_lt_i32_e64 s21, 1, v17
	s_and_saveexec_b32 s22, s21
	s_cbranch_execz .LBB8_1380
; %bb.1384:                             ;   in Loop: Header=BB8_1381 Depth=2
	flat_load_u16 v16, v[12:13] th:TH_LOAD_NT
	s_wait_xcnt 0x0
	v_add_nc_u64_e32 v[12:13], 64, v[12:13]
	v_mov_b64_e32 v[14:15], v[102:103]
	v_mov_b32_e32 v19, v75
	s_branch .LBB8_1380
.LBB8_1385:                             ;   in Loop: Header=BB8_1265 Depth=1
	s_or_b32 exec_lo, exec_lo, s19
	s_delay_alu instid0(SALU_CYCLE_1)
	s_and_b32 exec_lo, exec_lo, s20
	s_cbranch_execz .LBB8_1387
; %bb.1386:                             ;   in Loop: Header=BB8_1265 Depth=1
	flat_store_b16 v[10:11], v16 th:TH_STORE_NT
.LBB8_1387:                             ;   in Loop: Header=BB8_1265 Depth=1
	s_wait_xcnt 0x0
	s_or_b32 exec_lo, exec_lo, s10
	v_cmp_ne_u32_e64 s10, 0, v96
	s_and_saveexec_b32 s19, s2
	s_cbranch_execz .LBB8_1406
.LBB8_1388:                             ;   in Loop: Header=BB8_1265 Depth=1
	s_and_saveexec_b32 s20, s3
	s_delay_alu instid0(SALU_CYCLE_1)
	s_xor_b32 s20, exec_lo, s20
	s_cbranch_execz .LBB8_1403
; %bb.1389:                             ;   in Loop: Header=BB8_1265 Depth=1
	s_and_saveexec_b32 s21, s4
	s_cbranch_execz .LBB8_1402
; %bb.1390:                             ;   in Loop: Header=BB8_1265 Depth=1
	s_mov_b32 s23, exec_lo
	s_mov_b32 s22, exec_lo
	v_mbcnt_lo_u32_b32 v10, s23, 0
	global_wb scope:SCOPE_DEV
	s_wait_storecnt 0x0
	s_wait_loadcnt_dscnt 0x0
	global_inv scope:SCOPE_DEV
	v_cmpx_eq_u32_e32 0, v10
	s_cbranch_execz .LBB8_1392
; %bb.1391:                             ;   in Loop: Header=BB8_1265 Depth=1
	s_bcnt1_i32_b32 s23, s23
	s_delay_alu instid0(SALU_CYCLE_1)
	v_mov_b32_e32 v96, s23
	s_wait_loadcnt 0x0
	ds_add_u64 v0, v[96:97]
	s_trap 2
.LBB8_1392:                             ;   in Loop: Header=BB8_1265 Depth=1
	s_or_b32 exec_lo, exec_lo, s22
	s_trap 2
	ds_load_b64 v[10:11], v0
	s_wait_dscnt 0x0
	v_add_nc_u64_e32 v[80:81], v[80:81], v[86:87]
	s_mov_b32 s22, exec_lo
	s_delay_alu instid0(VALU_DEP_1)
	v_cmpx_lt_u64_e64 v[10:11], v[80:81]
	s_cbranch_execz .LBB8_1401
; %bb.1393:                             ;   in Loop: Header=BB8_1265 Depth=1
	s_mov_b32 s23, 0
	s_mov_b32 s26, 0
                                        ; implicit-def: $sgpr24
                                        ; implicit-def: $sgpr25
	s_branch .LBB8_1395
.LBB8_1394:                             ;   in Loop: Header=BB8_1395 Depth=2
	s_or_b32 exec_lo, exec_lo, s28
	s_delay_alu instid0(SALU_CYCLE_1) | instskip(NEXT) | instid1(SALU_CYCLE_1)
	s_and_b32 s27, exec_lo, s29
	s_or_b32 s23, s27, s23
	s_and_not1_b32 s24, s24, exec_lo
	s_and_b32 s27, s25, exec_lo
	s_delay_alu instid0(SALU_CYCLE_1)
	s_or_b32 s24, s24, s27
	s_and_not1_b32 exec_lo, exec_lo, s23
	s_cbranch_execz .LBB8_1399
.LBB8_1395:                             ;   Parent Loop BB8_1265 Depth=1
                                        ; =>  This Inner Loop Header: Depth=2
	s_add_co_i32 s26, s26, 1
	s_delay_alu instid0(SALU_CYCLE_1) | instskip(SKIP_1) | instid1(SALU_CYCLE_1)
	s_cmp_lg_u32 s26, 0x2710
	s_cselect_b32 s27, -1, 0
	s_and_b32 vcc_lo, exec_lo, s27
	s_cbranch_vccz .LBB8_1397
; %bb.1396:                             ;   in Loop: Header=BB8_1395 Depth=2
	s_mov_b32 s29, -1
	s_or_b32 s25, s25, exec_lo
	s_and_saveexec_b32 s28, s27
	s_cbranch_execz .LBB8_1394
	s_branch .LBB8_1398
.LBB8_1397:                             ;   in Loop: Header=BB8_1395 Depth=2
	s_trap 2
	ds_load_b64 v[10:11], v0
	s_and_not1_b32 s27, s27, exec_lo
	s_mov_b32 s26, 0
	s_wait_loadcnt_dscnt 0x0
	flat_load_b32 v10, v[10:11] scope:SCOPE_SYS
	s_wait_loadcnt_dscnt 0x0
	global_inv scope:SCOPE_SYS
	v_cmp_eq_u32_e32 vcc_lo, 0, v10
	s_and_b32 s28, vcc_lo, exec_lo
	s_delay_alu instid0(SALU_CYCLE_1)
	s_or_b32 s27, s27, s28
	s_mov_b32 s29, -1
	s_or_b32 s25, s25, exec_lo
	s_and_saveexec_b32 s28, s27
	s_cbranch_execz .LBB8_1394
.LBB8_1398:                             ;   in Loop: Header=BB8_1395 Depth=2
	s_sleep 1
	s_trap 2
	ds_load_b64 v[10:11], v0
	s_wait_dscnt 0x0
	s_and_not1_b32 s25, s25, exec_lo
	v_cmp_ge_u64_e32 vcc_lo, v[10:11], v[80:81]
	s_or_not1_b32 s29, vcc_lo, exec_lo
	s_branch .LBB8_1394
.LBB8_1399:                             ;   in Loop: Header=BB8_1265 Depth=1
	s_or_b32 exec_lo, exec_lo, s23
	s_and_saveexec_b32 s23, s24
	s_delay_alu instid0(SALU_CYCLE_1)
	s_xor_b32 s23, exec_lo, s23
	s_cbranch_execz .LBB8_1401
; %bb.1400:                             ;   in Loop: Header=BB8_1265 Depth=1
	ds_store_b32 v0, v77
	s_trap 2
.LBB8_1401:                             ;   in Loop: Header=BB8_1265 Depth=1
	s_or_b32 exec_lo, exec_lo, s22
	;;#ASMSTART
	s_wakeup
	;;#ASMEND
.LBB8_1402:                             ;   in Loop: Header=BB8_1265 Depth=1
	s_or_b32 exec_lo, exec_lo, s21
.LBB8_1403:                             ;   in Loop: Header=BB8_1265 Depth=1
	s_and_not1_saveexec_b32 s20, s20
	s_cbranch_execz .LBB8_1405
; %bb.1404:                             ;   in Loop: Header=BB8_1265 Depth=1
	global_wb scope:SCOPE_DEV
	s_wait_storecnt 0x0
	s_wait_loadcnt_dscnt 0x0
	global_inv scope:SCOPE_DEV
	s_barrier_signal -1
	s_barrier_wait -1
.LBB8_1405:                             ;   in Loop: Header=BB8_1265 Depth=1
	s_or_b32 exec_lo, exec_lo, s20
.LBB8_1406:                             ;   in Loop: Header=BB8_1265 Depth=1
	s_delay_alu instid0(SALU_CYCLE_1) | instskip(SKIP_1) | instid1(VALU_DEP_1)
	s_or_b32 exec_lo, exec_lo, s19
	v_and_b32_e32 v10, 16, v30
	v_cmp_ne_u32_e32 vcc_lo, 0, v10
	s_and_b32 s19, vcc_lo, s10
	s_delay_alu instid0(SALU_CYCLE_1)
	s_and_saveexec_b32 s10, s19
	s_cbranch_execz .LBB8_1408
; %bb.1407:                             ;   in Loop: Header=BB8_1265 Depth=1
	global_wb scope:SCOPE_SYS
	s_wait_storecnt 0x0
	s_wait_loadcnt_dscnt 0x0
	global_inv scope:SCOPE_SYS
.LBB8_1408:                             ;   in Loop: Header=BB8_1265 Depth=1
	s_or_b32 exec_lo, exec_lo, s10
	s_delay_alu instid0(SALU_CYCLE_1)
	s_mov_b32 s10, exec_lo
	v_cmpx_ne_u32_e32 0, v10
	s_cbranch_execz .LBB8_1412
; %bb.1409:                             ;   in Loop: Header=BB8_1265 Depth=1
	s_and_saveexec_b32 s19, s7
	s_cbranch_execz .LBB8_1411
; %bb.1410:                             ;   in Loop: Header=BB8_1265 Depth=1
	global_wb scope:SCOPE_SYS
	s_wait_storecnt 0x0
	s_wait_loadcnt_dscnt 0x0
	flat_store_b32 v[84:85], v77 scope:SCOPE_SYS
.LBB8_1411:                             ;   in Loop: Header=BB8_1265 Depth=1
	s_wait_xcnt 0x0
	s_or_b32 exec_lo, exec_lo, s19
	v_add_nc_u64_e32 v[8:9], 1, v[8:9]
	global_wb scope:SCOPE_SYS
	s_wait_storecnt 0x0
	s_wait_loadcnt_dscnt 0x0
	flat_store_b64 v[64:65], v[8:9] scope:SCOPE_SYS
.LBB8_1412:                             ;   in Loop: Header=BB8_1265 Depth=1
	s_wait_xcnt 0x0
	s_or_b32 exec_lo, exec_lo, s10
	v_mov_b32_e32 v10, v45
.LBB8_1413:                             ;   in Loop: Header=BB8_1265 Depth=1
	s_or_b32 exec_lo, exec_lo, s18
	s_and_saveexec_b32 s18, s17
	s_cbranch_execz .LBB8_1264
; %bb.1414:                             ;   in Loop: Header=BB8_1265 Depth=1
	s_delay_alu instid0(VALU_DEP_1) | instskip(SKIP_2) | instid1(VALU_DEP_2)
	v_sub_nc_u32_e32 v10, v44, v10
	v_and_b32_e32 v11, 8, v30
	s_mov_b32 s17, exec_lo
	v_min_i32_e32 v10, v45, v10
	s_delay_alu instid0(VALU_DEP_2)
	v_cmpx_ne_u32_e32 0, v11
	s_cbranch_execz .LBB8_1436
; %bb.1415:                             ;   in Loop: Header=BB8_1265 Depth=1
	s_wait_loadcnt 0x0
	v_add_nc_u64_e32 v[14:15], 8, v[70:71]
	s_wait_dscnt 0x0
	v_add_nc_u64_e32 v[12:13], 1, v[8:9]
	s_mov_b32 s19, exec_lo
	s_delay_alu instid0(VALU_DEP_1)
	v_cmpx_lt_u64_e64 v[14:15], v[12:13]
	s_cbranch_execz .LBB8_1427
; %bb.1416:                             ;   in Loop: Header=BB8_1265 Depth=1
	v_and_b32_e32 v9, 64, v30
	s_mov_b32 s20, 0
	s_mov_b32 s24, 0
                                        ; implicit-def: $sgpr21
                                        ; implicit-def: $sgpr22
                                        ; implicit-def: $sgpr23
	s_delay_alu instid0(VALU_DEP_1)
	v_cmp_eq_u32_e32 vcc_lo, 0, v9
	s_branch .LBB8_1420
.LBB8_1417:                             ;   in Loop: Header=BB8_1420 Depth=2
	s_wait_loadcnt_dscnt 0x0
	v_add_nc_u64_e32 v[14:15], 8, v[70:71]
	s_or_b32 s27, s27, exec_lo
	s_delay_alu instid0(VALU_DEP_1)
	v_cmp_ge_u64_e64 s10, v[14:15], v[12:13]
	s_or_not1_b32 s26, s10, exec_lo
.LBB8_1418:                             ;   in Loop: Header=BB8_1420 Depth=2
	s_or_b32 exec_lo, exec_lo, s29
	s_delay_alu instid0(SALU_CYCLE_1)
	s_and_not1_b32 s10, s23, exec_lo
	s_and_b32 s23, s27, exec_lo
	s_and_not1_b32 s22, s22, exec_lo
	s_and_b32 s26, s26, exec_lo
	s_or_b32 s23, s10, s23
	s_or_b32 s22, s22, s26
.LBB8_1419:                             ;   in Loop: Header=BB8_1420 Depth=2
	s_or_b32 exec_lo, exec_lo, s25
	s_delay_alu instid0(SALU_CYCLE_1) | instskip(NEXT) | instid1(SALU_CYCLE_1)
	s_and_b32 s10, exec_lo, s22
	s_or_b32 s20, s10, s20
	s_and_not1_b32 s10, s21, exec_lo
	s_and_b32 s21, s23, exec_lo
	s_delay_alu instid0(SALU_CYCLE_1)
	s_or_b32 s21, s10, s21
	s_and_not1_b32 exec_lo, exec_lo, s20
	s_cbranch_execz .LBB8_1424
.LBB8_1420:                             ;   Parent Loop BB8_1265 Depth=1
                                        ; =>  This Inner Loop Header: Depth=2
	s_sleep 1
	s_wait_loadcnt_dscnt 0x0
	flat_load_b64 v[70:71], v[64:65] scope:SCOPE_SYS
	s_or_b32 s23, s23, exec_lo
	s_or_b32 s22, s22, exec_lo
                                        ; implicit-def: $vgpr9
	s_wait_xcnt 0x0
	s_and_saveexec_b32 s25, vcc_lo
	s_cbranch_execz .LBB8_1419
; %bb.1421:                             ;   in Loop: Header=BB8_1420 Depth=2
	s_cmp_lt_i32 s24, 0x270f
	s_mov_b32 s26, -1
	s_cselect_b32 s28, -1, 0
	s_cmp_gt_i32 s24, 0x270e
	s_cbranch_scc0 .LBB8_1423
; %bb.1422:                             ;   in Loop: Header=BB8_1420 Depth=2
	s_trap 2
	ds_load_b64 v[14:15], v0
	s_and_not1_b32 s24, s28, exec_lo
	s_mov_b32 s27, 0
	s_wait_storecnt 0x0
	s_wait_loadcnt_dscnt 0x0
	flat_load_b32 v9, v[14:15] scope:SCOPE_SYS
	s_wait_loadcnt_dscnt 0x0
	global_inv scope:SCOPE_SYS
	v_cmp_eq_u32_e64 s10, 0, v9
	s_and_b32 s10, s10, exec_lo
	s_delay_alu instid0(SALU_CYCLE_1)
	s_or_b32 s28, s24, s10
	s_mov_b32 s24, 0
	s_and_saveexec_b32 s29, s28
	s_cbranch_execz .LBB8_1418
	s_branch .LBB8_1417
.LBB8_1423:                             ;   in Loop: Header=BB8_1420 Depth=2
	s_add_co_i32 s24, s24, 1
	s_mov_b32 s27, -1
                                        ; implicit-def: $vgpr9
	s_and_saveexec_b32 s29, s28
	s_cbranch_execz .LBB8_1418
	s_branch .LBB8_1417
.LBB8_1424:                             ;   in Loop: Header=BB8_1265 Depth=1
	s_or_b32 exec_lo, exec_lo, s20
	s_xor_b32 s10, s21, -1
	s_delay_alu instid0(SALU_CYCLE_1) | instskip(NEXT) | instid1(SALU_CYCLE_1)
	s_and_saveexec_b32 s20, s10
	s_xor_b32 s10, exec_lo, s20
	s_cbranch_execz .LBB8_1426
; %bb.1425:                             ;   in Loop: Header=BB8_1265 Depth=1
	v_or_b32_e32 v30, 64, v30
	s_wait_storecnt 0x0
	s_wait_loadcnt_dscnt 0x0
	ds_store_b32 v0, v9
	s_trap 2
.LBB8_1426:                             ;   in Loop: Header=BB8_1265 Depth=1
	s_or_b32 exec_lo, exec_lo, s10
.LBB8_1427:                             ;   in Loop: Header=BB8_1265 Depth=1
	s_delay_alu instid0(SALU_CYCLE_1) | instskip(SKIP_4) | instid1(VALU_DEP_1)
	s_or_b32 exec_lo, exec_lo, s19
	v_and_b32_e32 v9, 0x100, v30
	s_mov_b32 s19, 0
	s_mov_b32 s10, exec_lo
	;;#ASMSTART
	s_wakeup
	;;#ASMEND
                                        ; implicit-def: $vgpr14_vgpr15
	v_cmpx_ne_u32_e32 0, v9
	s_xor_b32 s10, exec_lo, s10
	s_cbranch_execz .LBB8_1448
; %bb.1428:                             ;   in Loop: Header=BB8_1265 Depth=1
	v_dual_ashrrev_i32 v11, 31, v10 :: v_dual_bitop2_b32 v96, 7, v8 bitop3:0x40
	s_mov_b32 s19, -1
	s_mov_b32 s20, exec_lo
	s_delay_alu instid0(VALU_DEP_1) | instskip(NEXT) | instid1(VALU_DEP_2)
	v_mad_nc_u64_u32 v[16:17], v96, 24, v[6:7]
	v_lshlrev_b64_e32 v[14:15], 1, v[10:11]
	s_clause 0x1
	flat_load_b32 v9, v[16:17]
	flat_store_b64 v[16:17], v[14:15] offset:8
                                        ; implicit-def: $vgpr14_vgpr15
	s_wait_loadcnt_dscnt 0x1
	v_cmpx_eq_u32_e32 1, v9
	s_cbranch_execz .LBB8_1430
; %bb.1429:                             ;   in Loop: Header=BB8_1265 Depth=1
	flat_load_b32 v14, v[16:17] offset:4 scope:SCOPE_SYS
	s_xor_b32 s19, exec_lo, -1
	s_wait_loadcnt_dscnt 0x0
	v_ashrrev_i32_e32 v15, 31, v14
	s_delay_alu instid0(VALU_DEP_1)
	v_lshrrev_b64 v[14:15], 1, v[14:15]
.LBB8_1430:                             ;   in Loop: Header=BB8_1265 Depth=1
	s_wait_xcnt 0x0
	s_or_b32 exec_lo, exec_lo, s20
	s_delay_alu instid0(SALU_CYCLE_1)
	s_and_b32 s19, s19, exec_lo
	s_and_not1_saveexec_b32 s10, s10
	s_cbranch_execnz .LBB8_1449
.LBB8_1431:                             ;   in Loop: Header=BB8_1265 Depth=1
	s_or_b32 exec_lo, exec_lo, s10
	s_and_saveexec_b32 s10, s19
.LBB8_1432:                             ;   in Loop: Header=BB8_1265 Depth=1
	v_mul_u64_e32 v[14:15], v[96:97], v[66:67]
.LBB8_1433:                             ;   in Loop: Header=BB8_1265 Depth=1
	s_or_b32 exec_lo, exec_lo, s10
	v_and_b32_e32 v11, 0x2000, v30
	s_delay_alu instid0(VALU_DEP_2)
	v_lshl_add_u64 v[8:9], v[14:15], 1, v[68:69]
	s_mov_b32 s10, exec_lo
	ds_store_b64 v0, v[8:9] offset:784
	v_cmpx_ne_u32_e32 0, v11
	s_cbranch_execz .LBB8_1435
; %bb.1434:                             ;   in Loop: Header=BB8_1265 Depth=1
	ds_load_b64 v[8:9], v0 offset:872
	s_wait_dscnt 0x0
	v_add_nc_u64_e32 v[8:9], 1, v[8:9]
	ds_store_b64 v0, v[8:9] offset:872
.LBB8_1435:                             ;   in Loop: Header=BB8_1265 Depth=1
	s_or_b32 exec_lo, exec_lo, s10
	v_mov_b64_e32 v[8:9], v[12:13]
.LBB8_1436:                             ;   in Loop: Header=BB8_1265 Depth=1
	s_or_b32 exec_lo, exec_lo, s17
	s_and_saveexec_b32 s10, s2
	s_cbranch_execz .LBB8_1457
; %bb.1437:                             ;   in Loop: Header=BB8_1265 Depth=1
	s_and_saveexec_b32 s17, s3
	s_delay_alu instid0(SALU_CYCLE_1)
	s_xor_b32 s17, exec_lo, s17
	s_cbranch_execz .LBB8_1454
; %bb.1438:                             ;   in Loop: Header=BB8_1265 Depth=1
	s_and_saveexec_b32 s19, s4
	s_cbranch_execz .LBB8_1453
; %bb.1439:                             ;   in Loop: Header=BB8_1265 Depth=1
	s_mov_b32 s21, exec_lo
	s_mov_b32 s20, exec_lo
	v_mbcnt_lo_u32_b32 v11, s21, 0
	global_wb scope:SCOPE_DEV
	s_wait_storecnt 0x0
	s_wait_loadcnt_dscnt 0x0
	global_inv scope:SCOPE_DEV
	v_cmpx_eq_u32_e32 0, v11
	s_cbranch_execz .LBB8_1441
; %bb.1440:                             ;   in Loop: Header=BB8_1265 Depth=1
	s_bcnt1_i32_b32 s21, s21
	s_delay_alu instid0(SALU_CYCLE_1)
	v_mov_b32_e32 v96, s21
	s_wait_loadcnt 0x0
	ds_add_u64 v0, v[96:97]
	s_trap 2
.LBB8_1441:                             ;   in Loop: Header=BB8_1265 Depth=1
	s_or_b32 exec_lo, exec_lo, s20
	s_trap 2
	ds_load_b64 v[12:13], v0
	s_wait_dscnt 0x0
	v_add_nc_u64_e32 v[80:81], v[80:81], v[86:87]
	s_mov_b32 s20, exec_lo
	s_delay_alu instid0(VALU_DEP_1)
	v_cmpx_lt_u64_e64 v[12:13], v[80:81]
	s_cbranch_execz .LBB8_1452
; %bb.1442:                             ;   in Loop: Header=BB8_1265 Depth=1
	s_mov_b32 s21, 0
	s_mov_b32 s24, 0
                                        ; implicit-def: $sgpr22
                                        ; implicit-def: $sgpr23
	s_branch .LBB8_1444
.LBB8_1443:                             ;   in Loop: Header=BB8_1444 Depth=2
	s_or_b32 exec_lo, exec_lo, s26
	s_delay_alu instid0(SALU_CYCLE_1) | instskip(NEXT) | instid1(SALU_CYCLE_1)
	s_and_b32 s25, exec_lo, s27
	s_or_b32 s21, s25, s21
	s_and_not1_b32 s22, s22, exec_lo
	s_and_b32 s25, s23, exec_lo
	s_delay_alu instid0(SALU_CYCLE_1)
	s_or_b32 s22, s22, s25
	s_and_not1_b32 exec_lo, exec_lo, s21
	s_cbranch_execz .LBB8_1450
.LBB8_1444:                             ;   Parent Loop BB8_1265 Depth=1
                                        ; =>  This Inner Loop Header: Depth=2
	s_add_co_i32 s24, s24, 1
	s_delay_alu instid0(SALU_CYCLE_1) | instskip(SKIP_1) | instid1(SALU_CYCLE_1)
	s_cmp_lg_u32 s24, 0x2710
	s_cselect_b32 s25, -1, 0
	s_and_b32 vcc_lo, exec_lo, s25
	s_cbranch_vccz .LBB8_1446
; %bb.1445:                             ;   in Loop: Header=BB8_1444 Depth=2
	s_mov_b32 s27, -1
	s_or_b32 s23, s23, exec_lo
	s_and_saveexec_b32 s26, s25
	s_cbranch_execz .LBB8_1443
	s_branch .LBB8_1447
.LBB8_1446:                             ;   in Loop: Header=BB8_1444 Depth=2
	s_trap 2
	ds_load_b64 v[12:13], v0
	s_and_not1_b32 s25, s25, exec_lo
	s_mov_b32 s24, 0
	s_wait_loadcnt_dscnt 0x0
	flat_load_b32 v11, v[12:13] scope:SCOPE_SYS
	s_wait_loadcnt_dscnt 0x0
	global_inv scope:SCOPE_SYS
	v_cmp_eq_u32_e32 vcc_lo, 0, v11
	s_and_b32 s26, vcc_lo, exec_lo
	s_delay_alu instid0(SALU_CYCLE_1)
	s_or_b32 s25, s25, s26
	s_mov_b32 s27, -1
	s_or_b32 s23, s23, exec_lo
	s_and_saveexec_b32 s26, s25
	s_cbranch_execz .LBB8_1443
.LBB8_1447:                             ;   in Loop: Header=BB8_1444 Depth=2
	s_sleep 1
	s_trap 2
	ds_load_b64 v[12:13], v0
	s_wait_dscnt 0x0
	s_and_not1_b32 s23, s23, exec_lo
	v_cmp_ge_u64_e32 vcc_lo, v[12:13], v[80:81]
	s_or_not1_b32 s27, vcc_lo, exec_lo
	s_branch .LBB8_1443
.LBB8_1448:                             ;   in Loop: Header=BB8_1265 Depth=1
	s_and_not1_saveexec_b32 s10, s10
	s_cbranch_execz .LBB8_1431
.LBB8_1449:                             ;   in Loop: Header=BB8_1265 Depth=1
	v_and_b32_e32 v96, 7, v8
	s_or_b32 s19, s19, exec_lo
	s_or_b32 exec_lo, exec_lo, s10
	s_and_saveexec_b32 s10, s19
	s_cbranch_execnz .LBB8_1432
	s_branch .LBB8_1433
.LBB8_1450:                             ;   in Loop: Header=BB8_1265 Depth=1
	s_or_b32 exec_lo, exec_lo, s21
	s_and_saveexec_b32 s21, s22
	s_delay_alu instid0(SALU_CYCLE_1)
	s_xor_b32 s21, exec_lo, s21
	s_cbranch_execz .LBB8_1452
; %bb.1451:                             ;   in Loop: Header=BB8_1265 Depth=1
	ds_store_b32 v0, v77
	s_trap 2
.LBB8_1452:                             ;   in Loop: Header=BB8_1265 Depth=1
	s_or_b32 exec_lo, exec_lo, s20
	;;#ASMSTART
	s_wakeup
	;;#ASMEND
.LBB8_1453:                             ;   in Loop: Header=BB8_1265 Depth=1
	s_or_b32 exec_lo, exec_lo, s19
.LBB8_1454:                             ;   in Loop: Header=BB8_1265 Depth=1
	s_and_not1_saveexec_b32 s17, s17
	s_cbranch_execz .LBB8_1456
; %bb.1455:                             ;   in Loop: Header=BB8_1265 Depth=1
	global_wb scope:SCOPE_DEV
	s_wait_storecnt 0x0
	s_wait_loadcnt_dscnt 0x0
	global_inv scope:SCOPE_DEV
	s_barrier_signal -1
	s_barrier_wait -1
.LBB8_1456:                             ;   in Loop: Header=BB8_1265 Depth=1
	s_or_b32 exec_lo, exec_lo, s17
.LBB8_1457:                             ;   in Loop: Header=BB8_1265 Depth=1
	s_delay_alu instid0(SALU_CYCLE_1)
	s_or_b32 exec_lo, exec_lo, s10
	s_trap 2
	ds_load_b32 v11, v0
	v_cmp_lt_i32_e32 vcc_lo, 0, v10
	s_wait_dscnt 0x0
	v_readfirstlane_b32 s10, v11
	v_and_b32_e32 v11, 16, v30
	s_cmp_eq_u32 s10, 0
	s_delay_alu instid0(VALU_DEP_1) | instskip(SKIP_1) | instid1(SALU_CYCLE_1)
	v_cmp_ne_u32_e64 s10, 0, v11
	s_cselect_b32 s17, -1, 0
	s_and_b32 s17, vcc_lo, s17
	s_delay_alu instid0(SALU_CYCLE_1) | instskip(NEXT) | instid1(SALU_CYCLE_1)
	s_and_b32 s17, s10, s17
	s_and_saveexec_b32 s10, s17
	s_cbranch_execz .LBB8_1459
; %bb.1458:                             ;   in Loop: Header=BB8_1265 Depth=1
	global_wb scope:SCOPE_SYS
	s_wait_loadcnt 0x0
	s_wait_storecnt 0x0
	global_inv scope:SCOPE_SYS
.LBB8_1459:                             ;   in Loop: Header=BB8_1265 Depth=1
	s_or_b32 exec_lo, exec_lo, s10
	s_delay_alu instid0(SALU_CYCLE_1)
	s_mov_b32 s10, exec_lo
	v_cmpx_ne_u32_e32 0, v11
	s_cbranch_execz .LBB8_1263
; %bb.1460:                             ;   in Loop: Header=BB8_1265 Depth=1
	s_and_saveexec_b32 s17, s7
	s_cbranch_execz .LBB8_1262
; %bb.1461:                             ;   in Loop: Header=BB8_1265 Depth=1
	global_wb scope:SCOPE_SYS
	s_wait_loadcnt 0x0
	s_wait_storecnt 0x0
	flat_store_b32 v[84:85], v77 scope:SCOPE_SYS
	s_branch .LBB8_1262
.LBB8_1462:
	s_or_b32 exec_lo, exec_lo, s13
.LBB8_1463:
	s_delay_alu instid0(SALU_CYCLE_1)
	s_or_b32 exec_lo, exec_lo, s12
.LBB8_1464:
	s_delay_alu instid0(SALU_CYCLE_1) | instskip(SKIP_2) | instid1(VALU_DEP_1)
	s_or_b32 exec_lo, exec_lo, s11
	v_and_b32_e32 v0, 0x800, v30
	s_mov_b32 s1, exec_lo
	v_cmpx_eq_u32_e32 0, v0
	s_cbranch_execz .LBB8_1497
; %bb.1465:
	v_and_b32_e32 v0, 48, v30
	s_mov_b32 s0, exec_lo
	s_delay_alu instid0(VALU_DEP_1)
	v_cmpx_ne_u32_e32 0, v0
	s_cbranch_execz .LBB8_1467
; %bb.1466:
	s_wait_dscnt 0x0
	flat_store_b64 v[54:55], v[8:9] offset:104
.LBB8_1467:
	s_wait_xcnt 0x0
	s_or_b32 exec_lo, exec_lo, s0
	v_and_b32_e32 v0, 0x88, v30
	s_mov_b32 s2, exec_lo
	s_delay_alu instid0(VALU_DEP_1)
	v_cmpx_eq_u32_e32 0x88, v0
	s_cbranch_execz .LBB8_1477
; %bb.1468:
	s_wait_dscnt 0x0
	v_add_nc_u32_e32 v0, -1, v8
	s_mov_b32 s3, 0
	s_delay_alu instid0(VALU_DEP_1) | instskip(NEXT) | instid1(VALU_DEP_1)
	v_and_b32_e32 v0, 7, v0
	v_mad_nc_u64_u32 v[4:5], v0, 24, v[6:7]
	v_and_b32_e32 v0, 64, v30
	s_delay_alu instid0(VALU_DEP_1)
	v_cmp_eq_u32_e64 s0, 0, v0
	flat_load_b64 v[6:7], v[4:5] offset:8 scope:SCOPE_SYS
	s_wait_loadcnt_dscnt 0x0
	v_cmp_ne_u64_e32 vcc_lo, -1, v[6:7]
	s_and_b32 s0, vcc_lo, s0
	s_wait_xcnt 0x0
	s_and_b32 exec_lo, exec_lo, s0
	s_cbranch_execz .LBB8_1477
; %bb.1469:
	s_mov_b32 s5, 0
                                        ; implicit-def: $sgpr0
                                        ; implicit-def: $sgpr4
	s_branch .LBB8_1472
.LBB8_1470:                             ;   in Loop: Header=BB8_1472 Depth=1
	flat_load_b64 v[6:7], v[4:5] offset:8 scope:SCOPE_SYS
	s_wait_loadcnt 0x0
	s_and_not1_b32 s4, s4, exec_lo
	s_wait_dscnt 0x0
	v_cmp_eq_u64_e32 vcc_lo, -1, v[6:7]
	s_or_not1_b32 s7, vcc_lo, exec_lo
.LBB8_1471:                             ;   in Loop: Header=BB8_1472 Depth=1
	s_wait_xcnt 0x0
	s_or_b32 exec_lo, exec_lo, s10
	s_delay_alu instid0(SALU_CYCLE_1) | instskip(NEXT) | instid1(SALU_CYCLE_1)
	s_and_b32 s6, exec_lo, s7
	s_or_b32 s3, s6, s3
	s_and_not1_b32 s0, s0, exec_lo
	s_and_b32 s6, s4, exec_lo
	s_delay_alu instid0(SALU_CYCLE_1)
	s_or_b32 s0, s0, s6
	s_and_not1_b32 exec_lo, exec_lo, s3
	s_cbranch_execz .LBB8_1475
.LBB8_1472:                             ; =>This Inner Loop Header: Depth=1
	s_cmp_lt_i32 s5, 0x270f
	s_cselect_b32 s6, -1, 0
	s_delay_alu instid0(SALU_CYCLE_1)
	s_and_b32 vcc_lo, exec_lo, s6
	s_cbranch_vccnz .LBB8_1474
; %bb.1473:                             ;   in Loop: Header=BB8_1472 Depth=1
	s_trap 2
	ds_load_b64 v[6:7], v0
	s_and_not1_b32 s6, s6, exec_lo
	s_mov_b32 s5, 0
	s_wait_storecnt_dscnt 0x0
	flat_load_b32 v0, v[6:7] scope:SCOPE_SYS
	s_wait_loadcnt_dscnt 0x0
	global_inv scope:SCOPE_SYS
	v_cmp_eq_u32_e32 vcc_lo, 0, v0
	s_and_b32 s7, vcc_lo, exec_lo
	s_delay_alu instid0(SALU_CYCLE_1)
	s_or_b32 s6, s6, s7
	s_mov_b32 s7, -1
	s_or_b32 s4, s4, exec_lo
	s_wait_xcnt 0x0
	s_and_saveexec_b32 s10, s6
	s_cbranch_execz .LBB8_1471
	s_branch .LBB8_1470
.LBB8_1474:                             ;   in Loop: Header=BB8_1472 Depth=1
	s_add_co_i32 s5, s5, 1
                                        ; implicit-def: $vgpr0
	s_mov_b32 s7, -1
	s_or_b32 s4, s4, exec_lo
	s_and_saveexec_b32 s10, s6
	s_cbranch_execz .LBB8_1471
	s_branch .LBB8_1470
.LBB8_1475:
	s_or_b32 exec_lo, exec_lo, s3
	s_and_saveexec_b32 s3, s0
	s_delay_alu instid0(SALU_CYCLE_1)
	s_xor_b32 s3, exec_lo, s3
	s_cbranch_execz .LBB8_1477
; %bb.1476:
	s_wait_loadcnt 0x0
	s_wait_storecnt 0x0
	ds_store_b32 v0, v0
	s_trap 2
.LBB8_1477:
	s_or_b32 exec_lo, exec_lo, s2
	v_and_b32_e32 v0, 0x2000, v30
	s_mov_b32 s0, exec_lo
	s_delay_alu instid0(VALU_DEP_1)
	v_cmpx_ne_u32_e32 0, v0
	s_cbranch_execz .LBB8_1479
; %bb.1478:
	s_trap 2
	ds_load_b64 v[4:5], v0
	s_wait_dscnt 0x0
	flat_store_b64 v[2:3], v[4:5] offset:16
.LBB8_1479:
	s_wait_xcnt 0x0
	s_or_b32 exec_lo, exec_lo, s0
	v_cmp_ne_u32_e32 vcc_lo, 32, v1
	s_and_b32 exec_lo, exec_lo, vcc_lo
	s_cbranch_execz .LBB8_1497
; %bb.1480:
	s_mov_b32 s0, exec_lo
	v_cmpx_ne_u32_e64 v1, v72
	s_xor_b32 s0, exec_lo, s0
	s_cbranch_execz .LBB8_1495
; %bb.1481:
	v_and_b32_e32 v0, 31, v31
	s_mov_b32 s2, exec_lo
	s_delay_alu instid0(VALU_DEP_1)
	v_cmpx_eq_u32_e32 0, v0
	s_cbranch_execz .LBB8_1494
; %bb.1482:
	s_mov_b32 s4, exec_lo
	s_mov_b32 s3, exec_lo
	v_mbcnt_lo_u32_b32 v0, s4, 0
	global_wb scope:SCOPE_DEV
	s_wait_storecnt 0x0
	s_wait_loadcnt_dscnt 0x0
	global_inv scope:SCOPE_DEV
	v_cmpx_eq_u32_e32 0, v0
	s_cbranch_execz .LBB8_1484
; %bb.1483:
	s_bcnt1_i32_b32 s4, s4
	s_delay_alu instid0(SALU_CYCLE_1)
	v_dual_mov_b32 v3, 0 :: v_dual_mov_b32 v2, s4
	s_wait_loadcnt 0x0
	ds_add_u64 v0, v[2:3]
	s_trap 2
.LBB8_1484:
	s_or_b32 exec_lo, exec_lo, s3
	s_trap 2
	ds_load_b64 v[2:3], v0
	s_wait_dscnt 0x0
	v_dual_mov_b32 v1, 0 :: v_dual_lshrrev_b32 v0, 5, v1
	s_mov_b32 s3, exec_lo
	s_delay_alu instid0(VALU_DEP_1) | instskip(NEXT) | instid1(VALU_DEP_1)
	v_add_nc_u64_e32 v[0:1], v[80:81], v[0:1]
	v_cmpx_lt_u64_e64 v[2:3], v[0:1]
	s_cbranch_execz .LBB8_1493
; %bb.1485:
	s_mov_b32 s4, 0
	s_mov_b32 s7, 0
                                        ; implicit-def: $sgpr5
                                        ; implicit-def: $sgpr6
	s_branch .LBB8_1487
.LBB8_1486:                             ;   in Loop: Header=BB8_1487 Depth=1
	s_or_b32 exec_lo, exec_lo, s11
	s_delay_alu instid0(SALU_CYCLE_1) | instskip(NEXT) | instid1(SALU_CYCLE_1)
	s_and_b32 s10, exec_lo, s12
	s_or_b32 s4, s10, s4
	s_and_not1_b32 s5, s5, exec_lo
	s_and_b32 s10, s6, exec_lo
	s_delay_alu instid0(SALU_CYCLE_1)
	s_or_b32 s5, s5, s10
	s_and_not1_b32 exec_lo, exec_lo, s4
	s_cbranch_execz .LBB8_1491
.LBB8_1487:                             ; =>This Inner Loop Header: Depth=1
	s_add_co_i32 s7, s7, 1
	s_delay_alu instid0(SALU_CYCLE_1) | instskip(SKIP_1) | instid1(SALU_CYCLE_1)
	s_cmp_lg_u32 s7, 0x2710
	s_cselect_b32 s10, -1, 0
	s_and_b32 vcc_lo, exec_lo, s10
	s_cbranch_vccz .LBB8_1489
; %bb.1488:                             ;   in Loop: Header=BB8_1487 Depth=1
	s_mov_b32 s12, -1
	s_or_b32 s6, s6, exec_lo
	s_and_saveexec_b32 s11, s10
	s_cbranch_execz .LBB8_1486
	s_branch .LBB8_1490
.LBB8_1489:                             ;   in Loop: Header=BB8_1487 Depth=1
	s_trap 2
	ds_load_b64 v[2:3], v0
	s_and_not1_b32 s10, s10, exec_lo
	s_mov_b32 s7, 0
	s_wait_loadcnt_dscnt 0x0
	flat_load_b32 v2, v[2:3] scope:SCOPE_SYS
	s_wait_loadcnt_dscnt 0x0
	global_inv scope:SCOPE_SYS
	v_cmp_eq_u32_e32 vcc_lo, 0, v2
	s_and_b32 s11, vcc_lo, exec_lo
	s_delay_alu instid0(SALU_CYCLE_1)
	s_or_b32 s10, s10, s11
	s_mov_b32 s12, -1
	s_or_b32 s6, s6, exec_lo
	s_and_saveexec_b32 s11, s10
	s_cbranch_execz .LBB8_1486
.LBB8_1490:                             ;   in Loop: Header=BB8_1487 Depth=1
	s_sleep 1
	s_trap 2
	ds_load_b64 v[2:3], v0
	s_wait_dscnt 0x0
	s_and_not1_b32 s6, s6, exec_lo
	v_cmp_ge_u64_e32 vcc_lo, v[2:3], v[0:1]
	s_or_not1_b32 s12, vcc_lo, exec_lo
	s_branch .LBB8_1486
.LBB8_1491:
	s_or_b32 exec_lo, exec_lo, s4
	s_and_saveexec_b32 s4, s5
	s_delay_alu instid0(SALU_CYCLE_1)
	s_xor_b32 s4, exec_lo, s4
	s_cbranch_execz .LBB8_1493
; %bb.1492:
	v_mov_b32_e32 v0, 1
	ds_store_b32 v0, v0
	s_trap 2
.LBB8_1493:
	s_or_b32 exec_lo, exec_lo, s3
	;;#ASMSTART
	s_wakeup
	;;#ASMEND
.LBB8_1494:
	s_or_b32 exec_lo, exec_lo, s2
.LBB8_1495:
	s_and_not1_saveexec_b32 s0, s0
	s_cbranch_execz .LBB8_1497
; %bb.1496:
	global_wb scope:SCOPE_DEV
	s_wait_storecnt 0x0
	s_wait_loadcnt_dscnt 0x0
	global_inv scope:SCOPE_DEV
	s_barrier_signal -1
	s_barrier_wait -1
.LBB8_1497:
	s_or_b32 exec_lo, exec_lo, s1
.LBB8_1498:
	s_and_not1_saveexec_b32 s21, s16
	s_cbranch_execz .LBB8_1500
; %bb.1499:
	s_get_pc_i64 s[0:1]
	s_add_nc_u64 s[0:1], s[0:1], __PRETTY_FUNCTION__._ZN10PrimitivesI12hip_bfloat1610FuncMinMaxIS0_E12FanSymmetricILi1EELi0E11ProtoSimpleILi1ELi1ELi0ELi2ELi0ELi0EELi0ELb0ELi0ELi1ELi0EEC2EiiPKiS9_PKvPvmhhhP15ncclDevWorkCollP14ncclDevWorkP2pii@rel64+4
	s_get_pc_i64 s[2:3]
	s_add_nc_u64 s[2:3], s[2:3], __assert_fail@rel64+4
	v_dual_mov_b32 v0, s0 :: v_dual_mov_b32 v1, s1
	s_swap_pc_i64 s[30:31], s[2:3]
	; divergent unreachable
.LBB8_1500:
	s_or_b32 exec_lo, exec_lo, s21
	s_clause 0x23
	scratch_load_b32 v107, off, s33
	scratch_load_b32 v106, off, s33 offset:4
	scratch_load_b32 v105, off, s33 offset:8
	;; [unrolled: 1-line block ×35, first 2 shown]
	v_readlane_b32 s30, v108, 0
	v_readlane_b32 s31, v108, 1
	s_mov_b32 s32, s33
	s_wait_xcnt 0x0
	s_or_saveexec_b32 s0, -1
	scratch_load_b32 v108, off, s33 offset:224 ; 4-byte Folded Reload
	s_wait_xcnt 0x0
	s_mov_b32 exec_lo, s0
	s_mov_b32 s33, s56
	s_wait_loadcnt_dscnt 0x0
	s_set_pc_i64 s[30:31]
.Lfunc_end8:
	.size	_ZN12_GLOBAL__N_17runRingI12hip_bfloat1610FuncMinMaxIS1_E11ProtoSimpleILi1ELi1ELi0ELi2ELi0ELi0EELi0ELi2ELi1EEEviiP15ncclDevWorkColl, .Lfunc_end8-_ZN12_GLOBAL__N_17runRingI12hip_bfloat1610FuncMinMaxIS1_E11ProtoSimpleILi1ELi1ELi0ELi2ELi0ELi0EELi0ELi2ELi1EEEviiP15ncclDevWorkColl
                                        ; -- End function
	.set .L_ZN12_GLOBAL__N_17runRingI12hip_bfloat1610FuncMinMaxIS1_E11ProtoSimpleILi1ELi1ELi0ELi2ELi0ELi0EELi0ELi2ELi1EEEviiP15ncclDevWorkColl.num_vgpr, max(120, .L__assert_fail.num_vgpr)
	.set .L_ZN12_GLOBAL__N_17runRingI12hip_bfloat1610FuncMinMaxIS1_E11ProtoSimpleILi1ELi1ELi0ELi2ELi0ELi0EELi0ELi2ELi1EEEviiP15ncclDevWorkColl.num_agpr, max(0, .L__assert_fail.num_agpr)
	.set .L_ZN12_GLOBAL__N_17runRingI12hip_bfloat1610FuncMinMaxIS1_E11ProtoSimpleILi1ELi1ELi0ELi2ELi0ELi0EELi0ELi2ELi1EEEviiP15ncclDevWorkColl.numbered_sgpr, max(57, .L__assert_fail.numbered_sgpr)
	.set .L_ZN12_GLOBAL__N_17runRingI12hip_bfloat1610FuncMinMaxIS1_E11ProtoSimpleILi1ELi1ELi0ELi2ELi0ELi0EELi0ELi2ELi1EEEviiP15ncclDevWorkColl.num_named_barrier, max(0, .L__assert_fail.num_named_barrier)
	.set .L_ZN12_GLOBAL__N_17runRingI12hip_bfloat1610FuncMinMaxIS1_E11ProtoSimpleILi1ELi1ELi0ELi2ELi0ELi0EELi0ELi2ELi1EEEviiP15ncclDevWorkColl.private_seg_size, 240+max(.L__assert_fail.private_seg_size)
	.set .L_ZN12_GLOBAL__N_17runRingI12hip_bfloat1610FuncMinMaxIS1_E11ProtoSimpleILi1ELi1ELi0ELi2ELi0ELi0EELi0ELi2ELi1EEEviiP15ncclDevWorkColl.uses_vcc, or(1, .L__assert_fail.uses_vcc)
	.set .L_ZN12_GLOBAL__N_17runRingI12hip_bfloat1610FuncMinMaxIS1_E11ProtoSimpleILi1ELi1ELi0ELi2ELi0ELi0EELi0ELi2ELi1EEEviiP15ncclDevWorkColl.uses_flat_scratch, or(1, .L__assert_fail.uses_flat_scratch)
	.set .L_ZN12_GLOBAL__N_17runRingI12hip_bfloat1610FuncMinMaxIS1_E11ProtoSimpleILi1ELi1ELi0ELi2ELi0ELi0EELi0ELi2ELi1EEEviiP15ncclDevWorkColl.has_dyn_sized_stack, or(0, .L__assert_fail.has_dyn_sized_stack)
	.set .L_ZN12_GLOBAL__N_17runRingI12hip_bfloat1610FuncMinMaxIS1_E11ProtoSimpleILi1ELi1ELi0ELi2ELi0ELi0EELi0ELi2ELi1EEEviiP15ncclDevWorkColl.has_recursion, or(1, .L__assert_fail.has_recursion)
	.set .L_ZN12_GLOBAL__N_17runRingI12hip_bfloat1610FuncMinMaxIS1_E11ProtoSimpleILi1ELi1ELi0ELi2ELi0ELi0EELi0ELi2ELi1EEEviiP15ncclDevWorkColl.has_indirect_call, or(0, .L__assert_fail.has_indirect_call)
	.section	.AMDGPU.csdata,"",@progbits
; Function info:
; codeLenInByte = 57356
; TotalNumSgprs: 59
; NumVgprs: 120
; ScratchSize: 304
; MemoryBound: 1
	.text
	.p2align	2                               ; -- Begin function _Z48ncclDevFunc_Reduce_RING_SIMPLE_MinMax_bf16_0_1_2v
	.type	_Z48ncclDevFunc_Reduce_RING_SIMPLE_MinMax_bf16_0_1_2v,@function
_Z48ncclDevFunc_Reduce_RING_SIMPLE_MinMax_bf16_0_1_2v: ; @_Z48ncclDevFunc_Reduce_RING_SIMPLE_MinMax_bf16_0_1_2v
; %bb.0:
	s_wait_loadcnt_dscnt 0x0
	s_wait_kmcnt 0x0
	s_mov_b32 s72, s33
	s_mov_b32 s33, s32
	s_or_saveexec_b32 s0, -1
	scratch_store_b32 off, v42, s33 offset:12 ; 4-byte Folded Spill
	s_wait_xcnt 0x0
	s_mov_b32 exec_lo, s0
	s_add_co_i32 s32, s32, 32
	s_clause 0x2
	scratch_store_b32 off, v40, s33 offset:8
	; meta instruction
	scratch_store_b32 off, v41, s33 offset:4
	; meta instruction
	scratch_store_b32 off, v108, s33
	v_writelane_b32 v42, s30, 0
	v_writelane_b32 v42, s31, 1
	s_trap 2
	ds_load_b32 v0, v0
	s_wait_xcnt 0x2
	v_mov_b32_e32 v40, v31
	s_mov_b32 s57, s12
	s_mov_b64 s[58:59], s[8:9]
	s_mov_b32 s2, exec_lo
	s_wait_xcnt 0x1
	v_and_b32_e32 v41, 0x3ff, v40
	s_wait_dscnt 0x0
	s_wait_xcnt 0x0
	s_delay_alu instid0(VALU_DEP_1)
	v_cmpx_lt_i32_e64 v41, v0
	s_cbranch_execz .LBB9_5
; %bb.1:
	s_load_b32 s0, s[58:59], 0x0
	s_bfe_u32 s1, ttmp6, 0x4000c
	s_and_b32 s3, ttmp6, 15
	s_add_co_i32 s1, s1, 1
	s_getreg_b32 s4, hwreg(HW_REG_IB_STS2, 6, 4)
	s_mul_i32 s1, ttmp9, s1
	v_mov_b32_e32 v2, v41
	s_add_co_i32 s3, s3, s1
	s_cmp_eq_u32 s4, 0
                                        ; implicit-def: $vgpr3
	s_cselect_b32 s1, ttmp9, s3
	s_mov_b32 s3, 0
	s_wait_kmcnt 0x0
	s_cmp_lt_u32 s1, s0
	s_mov_b32 s1, 0
	s_cselect_b32 s0, 12, 18
	s_delay_alu instid0(SALU_CYCLE_1)
	s_add_nc_u64 s[4:5], s[58:59], s[0:1]
	s_load_u16 s0, s[4:5], 0x0
	s_trap 2
	ds_load_b32 v1, v0
	s_wait_dscnt 0x0
	s_wait_kmcnt 0x0
	v_mul_lo_u32 v1, v1, s0
	s_branch .LBB9_3
.LBB9_2:                                ;   in Loop: Header=BB9_3 Depth=1
	s_or_b32 exec_lo, exec_lo, s4
	v_dual_add_nc_u32 v2, s0, v2 :: v_dual_add_nc_u32 v3, v3, v1
	s_delay_alu instid0(VALU_DEP_1) | instskip(SKIP_1) | instid1(SALU_CYCLE_1)
	v_cmp_ge_i32_e32 vcc_lo, v2, v0
	s_or_b32 s3, vcc_lo, s3
	s_and_not1_b32 exec_lo, exec_lo, s3
	s_cbranch_execz .LBB9_5
.LBB9_3:                                ; =>This Inner Loop Header: Depth=1
	ds_load_b32 v4, v3
	s_mov_b32 s4, exec_lo
	s_wait_dscnt 0x0
	v_and_b32_e32 v4, 0x1000000, v4
	s_delay_alu instid0(VALU_DEP_1)
	v_cmpx_ne_u32_e32 0, v4
	s_cbranch_execz .LBB9_2
; %bb.4:                                ;   in Loop: Header=BB9_3 Depth=1
	ds_load_b64 v[4:5], v3 offset:104
	s_wait_dscnt 0x0
	flat_load_u16 v4, v[4:5]
	s_wait_xcnt 0x0
	v_mov_b32_e32 v5, s1
	s_wait_loadcnt_dscnt 0x0
	v_and_b32_e32 v4, 0xffff, v4
	ds_store_b64 v3, v[4:5] offset:104
	s_branch .LBB9_2
.LBB9_5:
	s_or_b32 exec_lo, exec_lo, s2
	s_wait_storecnt_dscnt 0x0
	s_barrier_signal -1
	s_barrier_wait -1
	s_trap 2
	ds_load_b32 v0, v0
	s_wait_dscnt 0x0
	v_cmp_gt_i32_e32 vcc_lo, 1, v0
	s_cbranch_vccnz .LBB9_13
; %bb.6:
	s_mov_b32 s62, 0
	s_get_pc_i64 s[60:61]
	s_add_nc_u64 s[60:61], s[60:61], _ZN12_GLOBAL__N_17runRingI12hip_bfloat1610FuncMinMaxIS1_E11ProtoSimpleILi1ELi1ELi0ELi2ELi0ELi0EELi0ELi2ELi1EEEviiP15ncclDevWorkColl@rel64+4
	s_branch .LBB9_8
.LBB9_7:                                ;   in Loop: Header=BB9_8 Depth=1
	s_or_b32 exec_lo, exec_lo, s63
	s_trap 2
	ds_load_b32 v0, v0
	s_add_co_i32 s62, s62, 1
	s_wait_dscnt 0x0
	v_cmp_lt_i32_e32 vcc_lo, s62, v0
	s_cbranch_vccz .LBB9_13
.LBB9_8:                                ; =>This Inner Loop Header: Depth=1
	s_trap 2
	ds_load_b32 v0, v0
	s_cmp_eq_u32 s62, 0
	s_cbranch_scc1 .LBB9_11
; %bb.9:                                ;   in Loop: Header=BB9_8 Depth=1
	s_trap 2
	s_wait_dscnt 0x0
	ds_load_b32 v1, v0
	s_wait_dscnt 0x0
	v_xor_b32_e32 v1, v1, v0
	s_delay_alu instid0(VALU_DEP_1) | instskip(NEXT) | instid1(VALU_DEP_1)
	v_and_b32_e32 v1, 0xff0000, v1
	v_cmp_eq_u32_e32 vcc_lo, 0, v1
	s_cbranch_vccnz .LBB9_11
; %bb.10:                               ;   in Loop: Header=BB9_8 Depth=1
	s_barrier_signal -1
	s_barrier_wait -1
	ds_load_b32 v0, v0
.LBB9_11:                               ;   in Loop: Header=BB9_8 Depth=1
	s_wait_dscnt 0x0
	v_lshrrev_b32_e32 v0, 11, v0
	s_mov_b32 s63, exec_lo
	s_delay_alu instid0(VALU_DEP_1) | instskip(NEXT) | instid1(VALU_DEP_1)
	v_and_b32_e32 v1, 0x1fe0, v0
	v_cmpx_lt_u32_e64 v41, v1
	s_cbranch_execz .LBB9_7
; %bb.12:                               ;   in Loop: Header=BB9_8 Depth=1
	s_mov_b64 s[0:1], src_shared_base
	v_dual_mov_b32 v31, v40 :: v_dual_mov_b32 v0, v41
	v_mov_b32_e32 v3, s1
	s_mov_b64 s[8:9], s[58:59]
	s_mov_b32 s12, s57
	s_swap_pc_i64 s[30:31], s[60:61]
	s_branch .LBB9_7
.LBB9_13:
	s_clause 0x2
	scratch_load_b32 v108, off, s33
	scratch_load_b32 v41, off, s33 offset:4
	scratch_load_b32 v40, off, s33 offset:8
	v_readlane_b32 s30, v42, 0
	v_readlane_b32 s31, v42, 1
	s_mov_b32 s32, s33
	s_wait_xcnt 0x0
	s_or_saveexec_b32 s0, -1
	scratch_load_b32 v42, off, s33 offset:12 ; 4-byte Folded Reload
	s_wait_xcnt 0x0
	s_mov_b32 exec_lo, s0
	s_mov_b32 s33, s72
	s_wait_loadcnt 0x0
	s_set_pc_i64 s[30:31]
.Lfunc_end9:
	.size	_Z48ncclDevFunc_Reduce_RING_SIMPLE_MinMax_bf16_0_1_2v, .Lfunc_end9-_Z48ncclDevFunc_Reduce_RING_SIMPLE_MinMax_bf16_0_1_2v
                                        ; -- End function
	.set .L_Z48ncclDevFunc_Reduce_RING_SIMPLE_MinMax_bf16_0_1_2v.num_vgpr, max(109, .L_ZN12_GLOBAL__N_17runRingI12hip_bfloat1610FuncMinMaxIS1_E11ProtoSimpleILi1ELi1ELi0ELi2ELi0ELi0EELi0ELi2ELi1EEEviiP15ncclDevWorkColl.num_vgpr)
	.set .L_Z48ncclDevFunc_Reduce_RING_SIMPLE_MinMax_bf16_0_1_2v.num_agpr, max(0, .L_ZN12_GLOBAL__N_17runRingI12hip_bfloat1610FuncMinMaxIS1_E11ProtoSimpleILi1ELi1ELi0ELi2ELi0ELi0EELi0ELi2ELi1EEEviiP15ncclDevWorkColl.num_agpr)
	.set .L_Z48ncclDevFunc_Reduce_RING_SIMPLE_MinMax_bf16_0_1_2v.numbered_sgpr, max(73, .L_ZN12_GLOBAL__N_17runRingI12hip_bfloat1610FuncMinMaxIS1_E11ProtoSimpleILi1ELi1ELi0ELi2ELi0ELi0EELi0ELi2ELi1EEEviiP15ncclDevWorkColl.numbered_sgpr)
	.set .L_Z48ncclDevFunc_Reduce_RING_SIMPLE_MinMax_bf16_0_1_2v.num_named_barrier, max(0, .L_ZN12_GLOBAL__N_17runRingI12hip_bfloat1610FuncMinMaxIS1_E11ProtoSimpleILi1ELi1ELi0ELi2ELi0ELi0EELi0ELi2ELi1EEEviiP15ncclDevWorkColl.num_named_barrier)
	.set .L_Z48ncclDevFunc_Reduce_RING_SIMPLE_MinMax_bf16_0_1_2v.private_seg_size, 32+max(.L_ZN12_GLOBAL__N_17runRingI12hip_bfloat1610FuncMinMaxIS1_E11ProtoSimpleILi1ELi1ELi0ELi2ELi0ELi0EELi0ELi2ELi1EEEviiP15ncclDevWorkColl.private_seg_size)
	.set .L_Z48ncclDevFunc_Reduce_RING_SIMPLE_MinMax_bf16_0_1_2v.uses_vcc, or(1, .L_ZN12_GLOBAL__N_17runRingI12hip_bfloat1610FuncMinMaxIS1_E11ProtoSimpleILi1ELi1ELi0ELi2ELi0ELi0EELi0ELi2ELi1EEEviiP15ncclDevWorkColl.uses_vcc)
	.set .L_Z48ncclDevFunc_Reduce_RING_SIMPLE_MinMax_bf16_0_1_2v.uses_flat_scratch, or(1, .L_ZN12_GLOBAL__N_17runRingI12hip_bfloat1610FuncMinMaxIS1_E11ProtoSimpleILi1ELi1ELi0ELi2ELi0ELi0EELi0ELi2ELi1EEEviiP15ncclDevWorkColl.uses_flat_scratch)
	.set .L_Z48ncclDevFunc_Reduce_RING_SIMPLE_MinMax_bf16_0_1_2v.has_dyn_sized_stack, or(0, .L_ZN12_GLOBAL__N_17runRingI12hip_bfloat1610FuncMinMaxIS1_E11ProtoSimpleILi1ELi1ELi0ELi2ELi0ELi0EELi0ELi2ELi1EEEviiP15ncclDevWorkColl.has_dyn_sized_stack)
	.set .L_Z48ncclDevFunc_Reduce_RING_SIMPLE_MinMax_bf16_0_1_2v.has_recursion, or(1, .L_ZN12_GLOBAL__N_17runRingI12hip_bfloat1610FuncMinMaxIS1_E11ProtoSimpleILi1ELi1ELi0ELi2ELi0ELi0EELi0ELi2ELi1EEEviiP15ncclDevWorkColl.has_recursion)
	.set .L_Z48ncclDevFunc_Reduce_RING_SIMPLE_MinMax_bf16_0_1_2v.has_indirect_call, or(0, .L_ZN12_GLOBAL__N_17runRingI12hip_bfloat1610FuncMinMaxIS1_E11ProtoSimpleILi1ELi1ELi0ELi2ELi0ELi0EELi0ELi2ELi1EEEviiP15ncclDevWorkColl.has_indirect_call)
	.section	.AMDGPU.csdata,"",@progbits
; Function info:
; codeLenInByte = 756
; TotalNumSgprs: 75
; NumVgprs: 120
; ScratchSize: 336
; MemoryBound: 0
	.text
	.p2align	2                               ; -- Begin function _ZN12_GLOBAL__N_17runRingI12hip_bfloat1610FuncMinMaxIS1_E11ProtoSimpleILi1ELi1ELi0ELi4ELi0ELi0EELi0ELi4ELi0EEEviiP15ncclDevWorkColl
	.type	_ZN12_GLOBAL__N_17runRingI12hip_bfloat1610FuncMinMaxIS1_E11ProtoSimpleILi1ELi1ELi0ELi4ELi0ELi0EELi0ELi4ELi0EEEviiP15ncclDevWorkColl,@function
_ZN12_GLOBAL__N_17runRingI12hip_bfloat1610FuncMinMaxIS1_E11ProtoSimpleILi1ELi1ELi0ELi4ELi0ELi0EELi0ELi4ELi0EEEviiP15ncclDevWorkColl: ; @_ZN12_GLOBAL__N_17runRingI12hip_bfloat1610FuncMinMaxIS1_E11ProtoSimpleILi1ELi1ELi0ELi4ELi0ELi0EELi0ELi4ELi0EEEviiP15ncclDevWorkColl
; %bb.0:
	s_wait_loadcnt_dscnt 0x0
	s_wait_kmcnt 0x0
	s_mov_b32 s43, s33
	s_mov_b32 s33, s32
	s_or_saveexec_b32 s0, -1
	scratch_store_b32 off, v88, s33 offset:96 ; 4-byte Folded Spill
	s_wait_xcnt 0x0
	s_mov_b32 exec_lo, s0
	s_addk_co_i32 s32, 0x70
	s_clause 0x17
	scratch_store_b32 off, v40, s33 offset:92
	; meta instruction
	scratch_store_b32 off, v41, s33 offset:88
	; meta instruction
	;; [unrolled: 2-line block ×23, first 2 shown]
	scratch_store_b32 off, v79, s33
	v_writelane_b32 v88, s30, 0
	v_writelane_b32 v88, s31, 1
	s_trap 2
	ds_load_b64 v[14:15], v0
	ds_load_b32 v9, v0
	flat_load_b64 v[6:7], v[2:3]
                                        ; implicit-def: $vgpr18_vgpr19
                                        ; implicit-def: $vgpr4_vgpr5
                                        ; implicit-def: $vgpr52_vgpr53
	s_wait_dscnt 0x2
	v_readfirstlane_b32 s0, v14
	v_readfirstlane_b32 s1, v15
	flat_load_u16 v17, v[2:3] offset:8
	flat_load_b32 v24, v15, s[0:1] offset:-4 scale_offset
	s_wait_xcnt 0x0
	s_mov_b32 s0, exec_lo
	s_wait_loadcnt_dscnt 0x202
	v_and_b32_e32 v8, 0xff, v6
	v_mov_b32_e32 v16, v7
	s_delay_alu instid0(VALU_DEP_2)
	v_cmpx_ne_u32_e64 v9, v8
	s_xor_b32 s0, exec_lo, s0
	s_cbranch_execz .LBB10_6
; %bb.1:
	v_bfe_u32 v10, v6, 8, 8
	v_not_b32_e32 v8, v8
	s_mov_b32 s1, exec_lo
                                        ; implicit-def: $vgpr18_vgpr19
                                        ; implicit-def: $vgpr4_vgpr5
                                        ; implicit-def: $vgpr52_vgpr53
	s_delay_alu instid0(VALU_DEP_2)
	v_cmpx_ne_u32_e64 v9, v10
	s_xor_b32 s1, exec_lo, s1
	s_cbranch_execz .LBB10_3
; %bb.2:
	s_clause 0x1
	flat_load_b128 v[4:7], v[2:3] offset:72
	flat_load_b64 v[10:11], v[2:3] offset:96
	v_add_nc_u32_e32 v8, v9, v8
	s_wait_loadcnt_dscnt 0x101
	s_delay_alu instid0(VALU_DEP_1) | instskip(SKIP_3) | instid1(VALU_DEP_3)
	v_mad_nc_u64_u32 v[52:53], v6, v8, v[4:5]
	v_ashrrev_i32_e32 v5, 31, v8
	s_wait_loadcnt_dscnt 0x0
	v_lshrrev_b64 v[18:19], 13, v[10:11]
                                        ; implicit-def: $vgpr10
	v_mad_u32 v4, v7, v8, v53
                                        ; implicit-def: $vgpr8
	s_delay_alu instid0(VALU_DEP_1)
	v_mad_u32 v53, v6, v5, v4
	v_mov_b64_e32 v[4:5], v[6:7]
.LBB10_3:
	s_wait_xcnt 0x0
	s_and_not1_saveexec_b32 s1, s1
	s_cbranch_execz .LBB10_5
; %bb.4:
	s_clause 0x1
	flat_load_b128 v[18:21], v[2:3] offset:72
	flat_load_b128 v[4:7], v[2:3] offset:88
	s_wait_loadcnt_dscnt 0x0
	v_add_nc_u32_e32 v6, v10, v8
	s_delay_alu instid0(VALU_DEP_1) | instskip(SKIP_1) | instid1(VALU_DEP_2)
	v_mad_nc_u64_u32 v[52:53], v20, v6, v[18:19]
	v_lshrrev_b32_e32 v18, 2, v7
	v_mad_u32 v8, v21, v6, v53
	v_ashrrev_i32_e32 v6, 31, v6
	s_delay_alu instid0(VALU_DEP_1)
	v_mad_u32 v53, v20, v6, v8
.LBB10_5:
	s_wait_xcnt 0x0
	s_or_b32 exec_lo, exec_lo, s1
.LBB10_6:
	s_and_not1_saveexec_b32 s0, s0
	s_cbranch_execz .LBB10_8
; %bb.7:
	s_clause 0x1
	flat_load_b64 v[6:7], v[2:3] offset:96
	flat_load_b64 v[4:5], v[2:3] offset:72
	v_mov_b64_e32 v[52:53], 0
	s_wait_loadcnt_dscnt 0x101
	v_lshlrev_b64_e32 v[18:19], 8, v[6:7]
.LBB10_8:
	s_wait_xcnt 0x0
	s_or_b32 exec_lo, exec_lo, s0
	s_trap 2
	ds_load_b64 v[6:7], v0
	s_mov_b32 s1, 0
	s_mov_b32 s2, exec_lo
	s_wait_dscnt 0x0
	v_cmp_ne_u32_e32 vcc_lo, -1, v6
	v_cndmask_b32_e64 v15, 0, 1, vcc_lo
	v_cmp_ne_u32_e32 vcc_lo, -1, v7
	s_delay_alu instid0(VALU_DEP_2) | instskip(NEXT) | instid1(VALU_DEP_1)
	v_add_co_ci_u32_e64 v6, null, 0, v15, vcc_lo
	v_lshlrev_b32_e32 v7, 1, v6
	s_delay_alu instid0(VALU_DEP_1)
	v_cmpx_le_u32_e64 v7, v1
	s_xor_b32 s14, exec_lo, s2
	s_cbranch_execz .LBB10_1057
; %bb.9:
	s_clause 0x1
	flat_load_b128 v[10:13], v[2:3] offset:16
	flat_load_b64 v[20:21], v[2:3] offset:104
	s_trap 2
	s_load_b32 s0, s[8:9], 0x0
	s_bfe_u32 s2, ttmp6, 0x4000c
	s_and_b32 s3, ttmp6, 15
	s_add_co_i32 s2, s2, 1
	s_getreg_b32 s4, hwreg(HW_REG_IB_STS2, 6, 4)
	s_mul_i32 s2, ttmp9, s2
	v_dual_mov_b32 v2, 0 :: v_dual_mov_b32 v30, 4
	s_add_co_i32 s3, s3, s2
	s_cmp_eq_u32 s4, 0
	s_cselect_b32 s2, ttmp9, s3
	s_wait_kmcnt 0x0
	s_cmp_lt_u32 s2, s0
	s_mov_b32 s2, exec_lo
	s_cselect_b32 s0, 12, 18
	s_delay_alu instid0(SALU_CYCLE_1)
	s_add_nc_u64 s[0:1], s[8:9], s[0:1]
	global_load_u16 v19, v2, s[0:1]
	s_wait_xcnt 0x0
	ds_load_b32 v2, v0
	s_wait_dscnt 0x0
	v_readfirstlane_b32 s1, v2
	v_cmpx_ge_u32_e64 v0, v15
	s_cbranch_execz .LBB10_19
; %bb.10:
	v_cmp_ge_u32_e64 s0, v0, v6
                                        ; implicit-def: $vgpr30
	s_and_saveexec_b32 s3, s0
	s_delay_alu instid0(SALU_CYCLE_1)
	s_xor_b32 s0, exec_lo, s3
	s_cbranch_execz .LBB10_16
; %bb.11:
	v_cndmask_b32_e64 v2, 0, 1, vcc_lo
	s_mov_b32 s3, exec_lo
	s_delay_alu instid0(VALU_DEP_1) | instskip(NEXT) | instid1(VALU_DEP_1)
	v_sub_nc_u32_e32 v2, v1, v2
	v_cmpx_ge_u32_e64 v0, v2
	s_xor_b32 s3, exec_lo, s3
; %bb.12:
                                        ; implicit-def: $vgpr6
; %bb.13:
	s_delay_alu instid0(SALU_CYCLE_1)
	s_or_saveexec_b32 s3, s3
	v_mov_b32_e32 v30, 16
	s_xor_b32 exec_lo, exec_lo, s3
; %bb.14:
	v_sub_nc_u32_e32 v2, v1, v6
	s_delay_alu instid0(VALU_DEP_1)
	v_cmp_lt_i32_e32 vcc_lo, v0, v2
	v_cndmask_b32_e64 v30, 32, 0, vcc_lo
; %bb.15:
	s_or_b32 exec_lo, exec_lo, s3
.LBB10_16:
	s_and_not1_saveexec_b32 s0, s0
; %bb.17:
	v_mov_b32_e32 v30, 8
; %bb.18:
	s_or_b32 exec_lo, exec_lo, s0
.LBB10_19:
	s_delay_alu instid0(SALU_CYCLE_1) | instskip(NEXT) | instid1(VALU_DEP_1)
	s_or_b32 exec_lo, exec_lo, s2
	v_dual_mov_b32 v25, -1 :: v_dual_bitop2_b32 v2, 36, v30 bitop3:0x40
	s_delay_alu instid0(VALU_DEP_1)
	v_cmp_ne_u32_e32 vcc_lo, 0, v2
	s_and_saveexec_b32 s0, vcc_lo
	s_cbranch_execz .LBB10_21
; %bb.20:
	s_trap 2
	ds_load_b32 v25, v0
.LBB10_21:
	s_or_b32 exec_lo, exec_lo, s0
	v_and_b32_e32 v2, 24, v30
	s_mov_b32 s2, exec_lo
	s_delay_alu instid0(VALU_DEP_1)
	v_cmpx_ne_u32_e32 0, v2
	s_cbranch_execz .LBB10_23
; %bb.22:
	s_trap 2
	s_wait_dscnt 0x0
	ds_load_b32 v25, v0
.LBB10_23:
	s_or_b32 exec_lo, exec_lo, s2
	s_wait_loadcnt 0x4
	v_lshrrev_b64 v[2:3], 31, v[16:17]
	v_mov_b64_e32 v[54:55], 0
	v_mov_b64_e32 v[6:7], 0
                                        ; implicit-def: $vgpr66
                                        ; implicit-def: $vgpr80_vgpr81
                                        ; implicit-def: $vgpr68_vgpr69
                                        ; implicit-def: $vgpr64_vgpr65
	s_delay_alu instid0(VALU_DEP_3) | instskip(NEXT) | instid1(VALU_DEP_1)
	v_and_b32_e32 v2, 3, v2
	v_and_b32_e32 v17, 0xffff, v2
                                        ; implicit-def: $vgpr2_vgpr3
	s_and_saveexec_b32 s0, vcc_lo
	s_cbranch_execz .LBB10_33
; %bb.24:
	s_trap 2
	ds_load_b64 v[2:3], v0
	s_wait_dscnt 0x0
	v_readfirstlane_b32 s2, v2
	v_readfirstlane_b32 s3, v3
	flat_load_b64 v[2:3], v25, s[2:3] scale_offset
	s_wait_loadcnt_dscnt 0x0
	v_mad_nc_u64_u32 v[22:23], 0xa8, v17, v[2:3]
	flat_load_b32 v2, v[22:23] offset:640
	s_wait_loadcnt_dscnt 0x0
	v_cmp_eq_u32_e32 vcc_lo, 1, v2
                                        ; implicit-def: $vgpr2_vgpr3
	s_wait_xcnt 0x0
	s_and_saveexec_b32 s2, vcc_lo
	s_cbranch_execz .LBB10_26
; %bb.25:
	flat_load_b64 v[2:3], v[22:23] offset:648
	v_or_b32_e32 v30, 0x2000, v30
	s_wait_loadcnt_dscnt 0x0
	flat_load_b64 v[6:7], v[2:3]
	s_trap 2
	s_wait_loadcnt_dscnt 0x0
	ds_store_b64 v0, v[6:7]
	flat_load_b64 v[6:7], v[2:3] offset:8
	s_wait_loadcnt_dscnt 0x0
	ds_store_b64 v0, v[6:7]
	flat_load_b64 v[6:7], v[2:3] offset:16
	s_wait_loadcnt_dscnt 0x0
	ds_store_b64 v0, v[6:7]
.LBB10_26:
	s_wait_xcnt 0x0
	s_or_b32 exec_lo, exec_lo, s2
	flat_load_b64 v[8:9], v[22:23] offset:608
	v_and_b32_e32 v6, 32, v30
	s_mov_b32 s2, exec_lo
                                        ; implicit-def: $vgpr64_vgpr65
	s_wait_xcnt 0x0
	s_delay_alu instid0(VALU_DEP_1)
	v_cmpx_ne_u32_e32 0, v6
	s_cbranch_execz .LBB10_28
; %bb.27:
	flat_load_b64 v[64:65], v[22:23] offset:560
	global_wb scope:SCOPE_SYS
	s_wait_storecnt 0x0
	s_wait_xcnt 0x0
	s_wait_loadcnt_dscnt 0x0
	flat_store_b64 v[64:65], v[8:9] scope:SCOPE_SYS
.LBB10_28:
	s_wait_xcnt 0x0
	s_or_b32 exec_lo, exec_lo, s2
	v_add_nc_u64_e32 v[54:55], 0x1f8, v[22:23]
	v_mov_b64_e32 v[6:7], 0
	v_and_b32_e32 v26, 4, v30
	s_mov_b32 s2, exec_lo
                                        ; implicit-def: $vgpr66
                                        ; implicit-def: $vgpr80_vgpr81
                                        ; implicit-def: $vgpr68_vgpr69
	s_delay_alu instid0(VALU_DEP_1)
	v_cmpx_ne_u32_e32 0, v26
	s_cbranch_execz .LBB10_32
; %bb.29:
	v_and_b32_e32 v6, 0x800, v30
	s_mov_b32 s3, exec_lo
	s_delay_alu instid0(VALU_DEP_1)
	v_cmpx_eq_u32_e32 0, v6
	s_cbranch_execz .LBB10_31
; %bb.30:
	s_trap 2
	ds_store_b64 v0, v[54:55]
.LBB10_31:
	s_or_b32 exec_lo, exec_lo, s3
	flat_load_b64 v[64:65], v[22:23] offset:552
	s_wait_loadcnt_dscnt 0x0
	flat_load_b64 v[80:81], v[64:65] scope:SCOPE_SYS
	s_clause 0x2
	flat_load_b32 v26, v[22:23] offset:576
	flat_load_b64 v[6:7], v[22:23] offset:600
	flat_load_b64 v[68:69], v[22:23] offset:520
	s_wait_xcnt 0x0
	v_or_b32_e32 v22, 0x100, v30
	s_wait_loadcnt_dscnt 0x202
	v_ashrrev_i32_e32 v66, 1, v26
	s_wait_loadcnt_dscnt 0x101
	v_cmp_eq_u64_e32 vcc_lo, 0, v[6:7]
	v_cndmask_b32_e32 v30, v22, v30, vcc_lo
.LBB10_32:
	s_or_b32 exec_lo, exec_lo, s2
.LBB10_33:
	s_delay_alu instid0(SALU_CYCLE_1) | instskip(NEXT) | instid1(VALU_DEP_1)
	s_or_b32 exec_lo, exec_lo, s0
	v_and_b32_e32 v22, 24, v30
	s_mov_b32 s0, exec_lo
                                        ; implicit-def: $vgpr84_vgpr85
	s_delay_alu instid0(VALU_DEP_1)
	v_cmpx_ne_u32_e32 0, v22
	s_cbranch_execz .LBB10_41
; %bb.34:
	s_trap 2
	ds_load_b64 v[6:7], v0
                                        ; implicit-def: $vgpr84_vgpr85
	s_wait_dscnt 0x0
	v_readfirstlane_b32 s2, v6
	v_readfirstlane_b32 s3, v7
	flat_load_b64 v[6:7], v25, s[2:3] scale_offset
	s_wait_xcnt 0x0
	s_mov_b32 s2, exec_lo
	s_wait_loadcnt_dscnt 0x0
	v_mad_nc_u64_u32 v[54:55], 0xa8, v17, v[6:7]
	v_or_b32_e32 v17, 0x100, v30
	flat_load_b128 v[6:9], v[54:55] offset:96
	s_wait_loadcnt_dscnt 0x0
	v_cmp_eq_u64_e32 vcc_lo, 0, v[6:7]
	v_cndmask_b32_e32 v30, v17, v30, vcc_lo
	s_delay_alu instid0(VALU_DEP_1) | instskip(SKIP_1) | instid1(VALU_DEP_1)
	v_and_b32_e32 v17, 16, v30
	s_wait_xcnt 0x0
	v_cmpx_ne_u32_e32 0, v17
	s_cbranch_execz .LBB10_36
; %bb.35:
	s_clause 0x2
	flat_load_b64 v[64:65], v[54:55] offset:48
	flat_load_b64 v[84:85], v[54:55] offset:120
	;; [unrolled: 1-line block ×3, first 2 shown]
.LBB10_36:
	s_wait_xcnt 0x0
	s_or_b32 exec_lo, exec_lo, s2
	v_and_b32_e32 v17, 8, v30
	s_mov_b32 s2, exec_lo
	s_delay_alu instid0(VALU_DEP_1)
	v_cmpx_ne_u32_e32 0, v17
	s_cbranch_execz .LBB10_40
; %bb.37:
	v_and_b32_e32 v17, 0x800, v30
	s_mov_b32 s3, exec_lo
	s_delay_alu instid0(VALU_DEP_1)
	v_cmpx_eq_u32_e32 0, v17
	s_cbranch_execz .LBB10_39
; %bb.38:
	s_trap 2
	ds_store_b64 v0, v[54:55]
.LBB10_39:
	s_or_b32 exec_lo, exec_lo, s3
	s_wait_loadcnt_dscnt 0x202
	flat_load_b64 v[64:65], v[54:55] offset:56
	s_wait_loadcnt_dscnt 0x0
	flat_load_b64 v[80:81], v[64:65] scope:SCOPE_SYS
	s_clause 0x1
	flat_load_b32 v17, v[54:55] offset:72
	flat_load_b64 v[68:69], v[54:55] offset:16
	s_wait_loadcnt_dscnt 0x101
	v_ashrrev_i32_e32 v66, 1, v17
.LBB10_40:
	s_wait_xcnt 0x0
	s_or_b32 exec_lo, exec_lo, s2
.LBB10_41:
	s_delay_alu instid0(SALU_CYCLE_1)
	s_or_b32 exec_lo, exec_lo, s0
	v_cmp_eq_u32_e64 s0, 0, v0
	s_and_saveexec_b32 s2, s0
	s_cbranch_execz .LBB10_43
; %bb.42:
	v_mov_b64_e32 v[22:23], 0
	s_wait_loadcnt 0x2
	ds_store_2addr_b64 v0, v[12:13], v[10:11] offset1:1
	s_trap 2
	ds_store_b64 v0, v[22:23]
	s_wait_loadcnt 0x1
	ds_store_b64 v0, v[20:21]
.LBB10_43:
	s_or_b32 exec_lo, exec_lo, s2
	s_ashr_i32 s2, s1, 31
	v_and_b32_e32 v82, 0x1fffff00, v18
	s_lshr_b32 s2, s2, 29
	s_wait_loadcnt 0x2
	v_bfe_u32 v10, v16, 1, 30
	v_mov_b32_e32 v83, 0
	s_wait_loadcnt 0x0
	v_and_b32_e32 v60, 0xffff, v19
	s_add_co_i32 s1, s1, s2
                                        ; implicit-def: $vgpr70_vgpr71
	s_delay_alu instid0(SALU_CYCLE_1)
	s_ashr_i32 s15, s1, 4
	s_mov_b32 s1, exec_lo
	v_cmpx_ne_u32_e64 v24, v10
	s_xor_b32 s16, exec_lo, s1
	s_cbranch_execz .LBB10_849
; %bb.44:
                                        ; implicit-def: $vgpr70_vgpr71
	s_mov_b32 s1, exec_lo
	v_cmpx_ne_u32_e64 v14, v10
	s_xor_b32 s17, exec_lo, s1
	s_cbranch_execz .LBB10_452
; %bb.45:
	v_mov_b64_e32 v[70:71], 0
	s_mov_b32 s18, exec_lo
	v_cmpx_ne_u64_e32 0, v[4:5]
	s_cbranch_execz .LBB10_451
; %bb.46:
	v_dual_ashrrev_i32 v67, 31, v66 :: v_dual_bitop2_b32 v10, 31, v31 bitop3:0x40
	v_dual_lshrrev_b32 v61, 5, v0 :: v_dual_mov_b32 v87, 0
	v_dual_lshrrev_b32 v96, 5, v1 :: v_dual_bitop2_b32 v62, 31, v0 bitop3:0x40
	s_delay_alu instid0(VALU_DEP_3) | instskip(NEXT) | instid1(VALU_DEP_3)
	v_cmp_eq_u32_e64 s4, 0, v10
	v_dual_mov_b32 v101, v87 :: v_dual_lshlrev_b32 v10, 11, v61
	s_lshr_b32 s2, s15, 27
	v_cmp_eq_u32_e32 vcc_lo, 32, v1
	v_mov_b64_e32 v[116:117], 0
	s_delay_alu instid0(VALU_DEP_3)
	v_lshl_or_b32 v98, v62, 4, v10
	v_lshlrev_b32_e32 v10, 1, v1
	s_wait_dscnt 0x1
	v_cmp_eq_u64_e64 s7, 0, v[84:85]
	v_mov_b64_e32 v[118:119], 0
	v_mov_b64_e32 v[70:71], 0
	v_cmp_ge_u32_e64 s1, v0, v1
	s_add_co_i32 s10, s15, s2
	v_cmp_ne_u32_e64 s2, 32, v1
	v_cmp_ne_u32_e64 s3, v1, v60
	v_mov_b32_e32 v97, v87
	v_cmp_le_u32_e64 s5, v62, v15
	v_cmp_lt_u32_e64 s6, v62, v15
	v_dual_mov_b32 v99, v87 :: v_dual_lshlrev_b32 v100, 11, v96
	v_dual_mov_b32 v103, v87 :: v_dual_lshlrev_b32 v102, 9, v96
	;; [unrolled: 1-line block ×3, first 2 shown]
	v_and_b32_e32 v114, 0x3fc0, v10
	v_dual_mov_b32 v115, v87 :: v_dual_mov_b32 v63, 1
	v_mov_b32_e32 v72, 0x90
	s_ashr_i32 s20, s10, 5
	s_mov_b32 s19, 0
	s_xor_b32 s21, vcc_lo, -1
	s_trap 2
	s_branch .LBB10_49
.LBB10_47:                              ;   in Loop: Header=BB10_49 Depth=1
	s_wait_xcnt 0x0
	s_or_b32 exec_lo, exec_lo, s10
.LBB10_48:                              ;   in Loop: Header=BB10_49 Depth=1
	s_delay_alu instid0(SALU_CYCLE_1) | instskip(SKIP_1) | instid1(VALU_DEP_1)
	s_or_b32 exec_lo, exec_lo, s11
	v_add_nc_u64_e32 v[118:119], v[118:119], v[82:83]
	v_cmp_ge_u64_e32 vcc_lo, v[118:119], v[4:5]
	s_or_b32 s19, vcc_lo, s19
	s_delay_alu instid0(SALU_CYCLE_1)
	s_and_not1_b32 exec_lo, exec_lo, s19
	s_cbranch_execz .LBB10_450
.LBB10_49:                              ; =>This Loop Header: Depth=1
                                        ;     Child Loop BB10_58 Depth 2
                                        ;     Child Loop BB10_86 Depth 2
	;; [unrolled: 1-line block ×10, first 2 shown]
	v_sub_nc_u64_e32 v[10:11], v[4:5], v[118:119]
	s_delay_alu instid0(VALU_DEP_1) | instskip(NEXT) | instid1(VALU_DEP_1)
	v_min_u64 v[40:41], v[82:83], v[10:11]
	v_add_nc_u32_e32 v10, 15, v40
	s_delay_alu instid0(VALU_DEP_2) | instskip(NEXT) | instid1(VALU_DEP_2)
	v_cmp_eq_u64_e32 vcc_lo, 0, v[40:41]
	v_and_b32_e32 v10, 0x3ffffff0, v10
	s_or_b32 s22, s1, vcc_lo
	s_delay_alu instid0(SALU_CYCLE_1) | instskip(NEXT) | instid1(VALU_DEP_1)
	s_xor_b32 s10, s22, -1
	v_dual_mov_b32 v10, 0 :: v_dual_max_i32 v41, s20, v10
	s_and_saveexec_b32 s23, s10
	s_cbranch_execz .LBB10_398
; %bb.50:                               ;   in Loop: Header=BB10_49 Depth=1
	s_and_saveexec_b32 s10, s0
	s_cbranch_execz .LBB10_52
; %bb.51:                               ;   in Loop: Header=BB10_49 Depth=1
	s_trap 2
	ds_load_b64 v[10:11], v0
	s_wait_dscnt 0x0
	v_lshl_add_u64 v[10:11], v[52:53], 1, v[10:11]
	s_delay_alu instid0(VALU_DEP_1)
	v_lshl_add_u64 v[10:11], v[118:119], 1, v[10:11]
	ds_store_b64 v0, v[10:11]
	ds_store_b64 v0, v[116:117]
.LBB10_52:                              ;   in Loop: Header=BB10_49 Depth=1
	s_or_b32 exec_lo, exec_lo, s10
	v_and_b32_e32 v10, 12, v30
	v_min_u32_e32 v41, v41, v40
	s_mov_b32 s11, exec_lo
	s_delay_alu instid0(VALU_DEP_2)
	v_cmpx_ne_u32_e32 0, v10
	s_cbranch_execz .LBB10_78
; %bb.53:                               ;   in Loop: Header=BB10_49 Depth=1
	v_and_b32_e32 v86, 8, v30
	s_wait_dscnt 0x0
	v_add_nc_u64_e32 v[10:11], 1, v[8:9]
	s_mov_b32 s12, exec_lo
	s_wait_loadcnt 0x0
	v_add_nc_u64_e32 v[12:13], v[80:81], v[86:87]
	s_delay_alu instid0(VALU_DEP_1)
	v_cmpx_lt_u64_e64 v[12:13], v[10:11]
	s_cbranch_execz .LBB10_65
; %bb.54:                               ;   in Loop: Header=BB10_49 Depth=1
	v_and_b32_e32 v9, 64, v30
	s_mov_b32 s13, 0
	s_mov_b32 s27, 0
                                        ; implicit-def: $sgpr24
                                        ; implicit-def: $sgpr25
                                        ; implicit-def: $sgpr26
	s_delay_alu instid0(VALU_DEP_1)
	v_cmp_eq_u32_e32 vcc_lo, 0, v9
	s_branch .LBB10_58
.LBB10_55:                              ;   in Loop: Header=BB10_58 Depth=2
	s_wait_loadcnt_dscnt 0x0
	v_add_nc_u64_e32 v[12:13], v[80:81], v[86:87]
	s_or_b32 s40, s40, exec_lo
	s_delay_alu instid0(VALU_DEP_1)
	v_cmp_ge_u64_e64 s10, v[12:13], v[10:11]
	s_or_not1_b32 s29, s10, exec_lo
.LBB10_56:                              ;   in Loop: Header=BB10_58 Depth=2
	s_or_b32 exec_lo, exec_lo, s42
	s_delay_alu instid0(SALU_CYCLE_1)
	s_and_not1_b32 s10, s26, exec_lo
	s_and_b32 s26, s40, exec_lo
	s_and_not1_b32 s25, s25, exec_lo
	s_and_b32 s29, s29, exec_lo
	s_or_b32 s26, s10, s26
	s_or_b32 s25, s25, s29
.LBB10_57:                              ;   in Loop: Header=BB10_58 Depth=2
	s_or_b32 exec_lo, exec_lo, s28
	s_delay_alu instid0(SALU_CYCLE_1) | instskip(NEXT) | instid1(SALU_CYCLE_1)
	s_and_b32 s10, exec_lo, s25
	s_or_b32 s13, s10, s13
	s_and_not1_b32 s10, s24, exec_lo
	s_and_b32 s24, s26, exec_lo
	s_delay_alu instid0(SALU_CYCLE_1)
	s_or_b32 s24, s10, s24
	s_and_not1_b32 exec_lo, exec_lo, s13
	s_cbranch_execz .LBB10_62
.LBB10_58:                              ;   Parent Loop BB10_49 Depth=1
                                        ; =>  This Inner Loop Header: Depth=2
	s_sleep 1
	s_wait_loadcnt_dscnt 0x0
	flat_load_b64 v[80:81], v[64:65] scope:SCOPE_SYS
	s_or_b32 s26, s26, exec_lo
	s_or_b32 s25, s25, exec_lo
                                        ; implicit-def: $vgpr9
	s_wait_xcnt 0x0
	s_and_saveexec_b32 s28, vcc_lo
	s_cbranch_execz .LBB10_57
; %bb.59:                               ;   in Loop: Header=BB10_58 Depth=2
	s_cmp_lt_i32 s27, 0x270f
	s_mov_b32 s29, -1
	s_cselect_b32 s41, -1, 0
	s_cmp_gt_i32 s27, 0x270e
	s_cbranch_scc0 .LBB10_61
; %bb.60:                               ;   in Loop: Header=BB10_58 Depth=2
	s_trap 2
	ds_load_b64 v[12:13], v0
	s_and_not1_b32 s27, s41, exec_lo
	s_mov_b32 s40, 0
	s_wait_storecnt 0x0
	s_wait_loadcnt_dscnt 0x0
	flat_load_b32 v9, v[12:13] scope:SCOPE_SYS
	s_wait_loadcnt_dscnt 0x0
	global_inv scope:SCOPE_SYS
	v_cmp_eq_u32_e64 s10, 0, v9
	s_and_b32 s10, s10, exec_lo
	s_delay_alu instid0(SALU_CYCLE_1)
	s_or_b32 s41, s27, s10
	s_mov_b32 s27, 0
	s_and_saveexec_b32 s42, s41
	s_cbranch_execz .LBB10_56
	s_branch .LBB10_55
.LBB10_61:                              ;   in Loop: Header=BB10_58 Depth=2
	s_add_co_i32 s27, s27, 1
	s_mov_b32 s40, -1
                                        ; implicit-def: $vgpr9
	s_and_saveexec_b32 s42, s41
	s_cbranch_execz .LBB10_56
	s_branch .LBB10_55
.LBB10_62:                              ;   in Loop: Header=BB10_49 Depth=1
	s_or_b32 exec_lo, exec_lo, s13
	s_xor_b32 s10, s24, -1
	s_delay_alu instid0(SALU_CYCLE_1) | instskip(NEXT) | instid1(SALU_CYCLE_1)
	s_and_saveexec_b32 s13, s10
	s_xor_b32 s10, exec_lo, s13
	s_cbranch_execz .LBB10_64
; %bb.63:                               ;   in Loop: Header=BB10_49 Depth=1
	v_or_b32_e32 v30, 64, v30
	s_wait_storecnt 0x0
	s_wait_loadcnt_dscnt 0x0
	ds_store_b32 v0, v9
	s_trap 2
.LBB10_64:                              ;   in Loop: Header=BB10_49 Depth=1
	s_or_b32 exec_lo, exec_lo, s10
.LBB10_65:                              ;   in Loop: Header=BB10_49 Depth=1
	s_delay_alu instid0(SALU_CYCLE_1) | instskip(SKIP_2) | instid1(VALU_DEP_1)
	s_or_b32 exec_lo, exec_lo, s12
	v_and_b32_e32 v9, 0x108, v30
	;;#ASMSTART
	s_wakeup
	;;#ASMEND
	v_cmp_ne_u32_e32 vcc_lo, 0x108, v9
	v_and_b32_e32 v8, 7, v8
	s_and_saveexec_b32 s10, vcc_lo
	s_delay_alu instid0(SALU_CYCLE_1)
	s_xor_b32 s10, exec_lo, s10
; %bb.66:                               ;   in Loop: Header=BB10_49 Depth=1
	v_mov_b32_e32 v9, v87
; %bb.67:                               ;   in Loop: Header=BB10_49 Depth=1
	s_and_not1_saveexec_b32 s10, s10
	s_cbranch_execz .LBB10_69
; %bb.68:                               ;   in Loop: Header=BB10_49 Depth=1
	v_mad_nc_u64_u32 v[12:13], v8, 24, v[6:7]
	v_dual_mov_b32 v15, v87 :: v_dual_lshlrev_b32 v14, 1, v41
	v_mov_b32_e32 v9, v87
	flat_store_b64 v[12:13], v[14:15] offset:8
.LBB10_69:                              ;   in Loop: Header=BB10_49 Depth=1
	s_wait_xcnt 0x0
	s_or_b32 exec_lo, exec_lo, s10
	v_and_b32_e32 v12, 0x100, v30
	s_mov_b32 s10, -1
	s_delay_alu instid0(VALU_DEP_1)
	v_cmp_ne_u32_e32 vcc_lo, 0, v12
                                        ; implicit-def: $vgpr12_vgpr13
	s_and_saveexec_b32 s12, vcc_lo
	s_cbranch_execz .LBB10_73
; %bb.70:                               ;   in Loop: Header=BB10_49 Depth=1
	v_mad_nc_u64_u32 v[14:15], v8, 24, v[6:7]
	s_delay_alu instid0(VALU_DEP_1)
	v_mad_u32 v15, v9, 24, v15
	flat_load_b32 v12, v[14:15]
	s_wait_loadcnt_dscnt 0x0
	v_cmp_eq_u32_e64 s10, 1, v12
	v_cmp_ne_u32_e32 vcc_lo, 1, v12
                                        ; implicit-def: $vgpr12_vgpr13
	s_wait_xcnt 0x0
	s_and_saveexec_b32 s13, s10
	s_cbranch_execz .LBB10_72
; %bb.71:                               ;   in Loop: Header=BB10_49 Depth=1
	flat_load_b32 v12, v[14:15] offset:4 scope:SCOPE_SYS
	s_wait_loadcnt_dscnt 0x0
	v_ashrrev_i32_e32 v13, 31, v12
	s_delay_alu instid0(VALU_DEP_1)
	v_lshrrev_b64 v[12:13], 1, v[12:13]
.LBB10_72:                              ;   in Loop: Header=BB10_49 Depth=1
	s_wait_xcnt 0x0
	s_or_b32 exec_lo, exec_lo, s13
	s_delay_alu instid0(SALU_CYCLE_1)
	s_or_not1_b32 s10, vcc_lo, exec_lo
.LBB10_73:                              ;   in Loop: Header=BB10_49 Depth=1
	s_or_b32 exec_lo, exec_lo, s12
	s_and_saveexec_b32 s12, s10
; %bb.74:                               ;   in Loop: Header=BB10_49 Depth=1
	v_mul_u64_e32 v[12:13], v[8:9], v[66:67]
; %bb.75:                               ;   in Loop: Header=BB10_49 Depth=1
	s_or_b32 exec_lo, exec_lo, s12
	v_cmp_eq_u32_e32 vcc_lo, 0, v86
	v_and_b32_e32 v15, 0x2000, v30
	s_delay_alu instid0(VALU_DEP_3) | instskip(SKIP_2) | instid1(VALU_DEP_1)
	v_lshl_add_u64 v[8:9], v[12:13], 1, v[68:69]
	s_mov_b32 s10, exec_lo
	v_cndmask_b32_e32 v14, 0xc8, v72, vcc_lo
	v_add_nc_u32_e32 v12, v0, v14
	ds_store_b64 v12, v[8:9] offset:584
	v_cmpx_ne_u32_e32 0, v15
	s_cbranch_execz .LBB10_77
; %bb.76:                               ;   in Loop: Header=BB10_49 Depth=1
	ds_load_b64 v[8:9], v0 offset:872
	s_wait_dscnt 0x0
	v_add_nc_u64_e32 v[8:9], 1, v[8:9]
	ds_store_b64 v0, v[8:9] offset:872
.LBB10_77:                              ;   in Loop: Header=BB10_49 Depth=1
	s_or_b32 exec_lo, exec_lo, s10
	v_mov_b64_e32 v[8:9], v[10:11]
.LBB10_78:                              ;   in Loop: Header=BB10_49 Depth=1
	s_or_b32 exec_lo, exec_lo, s11
	s_and_saveexec_b32 s10, s2
	s_cbranch_execz .LBB10_97
; %bb.79:                               ;   in Loop: Header=BB10_49 Depth=1
	s_and_saveexec_b32 s11, s3
	s_delay_alu instid0(SALU_CYCLE_1)
	s_xor_b32 s11, exec_lo, s11
	s_cbranch_execz .LBB10_94
; %bb.80:                               ;   in Loop: Header=BB10_49 Depth=1
	s_and_saveexec_b32 s12, s4
	s_cbranch_execz .LBB10_93
; %bb.81:                               ;   in Loop: Header=BB10_49 Depth=1
	s_mov_b32 s24, exec_lo
	s_mov_b32 s13, exec_lo
	v_mbcnt_lo_u32_b32 v10, s24, 0
	global_wb scope:SCOPE_DEV
	s_wait_storecnt 0x0
	s_wait_loadcnt_dscnt 0x0
	global_inv scope:SCOPE_DEV
	v_cmpx_eq_u32_e32 0, v10
	s_cbranch_execz .LBB10_83
; %bb.82:                               ;   in Loop: Header=BB10_49 Depth=1
	s_bcnt1_i32_b32 s24, s24
	s_delay_alu instid0(SALU_CYCLE_1)
	v_mov_b32_e32 v86, s24
	s_wait_loadcnt 0x0
	ds_add_u64 v0, v[86:87]
	s_trap 2
.LBB10_83:                              ;   in Loop: Header=BB10_49 Depth=1
	s_or_b32 exec_lo, exec_lo, s13
	s_trap 2
	ds_load_b64 v[10:11], v0
	s_wait_dscnt 0x0
	v_add_nc_u64_e32 v[70:71], v[70:71], v[96:97]
	s_mov_b32 s13, exec_lo
	s_delay_alu instid0(VALU_DEP_1)
	v_cmpx_lt_u64_e64 v[10:11], v[70:71]
	s_cbranch_execz .LBB10_92
; %bb.84:                               ;   in Loop: Header=BB10_49 Depth=1
	s_mov_b32 s24, 0
	s_mov_b32 s27, 0
                                        ; implicit-def: $sgpr25
                                        ; implicit-def: $sgpr26
	s_branch .LBB10_86
.LBB10_85:                              ;   in Loop: Header=BB10_86 Depth=2
	s_or_b32 exec_lo, exec_lo, s29
	s_delay_alu instid0(SALU_CYCLE_1) | instskip(NEXT) | instid1(SALU_CYCLE_1)
	s_and_b32 s28, exec_lo, s40
	s_or_b32 s24, s28, s24
	s_and_not1_b32 s25, s25, exec_lo
	s_and_b32 s28, s26, exec_lo
	s_delay_alu instid0(SALU_CYCLE_1)
	s_or_b32 s25, s25, s28
	s_and_not1_b32 exec_lo, exec_lo, s24
	s_cbranch_execz .LBB10_90
.LBB10_86:                              ;   Parent Loop BB10_49 Depth=1
                                        ; =>  This Inner Loop Header: Depth=2
	s_add_co_i32 s27, s27, 1
	s_delay_alu instid0(SALU_CYCLE_1) | instskip(SKIP_1) | instid1(SALU_CYCLE_1)
	s_cmp_lg_u32 s27, 0x2710
	s_cselect_b32 s28, -1, 0
	s_and_b32 vcc_lo, exec_lo, s28
	s_cbranch_vccz .LBB10_88
; %bb.87:                               ;   in Loop: Header=BB10_86 Depth=2
	s_mov_b32 s40, -1
	s_or_b32 s26, s26, exec_lo
	s_and_saveexec_b32 s29, s28
	s_cbranch_execz .LBB10_85
	s_branch .LBB10_89
.LBB10_88:                              ;   in Loop: Header=BB10_86 Depth=2
	s_trap 2
	ds_load_b64 v[10:11], v0
	s_and_not1_b32 s28, s28, exec_lo
	s_mov_b32 s27, 0
	s_wait_loadcnt_dscnt 0x0
	flat_load_b32 v10, v[10:11] scope:SCOPE_SYS
	s_wait_loadcnt_dscnt 0x0
	global_inv scope:SCOPE_SYS
	v_cmp_eq_u32_e32 vcc_lo, 0, v10
	s_and_b32 s29, vcc_lo, exec_lo
	s_delay_alu instid0(SALU_CYCLE_1)
	s_or_b32 s28, s28, s29
	s_mov_b32 s40, -1
	s_or_b32 s26, s26, exec_lo
	s_and_saveexec_b32 s29, s28
	s_cbranch_execz .LBB10_85
.LBB10_89:                              ;   in Loop: Header=BB10_86 Depth=2
	s_sleep 1
	s_trap 2
	ds_load_b64 v[10:11], v0
	s_wait_dscnt 0x0
	s_and_not1_b32 s26, s26, exec_lo
	v_cmp_ge_u64_e32 vcc_lo, v[10:11], v[70:71]
	s_or_not1_b32 s40, vcc_lo, exec_lo
	s_branch .LBB10_85
.LBB10_90:                              ;   in Loop: Header=BB10_49 Depth=1
	s_or_b32 exec_lo, exec_lo, s24
	s_and_saveexec_b32 s24, s25
	s_delay_alu instid0(SALU_CYCLE_1)
	s_xor_b32 s24, exec_lo, s24
	s_cbranch_execz .LBB10_92
; %bb.91:                               ;   in Loop: Header=BB10_49 Depth=1
	ds_store_b32 v0, v63
	s_trap 2
.LBB10_92:                              ;   in Loop: Header=BB10_49 Depth=1
	s_or_b32 exec_lo, exec_lo, s13
	;;#ASMSTART
	s_wakeup
	;;#ASMEND
.LBB10_93:                              ;   in Loop: Header=BB10_49 Depth=1
	s_or_b32 exec_lo, exec_lo, s12
.LBB10_94:                              ;   in Loop: Header=BB10_49 Depth=1
	s_and_not1_saveexec_b32 s11, s11
	s_cbranch_execz .LBB10_96
; %bb.95:                               ;   in Loop: Header=BB10_49 Depth=1
	global_wb scope:SCOPE_DEV
	s_wait_storecnt 0x0
	s_wait_loadcnt_dscnt 0x0
	global_inv scope:SCOPE_DEV
	s_barrier_signal -1
	s_barrier_wait -1
.LBB10_96:                              ;   in Loop: Header=BB10_49 Depth=1
	s_or_b32 exec_lo, exec_lo, s11
.LBB10_97:                              ;   in Loop: Header=BB10_49 Depth=1
	s_delay_alu instid0(SALU_CYCLE_1) | instskip(SKIP_3) | instid1(VALU_DEP_1)
	s_or_b32 exec_lo, exec_lo, s10
	s_trap 2
	ds_load_b32 v10, v0
	v_and_b32_e32 v11, 0x4000, v30
	v_cmp_ne_u32_e32 vcc_lo, 0, v11
	s_and_b32 s11, s21, vcc_lo
	s_delay_alu instid0(SALU_CYCLE_1)
	s_and_saveexec_b32 s10, s11
	s_cbranch_execz .LBB10_116
; %bb.98:                               ;   in Loop: Header=BB10_49 Depth=1
	s_and_saveexec_b32 s11, s3
	s_delay_alu instid0(SALU_CYCLE_1)
	s_xor_b32 s11, exec_lo, s11
	s_cbranch_execz .LBB10_113
; %bb.99:                               ;   in Loop: Header=BB10_49 Depth=1
	s_and_saveexec_b32 s12, s4
	s_cbranch_execz .LBB10_112
; %bb.100:                              ;   in Loop: Header=BB10_49 Depth=1
	s_mov_b32 s24, exec_lo
	s_mov_b32 s13, exec_lo
	v_mbcnt_lo_u32_b32 v11, s24, 0
	global_wb scope:SCOPE_DEV
	s_wait_storecnt 0x0
	s_wait_loadcnt_dscnt 0x0
	global_inv scope:SCOPE_DEV
	v_cmpx_eq_u32_e32 0, v11
	s_cbranch_execz .LBB10_102
; %bb.101:                              ;   in Loop: Header=BB10_49 Depth=1
	s_bcnt1_i32_b32 s24, s24
	s_delay_alu instid0(SALU_CYCLE_1)
	v_mov_b32_e32 v86, s24
	s_wait_loadcnt 0x0
	ds_add_u64 v0, v[86:87]
	s_trap 2
.LBB10_102:                             ;   in Loop: Header=BB10_49 Depth=1
	s_or_b32 exec_lo, exec_lo, s13
	s_trap 2
	ds_load_b64 v[12:13], v0
	s_wait_dscnt 0x0
	v_add_nc_u64_e32 v[70:71], v[70:71], v[96:97]
	s_mov_b32 s13, exec_lo
	s_delay_alu instid0(VALU_DEP_1)
	v_cmpx_lt_u64_e64 v[12:13], v[70:71]
	s_cbranch_execz .LBB10_111
; %bb.103:                              ;   in Loop: Header=BB10_49 Depth=1
	s_mov_b32 s24, 0
	s_mov_b32 s27, 0
                                        ; implicit-def: $sgpr25
                                        ; implicit-def: $sgpr26
	s_branch .LBB10_105
.LBB10_104:                             ;   in Loop: Header=BB10_105 Depth=2
	s_or_b32 exec_lo, exec_lo, s29
	s_delay_alu instid0(SALU_CYCLE_1) | instskip(NEXT) | instid1(SALU_CYCLE_1)
	s_and_b32 s28, exec_lo, s40
	s_or_b32 s24, s28, s24
	s_and_not1_b32 s25, s25, exec_lo
	s_and_b32 s28, s26, exec_lo
	s_delay_alu instid0(SALU_CYCLE_1)
	s_or_b32 s25, s25, s28
	s_and_not1_b32 exec_lo, exec_lo, s24
	s_cbranch_execz .LBB10_109
.LBB10_105:                             ;   Parent Loop BB10_49 Depth=1
                                        ; =>  This Inner Loop Header: Depth=2
	s_add_co_i32 s27, s27, 1
	s_delay_alu instid0(SALU_CYCLE_1) | instskip(SKIP_1) | instid1(SALU_CYCLE_1)
	s_cmp_lg_u32 s27, 0x2710
	s_cselect_b32 s28, -1, 0
	s_and_b32 vcc_lo, exec_lo, s28
	s_cbranch_vccz .LBB10_107
; %bb.106:                              ;   in Loop: Header=BB10_105 Depth=2
	s_mov_b32 s40, -1
	s_or_b32 s26, s26, exec_lo
	s_and_saveexec_b32 s29, s28
	s_cbranch_execz .LBB10_104
	s_branch .LBB10_108
.LBB10_107:                             ;   in Loop: Header=BB10_105 Depth=2
	s_trap 2
	ds_load_b64 v[12:13], v0
	s_and_not1_b32 s28, s28, exec_lo
	s_mov_b32 s27, 0
	s_wait_loadcnt_dscnt 0x0
	flat_load_b32 v11, v[12:13] scope:SCOPE_SYS
	s_wait_loadcnt_dscnt 0x0
	global_inv scope:SCOPE_SYS
	v_cmp_eq_u32_e32 vcc_lo, 0, v11
	s_and_b32 s29, vcc_lo, exec_lo
	s_delay_alu instid0(SALU_CYCLE_1)
	s_or_b32 s28, s28, s29
	s_mov_b32 s40, -1
	s_or_b32 s26, s26, exec_lo
	s_and_saveexec_b32 s29, s28
	s_cbranch_execz .LBB10_104
.LBB10_108:                             ;   in Loop: Header=BB10_105 Depth=2
	s_sleep 1
	s_trap 2
	ds_load_b64 v[12:13], v0
	s_wait_dscnt 0x0
	s_and_not1_b32 s26, s26, exec_lo
	v_cmp_ge_u64_e32 vcc_lo, v[12:13], v[70:71]
	s_or_not1_b32 s40, vcc_lo, exec_lo
	s_branch .LBB10_104
.LBB10_109:                             ;   in Loop: Header=BB10_49 Depth=1
	s_or_b32 exec_lo, exec_lo, s24
	s_and_saveexec_b32 s24, s25
	s_delay_alu instid0(SALU_CYCLE_1)
	s_xor_b32 s24, exec_lo, s24
	s_cbranch_execz .LBB10_111
; %bb.110:                              ;   in Loop: Header=BB10_49 Depth=1
	ds_store_b32 v0, v63
	s_trap 2
.LBB10_111:                             ;   in Loop: Header=BB10_49 Depth=1
	s_or_b32 exec_lo, exec_lo, s13
	;;#ASMSTART
	s_wakeup
	;;#ASMEND
.LBB10_112:                             ;   in Loop: Header=BB10_49 Depth=1
	s_or_b32 exec_lo, exec_lo, s12
.LBB10_113:                             ;   in Loop: Header=BB10_49 Depth=1
	s_and_not1_saveexec_b32 s11, s11
	s_cbranch_execz .LBB10_115
; %bb.114:                              ;   in Loop: Header=BB10_49 Depth=1
	global_wb scope:SCOPE_DEV
	s_wait_storecnt 0x0
	s_wait_loadcnt_dscnt 0x0
	global_inv scope:SCOPE_DEV
	s_barrier_signal -1
	s_barrier_wait -1
.LBB10_115:                             ;   in Loop: Header=BB10_49 Depth=1
	s_or_b32 exec_lo, exec_lo, s11
.LBB10_116:                             ;   in Loop: Header=BB10_49 Depth=1
	s_delay_alu instid0(SALU_CYCLE_1)
	s_or_b32 exec_lo, exec_lo, s10
	s_trap 2
	ds_load_b64 v[42:43], v0
	s_wait_dscnt 0x0
	v_cmp_eq_u64_e32 vcc_lo, 0, v[42:43]
	s_cbranch_vccnz .LBB10_124
; %bb.117:                              ;   in Loop: Header=BB10_49 Depth=1
	s_trap 2
	ds_load_b64 v[44:45], v0
	s_wait_dscnt 0x0
	v_cmp_eq_u64_e32 vcc_lo, 0, v[44:45]
	s_cbranch_vccnz .LBB10_124
; %bb.118:                              ;   in Loop: Header=BB10_49 Depth=1
	s_trap 2
	ds_load_b64 v[12:13], v0
	s_mov_b32 s10, -1
	s_wait_dscnt 0x0
	v_readfirstlane_b32 s12, v12
	v_readfirstlane_b32 s13, v13
	s_and_saveexec_b32 s11, s5
	s_cbranch_execz .LBB10_120
; %bb.119:                              ;   in Loop: Header=BB10_49 Depth=1
	ds_load_b32 v11, v0 offset:720
	s_wait_dscnt 0x0
	v_and_b32_e32 v11, 15, v11
	s_delay_alu instid0(VALU_DEP_1)
	v_cmp_eq_u32_e32 vcc_lo, 0, v11
	s_or_not1_b32 s10, vcc_lo, exec_lo
.LBB10_120:                             ;   in Loop: Header=BB10_49 Depth=1
	s_or_b32 exec_lo, exec_lo, s11
	s_and_saveexec_b32 s11, s6
	s_cbranch_execz .LBB10_122
; %bb.121:                              ;   in Loop: Header=BB10_49 Depth=1
	ds_load_b32 v11, v0 offset:784
	s_wait_dscnt 0x0
	v_and_b32_e32 v11, 15, v11
	s_delay_alu instid0(VALU_DEP_1) | instskip(SKIP_3) | instid1(SALU_CYCLE_1)
	v_cmp_eq_u32_e32 vcc_lo, 0, v11
	s_and_b32 s24, s10, vcc_lo
	s_and_not1_b32 s10, s10, exec_lo
	s_and_b32 s24, s24, exec_lo
	s_or_b32 s10, s10, s24
.LBB10_122:                             ;   in Loop: Header=BB10_49 Depth=1
	s_or_b32 exec_lo, exec_lo, s11
	v_cmp_eq_u32_e32 vcc_lo, 0, v10
	s_xor_b32 s10, s10, -1
	v_mov_b32_e32 v16, 0
	v_cndmask_b32_e64 v11, 0, 1, s10
	s_mov_b32 s10, -1
	v_cndmask_b32_e32 v86, 0, v41, vcc_lo
	s_delay_alu instid0(VALU_DEP_2) | instskip(NEXT) | instid1(VALU_DEP_2)
	v_cmp_ne_u32_e32 vcc_lo, 0, v11
	v_lshlrev_b32_e32 v73, 1, v86
	s_cbranch_vccz .LBB10_125
; %bb.123:                              ;   in Loop: Header=BB10_49 Depth=1
	v_mov_b32_e32 v17, v0
	s_and_saveexec_b32 s11, s10
	s_cbranch_execnz .LBB10_296
	s_branch .LBB10_372
.LBB10_124:                             ;   in Loop: Header=BB10_49 Depth=1
	s_mov_b32 s10, 0
	s_and_saveexec_b32 s11, s2
	s_cbranch_execnz .LBB10_373
	s_branch .LBB10_391
.LBB10_125:                             ;   in Loop: Header=BB10_49 Depth=1
	v_lshrrev_b32_e32 v75, 10, v86
	s_mov_b32 s11, exec_lo
	s_delay_alu instid0(VALU_DEP_1) | instskip(NEXT) | instid1(VALU_DEP_1)
	v_sub_nc_u32_e32 v74, v75, v61
	v_cmpx_lt_i32_e32 0, v74
	s_cbranch_execz .LBB10_257
; %bb.126:                              ;   in Loop: Header=BB10_49 Depth=1
	s_trap 2
	ds_load_b64 v[10:11], v0
	v_add_nc_u64_e32 v[46:47], v[42:43], v[98:99]
	v_add_nc_u64_e32 v[58:59], v[44:45], v[98:99]
	s_bitcmp0_b64 s[12:13], 0
	s_mov_b32 s24, 0
	s_cselect_b32 vcc_lo, -1, 0
	s_wait_dscnt 0x0
	v_add_nc_u64_e32 v[56:57], v[10:11], v[98:99]
	s_branch .LBB10_128
.LBB10_127:                             ;   in Loop: Header=BB10_128 Depth=2
	s_or_b32 exec_lo, exec_lo, s25
	v_dual_lshrrev_b32 v17, 16, v22 :: v_dual_lshrrev_b32 v22, 16, v35
	v_dual_lshrrev_b32 v32, 16, v32 :: v_dual_lshrrev_b32 v23, 16, v23
	v_lshrrev_b32_e32 v24, 16, v24
	s_delay_alu instid0(VALU_DEP_3)
	v_and_or_b32 v19, 0xffff0000, v19, v17
	v_lshrrev_b32_e32 v17, 16, v51
	v_and_or_b32 v18, 0xffff0000, v18, v22
	v_and_or_b32 v20, 0xffff0000, v20, v23
	;; [unrolled: 1-line block ×5, first 2 shown]
	v_dual_lshrrev_b32 v17, 16, v33 :: v_dual_lshrrev_b32 v22, 16, v34
	v_dual_lshrrev_b32 v23, 16, v48 :: v_dual_lshrrev_b32 v32, 16, v49
	v_lshrrev_b32_e32 v24, 16, v76
	s_delay_alu instid0(VALU_DEP_3)
	v_and_or_b32 v28, 0xffff0000, v28, v17
	v_lshrrev_b32_e32 v17, 16, v50
	v_and_or_b32 v29, 0xffff0000, v29, v22
	v_lshrrev_b32_e32 v14, 16, v14
	v_and_or_b32 v22, 0xffff0000, v36, v24
	v_and_or_b32 v24, 0xffff0000, v38, v32
	v_dual_lshrrev_b32 v32, 16, v25 :: v_dual_lshrrev_b32 v15, 16, v15
	v_lshrrev_b32_e32 v16, 16, v16
	v_and_or_b32 v23, 0xffff0000, v37, v23
	v_and_or_b32 v25, 0xffff0000, v39, v17
	v_sub_nc_u32_e32 v74, v74, v96
	v_and_or_b32 v11, 0xffff0000, v11, v14
	v_and_or_b32 v10, 0xffff0000, v10, v32
	v_and_or_b32 v12, 0xffff0000, v12, v15
	v_and_or_b32 v13, 0xffff0000, v13, v16
	s_clause 0x3
	global_store_b128 v[58:59], v[22:25], off th:TH_STORE_NT
	global_store_b128 v[58:59], v[26:29], off offset:512 th:TH_STORE_NT
	global_store_b128 v[58:59], v[18:21], off offset:1024 th:TH_STORE_NT
	;; [unrolled: 1-line block ×3, first 2 shown]
	v_add_nc_u64_e32 v[46:47], v[46:47], v[100:101]
	v_add_nc_u64_e32 v[56:57], v[56:57], v[100:101]
	v_cmp_gt_i32_e64 s10, 1, v74
	s_wait_xcnt 0x0
	v_add_nc_u64_e32 v[58:59], v[58:59], v[100:101]
	s_or_b32 s24, s10, s24
	s_delay_alu instid0(SALU_CYCLE_1)
	s_and_not1_b32 exec_lo, exec_lo, s24
	s_cbranch_execz .LBB10_256
.LBB10_128:                             ;   Parent Loop BB10_49 Depth=1
                                        ; =>  This Inner Loop Header: Depth=2
	global_load_b128 v[48:51], v[56:57], off th:TH_LOAD_NT
	s_clause 0x3
	global_load_b128 v[36:39], v[46:47], off th:TH_LOAD_NT
	global_load_b128 v[26:29], v[46:47], off offset:512 th:TH_LOAD_NT
	global_load_b128 v[18:21], v[46:47], off offset:1024 th:TH_LOAD_NT
	;; [unrolled: 1-line block ×3, first 2 shown]
	s_clause 0x2
	global_load_b128 v[32:35], v[56:57], off offset:512 th:TH_LOAD_NT
	global_load_b128 v[22:25], v[56:57], off offset:1024 th:TH_LOAD_NT
	;; [unrolled: 1-line block ×3, first 2 shown]
	s_wait_loadcnt 0x6
	v_lshlrev_b32_e32 v77, 16, v36
	s_delay_alu instid0(VALU_DEP_1) | instskip(NEXT) | instid1(VALU_DEP_1)
	v_dual_max_num_f32 v77, v77, v77 :: v_dual_lshlrev_b32 v76, 16, v48
	v_max_num_f32_e32 v76, v76, v76
	s_delay_alu instid0(VALU_DEP_1) | instskip(NEXT) | instid1(VALU_DEP_1)
	v_dual_min_num_f32 v78, v77, v76 :: v_dual_max_num_f32 v76, v77, v76
	v_cndmask_b32_e32 v77, v76, v78, vcc_lo
	s_delay_alu instid0(VALU_DEP_1) | instskip(NEXT) | instid1(VALU_DEP_1)
	v_and_b32_e32 v76, 0x7f800000, v77
	v_cmp_ne_u32_e64 s10, 0x7f800000, v76
                                        ; implicit-def: $vgpr76
	s_wait_xcnt 0x0
	s_and_saveexec_b32 s25, s10
	s_delay_alu instid0(SALU_CYCLE_1)
	s_xor_b32 s10, exec_lo, s25
; %bb.129:                              ;   in Loop: Header=BB10_128 Depth=2
	v_bfe_u32 v76, v77, 16, 1
	s_delay_alu instid0(VALU_DEP_1)
	v_add3_u32 v76, v77, v76, 0x7fff
                                        ; implicit-def: $vgpr77
; %bb.130:                              ;   in Loop: Header=BB10_128 Depth=2
	s_and_not1_saveexec_b32 s25, s10
; %bb.131:                              ;   in Loop: Header=BB10_128 Depth=2
	v_and_b32_e32 v76, 0xffff, v77
	v_or_b32_e32 v78, 0x10000, v77
	s_delay_alu instid0(VALU_DEP_2) | instskip(NEXT) | instid1(VALU_DEP_1)
	v_cmp_eq_u32_e64 s10, 0, v76
	v_cndmask_b32_e64 v76, v78, v77, s10
; %bb.132:                              ;   in Loop: Header=BB10_128 Depth=2
	s_or_b32 exec_lo, exec_lo, s25
	v_and_b32_e32 v48, 0xffff0000, v48
	v_and_b32_e32 v36, 0xffff0000, v36
	s_delay_alu instid0(VALU_DEP_2) | instskip(NEXT) | instid1(VALU_DEP_2)
	v_max_num_f32_e32 v48, v48, v48
	v_max_num_f32_e32 v36, v36, v36
	s_delay_alu instid0(VALU_DEP_1) | instskip(NEXT) | instid1(VALU_DEP_1)
	v_dual_min_num_f32 v77, v36, v48 :: v_dual_max_num_f32 v36, v36, v48
	v_cndmask_b32_e32 v48, v36, v77, vcc_lo
	s_delay_alu instid0(VALU_DEP_1) | instskip(NEXT) | instid1(VALU_DEP_1)
	v_and_b32_e32 v36, 0x7f800000, v48
	v_cmp_ne_u32_e64 s10, 0x7f800000, v36
                                        ; implicit-def: $vgpr36
	s_and_saveexec_b32 s25, s10
	s_delay_alu instid0(SALU_CYCLE_1)
	s_xor_b32 s10, exec_lo, s25
; %bb.133:                              ;   in Loop: Header=BB10_128 Depth=2
	v_bfe_u32 v36, v48, 16, 1
	s_delay_alu instid0(VALU_DEP_1)
	v_add3_u32 v36, v48, v36, 0x7fff
                                        ; implicit-def: $vgpr48
; %bb.134:                              ;   in Loop: Header=BB10_128 Depth=2
	s_and_not1_saveexec_b32 s25, s10
; %bb.135:                              ;   in Loop: Header=BB10_128 Depth=2
	v_and_b32_e32 v36, 0xffff, v48
	v_or_b32_e32 v77, 0x10000, v48
	s_delay_alu instid0(VALU_DEP_2) | instskip(NEXT) | instid1(VALU_DEP_1)
	v_cmp_eq_u32_e64 s10, 0, v36
	v_cndmask_b32_e64 v36, v77, v48, s10
; %bb.136:                              ;   in Loop: Header=BB10_128 Depth=2
	s_or_b32 exec_lo, exec_lo, s25
	v_lshlrev_b32_e32 v48, 16, v49
	s_delay_alu instid0(VALU_DEP_1) | instskip(NEXT) | instid1(VALU_DEP_1)
	v_dual_max_num_f32 v48, v48, v48 :: v_dual_lshlrev_b32 v77, 16, v37
	v_max_num_f32_e32 v77, v77, v77
	s_delay_alu instid0(VALU_DEP_1) | instskip(NEXT) | instid1(VALU_DEP_1)
	v_dual_min_num_f32 v78, v77, v48 :: v_dual_max_num_f32 v48, v77, v48
	v_cndmask_b32_e32 v77, v48, v78, vcc_lo
	s_delay_alu instid0(VALU_DEP_1) | instskip(NEXT) | instid1(VALU_DEP_1)
	v_and_b32_e32 v48, 0x7f800000, v77
	v_cmp_ne_u32_e64 s10, 0x7f800000, v48
                                        ; implicit-def: $vgpr48
	s_and_saveexec_b32 s25, s10
	s_delay_alu instid0(SALU_CYCLE_1)
	s_xor_b32 s10, exec_lo, s25
; %bb.137:                              ;   in Loop: Header=BB10_128 Depth=2
	v_bfe_u32 v48, v77, 16, 1
	s_delay_alu instid0(VALU_DEP_1)
	v_add3_u32 v48, v77, v48, 0x7fff
                                        ; implicit-def: $vgpr77
; %bb.138:                              ;   in Loop: Header=BB10_128 Depth=2
	s_and_not1_saveexec_b32 s25, s10
; %bb.139:                              ;   in Loop: Header=BB10_128 Depth=2
	v_and_b32_e32 v48, 0xffff, v77
	v_or_b32_e32 v78, 0x10000, v77
	s_delay_alu instid0(VALU_DEP_2) | instskip(NEXT) | instid1(VALU_DEP_1)
	v_cmp_eq_u32_e64 s10, 0, v48
	v_cndmask_b32_e64 v48, v78, v77, s10
; %bb.140:                              ;   in Loop: Header=BB10_128 Depth=2
	s_or_b32 exec_lo, exec_lo, s25
	v_and_b32_e32 v49, 0xffff0000, v49
	v_and_b32_e32 v37, 0xffff0000, v37
	s_delay_alu instid0(VALU_DEP_2) | instskip(NEXT) | instid1(VALU_DEP_2)
	v_max_num_f32_e32 v49, v49, v49
	v_max_num_f32_e32 v37, v37, v37
	s_delay_alu instid0(VALU_DEP_1) | instskip(NEXT) | instid1(VALU_DEP_1)
	v_dual_min_num_f32 v77, v37, v49 :: v_dual_max_num_f32 v37, v37, v49
	v_cndmask_b32_e32 v49, v37, v77, vcc_lo
	s_delay_alu instid0(VALU_DEP_1) | instskip(NEXT) | instid1(VALU_DEP_1)
	v_and_b32_e32 v37, 0x7f800000, v49
	v_cmp_ne_u32_e64 s10, 0x7f800000, v37
                                        ; implicit-def: $vgpr37
	s_and_saveexec_b32 s25, s10
	s_delay_alu instid0(SALU_CYCLE_1)
	s_xor_b32 s10, exec_lo, s25
; %bb.141:                              ;   in Loop: Header=BB10_128 Depth=2
	v_bfe_u32 v37, v49, 16, 1
	s_delay_alu instid0(VALU_DEP_1)
	v_add3_u32 v37, v49, v37, 0x7fff
                                        ; implicit-def: $vgpr49
; %bb.142:                              ;   in Loop: Header=BB10_128 Depth=2
	s_and_not1_saveexec_b32 s25, s10
; %bb.143:                              ;   in Loop: Header=BB10_128 Depth=2
	v_and_b32_e32 v37, 0xffff, v49
	v_or_b32_e32 v77, 0x10000, v49
	s_delay_alu instid0(VALU_DEP_2) | instskip(NEXT) | instid1(VALU_DEP_1)
	v_cmp_eq_u32_e64 s10, 0, v37
	v_cndmask_b32_e64 v37, v77, v49, s10
; %bb.144:                              ;   in Loop: Header=BB10_128 Depth=2
	s_or_b32 exec_lo, exec_lo, s25
	v_lshlrev_b32_e32 v77, 16, v38
	s_delay_alu instid0(VALU_DEP_1) | instskip(NEXT) | instid1(VALU_DEP_1)
	v_dual_lshlrev_b32 v49, 16, v50 :: v_dual_max_num_f32 v77, v77, v77
	v_max_num_f32_e32 v49, v49, v49
	s_delay_alu instid0(VALU_DEP_1) | instskip(NEXT) | instid1(VALU_DEP_1)
	v_dual_min_num_f32 v78, v77, v49 :: v_dual_max_num_f32 v49, v77, v49
	v_cndmask_b32_e32 v77, v49, v78, vcc_lo
	s_delay_alu instid0(VALU_DEP_1) | instskip(NEXT) | instid1(VALU_DEP_1)
	v_and_b32_e32 v49, 0x7f800000, v77
	v_cmp_ne_u32_e64 s10, 0x7f800000, v49
                                        ; implicit-def: $vgpr49
	s_and_saveexec_b32 s25, s10
	s_delay_alu instid0(SALU_CYCLE_1)
	s_xor_b32 s10, exec_lo, s25
; %bb.145:                              ;   in Loop: Header=BB10_128 Depth=2
	v_bfe_u32 v49, v77, 16, 1
	s_delay_alu instid0(VALU_DEP_1)
	v_add3_u32 v49, v77, v49, 0x7fff
                                        ; implicit-def: $vgpr77
; %bb.146:                              ;   in Loop: Header=BB10_128 Depth=2
	s_and_not1_saveexec_b32 s25, s10
; %bb.147:                              ;   in Loop: Header=BB10_128 Depth=2
	v_and_b32_e32 v49, 0xffff, v77
	v_or_b32_e32 v78, 0x10000, v77
	s_delay_alu instid0(VALU_DEP_2) | instskip(NEXT) | instid1(VALU_DEP_1)
	v_cmp_eq_u32_e64 s10, 0, v49
	v_cndmask_b32_e64 v49, v78, v77, s10
; %bb.148:                              ;   in Loop: Header=BB10_128 Depth=2
	s_or_b32 exec_lo, exec_lo, s25
	v_and_b32_e32 v50, 0xffff0000, v50
	v_and_b32_e32 v38, 0xffff0000, v38
	s_delay_alu instid0(VALU_DEP_2) | instskip(NEXT) | instid1(VALU_DEP_2)
	v_max_num_f32_e32 v50, v50, v50
	v_max_num_f32_e32 v38, v38, v38
	s_delay_alu instid0(VALU_DEP_1) | instskip(NEXT) | instid1(VALU_DEP_1)
	v_dual_min_num_f32 v77, v38, v50 :: v_dual_max_num_f32 v38, v38, v50
	v_cndmask_b32_e32 v50, v38, v77, vcc_lo
	s_delay_alu instid0(VALU_DEP_1) | instskip(NEXT) | instid1(VALU_DEP_1)
	v_and_b32_e32 v38, 0x7f800000, v50
	v_cmp_ne_u32_e64 s10, 0x7f800000, v38
                                        ; implicit-def: $vgpr38
	s_and_saveexec_b32 s25, s10
	s_delay_alu instid0(SALU_CYCLE_1)
	s_xor_b32 s10, exec_lo, s25
; %bb.149:                              ;   in Loop: Header=BB10_128 Depth=2
	v_bfe_u32 v38, v50, 16, 1
	s_delay_alu instid0(VALU_DEP_1)
	v_add3_u32 v38, v50, v38, 0x7fff
                                        ; implicit-def: $vgpr50
; %bb.150:                              ;   in Loop: Header=BB10_128 Depth=2
	s_and_not1_saveexec_b32 s25, s10
; %bb.151:                              ;   in Loop: Header=BB10_128 Depth=2
	v_and_b32_e32 v38, 0xffff, v50
	v_or_b32_e32 v77, 0x10000, v50
	s_delay_alu instid0(VALU_DEP_2) | instskip(NEXT) | instid1(VALU_DEP_1)
	v_cmp_eq_u32_e64 s10, 0, v38
	v_cndmask_b32_e64 v38, v77, v50, s10
; %bb.152:                              ;   in Loop: Header=BB10_128 Depth=2
	s_or_b32 exec_lo, exec_lo, s25
	v_lshlrev_b32_e32 v77, 16, v39
	s_delay_alu instid0(VALU_DEP_1) | instskip(NEXT) | instid1(VALU_DEP_1)
	v_dual_max_num_f32 v77, v77, v77 :: v_dual_lshlrev_b32 v50, 16, v51
	v_max_num_f32_e32 v50, v50, v50
	s_delay_alu instid0(VALU_DEP_1) | instskip(NEXT) | instid1(VALU_DEP_1)
	v_dual_min_num_f32 v78, v77, v50 :: v_dual_max_num_f32 v50, v77, v50
	v_cndmask_b32_e32 v77, v50, v78, vcc_lo
	s_delay_alu instid0(VALU_DEP_1) | instskip(NEXT) | instid1(VALU_DEP_1)
	v_and_b32_e32 v50, 0x7f800000, v77
	v_cmp_ne_u32_e64 s10, 0x7f800000, v50
                                        ; implicit-def: $vgpr50
	s_and_saveexec_b32 s25, s10
	s_delay_alu instid0(SALU_CYCLE_1)
	s_xor_b32 s10, exec_lo, s25
; %bb.153:                              ;   in Loop: Header=BB10_128 Depth=2
	v_bfe_u32 v50, v77, 16, 1
	s_delay_alu instid0(VALU_DEP_1)
	v_add3_u32 v50, v77, v50, 0x7fff
                                        ; implicit-def: $vgpr77
; %bb.154:                              ;   in Loop: Header=BB10_128 Depth=2
	s_and_not1_saveexec_b32 s25, s10
; %bb.155:                              ;   in Loop: Header=BB10_128 Depth=2
	v_and_b32_e32 v50, 0xffff, v77
	v_or_b32_e32 v78, 0x10000, v77
	s_delay_alu instid0(VALU_DEP_2) | instskip(NEXT) | instid1(VALU_DEP_1)
	v_cmp_eq_u32_e64 s10, 0, v50
	v_cndmask_b32_e64 v50, v78, v77, s10
; %bb.156:                              ;   in Loop: Header=BB10_128 Depth=2
	s_or_b32 exec_lo, exec_lo, s25
	v_and_b32_e32 v51, 0xffff0000, v51
	v_and_b32_e32 v39, 0xffff0000, v39
	s_delay_alu instid0(VALU_DEP_2) | instskip(NEXT) | instid1(VALU_DEP_2)
	v_max_num_f32_e32 v51, v51, v51
	v_max_num_f32_e32 v39, v39, v39
	s_delay_alu instid0(VALU_DEP_1) | instskip(NEXT) | instid1(VALU_DEP_1)
	v_dual_min_num_f32 v77, v39, v51 :: v_dual_max_num_f32 v39, v39, v51
	v_cndmask_b32_e32 v51, v39, v77, vcc_lo
	s_delay_alu instid0(VALU_DEP_1) | instskip(NEXT) | instid1(VALU_DEP_1)
	v_and_b32_e32 v39, 0x7f800000, v51
	v_cmp_ne_u32_e64 s10, 0x7f800000, v39
                                        ; implicit-def: $vgpr39
	s_and_saveexec_b32 s25, s10
	s_delay_alu instid0(SALU_CYCLE_1)
	s_xor_b32 s10, exec_lo, s25
; %bb.157:                              ;   in Loop: Header=BB10_128 Depth=2
	v_bfe_u32 v39, v51, 16, 1
	s_delay_alu instid0(VALU_DEP_1)
	v_add3_u32 v39, v51, v39, 0x7fff
                                        ; implicit-def: $vgpr51
; %bb.158:                              ;   in Loop: Header=BB10_128 Depth=2
	s_and_not1_saveexec_b32 s25, s10
; %bb.159:                              ;   in Loop: Header=BB10_128 Depth=2
	v_and_b32_e32 v39, 0xffff, v51
	v_or_b32_e32 v77, 0x10000, v51
	s_delay_alu instid0(VALU_DEP_2) | instskip(NEXT) | instid1(VALU_DEP_1)
	v_cmp_eq_u32_e64 s10, 0, v39
	v_cndmask_b32_e64 v39, v77, v51, s10
; %bb.160:                              ;   in Loop: Header=BB10_128 Depth=2
	s_or_b32 exec_lo, exec_lo, s25
	s_wait_loadcnt 0x2
	v_dual_lshlrev_b32 v51, 16, v32 :: v_dual_lshlrev_b32 v77, 16, v26
	s_delay_alu instid0(VALU_DEP_1) | instskip(NEXT) | instid1(VALU_DEP_1)
	v_dual_max_num_f32 v51, v51, v51 :: v_dual_max_num_f32 v77, v77, v77
	v_dual_min_num_f32 v78, v77, v51 :: v_dual_max_num_f32 v51, v77, v51
	s_delay_alu instid0(VALU_DEP_1) | instskip(NEXT) | instid1(VALU_DEP_1)
	v_cndmask_b32_e32 v77, v51, v78, vcc_lo
	v_and_b32_e32 v51, 0x7f800000, v77
	s_delay_alu instid0(VALU_DEP_1) | instskip(SKIP_1) | instid1(SALU_CYCLE_1)
	v_cmp_ne_u32_e64 s10, 0x7f800000, v51
                                        ; implicit-def: $vgpr51
	s_and_saveexec_b32 s25, s10
	s_xor_b32 s10, exec_lo, s25
; %bb.161:                              ;   in Loop: Header=BB10_128 Depth=2
	v_bfe_u32 v51, v77, 16, 1
	s_delay_alu instid0(VALU_DEP_1)
	v_add3_u32 v51, v77, v51, 0x7fff
                                        ; implicit-def: $vgpr77
; %bb.162:                              ;   in Loop: Header=BB10_128 Depth=2
	s_and_not1_saveexec_b32 s25, s10
; %bb.163:                              ;   in Loop: Header=BB10_128 Depth=2
	v_and_b32_e32 v51, 0xffff, v77
	v_or_b32_e32 v78, 0x10000, v77
	s_delay_alu instid0(VALU_DEP_2) | instskip(NEXT) | instid1(VALU_DEP_1)
	v_cmp_eq_u32_e64 s10, 0, v51
	v_cndmask_b32_e64 v51, v78, v77, s10
; %bb.164:                              ;   in Loop: Header=BB10_128 Depth=2
	s_or_b32 exec_lo, exec_lo, s25
	v_and_b32_e32 v32, 0xffff0000, v32
	v_and_b32_e32 v26, 0xffff0000, v26
	s_delay_alu instid0(VALU_DEP_1) | instskip(NEXT) | instid1(VALU_DEP_1)
	v_dual_max_num_f32 v32, v32, v32 :: v_dual_max_num_f32 v26, v26, v26
	v_dual_min_num_f32 v77, v26, v32 :: v_dual_max_num_f32 v26, v26, v32
	s_delay_alu instid0(VALU_DEP_1) | instskip(NEXT) | instid1(VALU_DEP_1)
	v_cndmask_b32_e32 v32, v26, v77, vcc_lo
	v_and_b32_e32 v26, 0x7f800000, v32
	s_delay_alu instid0(VALU_DEP_1) | instskip(SKIP_1) | instid1(SALU_CYCLE_1)
	v_cmp_ne_u32_e64 s10, 0x7f800000, v26
                                        ; implicit-def: $vgpr26
	s_and_saveexec_b32 s25, s10
	s_xor_b32 s10, exec_lo, s25
; %bb.165:                              ;   in Loop: Header=BB10_128 Depth=2
	v_bfe_u32 v26, v32, 16, 1
	s_delay_alu instid0(VALU_DEP_1)
	v_add3_u32 v26, v32, v26, 0x7fff
                                        ; implicit-def: $vgpr32
; %bb.166:                              ;   in Loop: Header=BB10_128 Depth=2
	s_and_not1_saveexec_b32 s25, s10
; %bb.167:                              ;   in Loop: Header=BB10_128 Depth=2
	v_and_b32_e32 v26, 0xffff, v32
	v_or_b32_e32 v77, 0x10000, v32
	s_delay_alu instid0(VALU_DEP_2) | instskip(NEXT) | instid1(VALU_DEP_1)
	v_cmp_eq_u32_e64 s10, 0, v26
	v_cndmask_b32_e64 v26, v77, v32, s10
; %bb.168:                              ;   in Loop: Header=BB10_128 Depth=2
	s_or_b32 exec_lo, exec_lo, s25
	v_dual_lshlrev_b32 v32, 16, v33 :: v_dual_lshlrev_b32 v77, 16, v27
	s_delay_alu instid0(VALU_DEP_1) | instskip(NEXT) | instid1(VALU_DEP_1)
	v_dual_max_num_f32 v32, v32, v32 :: v_dual_max_num_f32 v77, v77, v77
	v_dual_min_num_f32 v78, v77, v32 :: v_dual_max_num_f32 v32, v77, v32
	s_delay_alu instid0(VALU_DEP_1) | instskip(NEXT) | instid1(VALU_DEP_1)
	v_cndmask_b32_e32 v77, v32, v78, vcc_lo
	v_and_b32_e32 v32, 0x7f800000, v77
	s_delay_alu instid0(VALU_DEP_1) | instskip(SKIP_1) | instid1(SALU_CYCLE_1)
	v_cmp_ne_u32_e64 s10, 0x7f800000, v32
                                        ; implicit-def: $vgpr32
	s_and_saveexec_b32 s25, s10
	s_xor_b32 s10, exec_lo, s25
; %bb.169:                              ;   in Loop: Header=BB10_128 Depth=2
	v_bfe_u32 v32, v77, 16, 1
	s_delay_alu instid0(VALU_DEP_1)
	v_add3_u32 v32, v77, v32, 0x7fff
                                        ; implicit-def: $vgpr77
; %bb.170:                              ;   in Loop: Header=BB10_128 Depth=2
	s_and_not1_saveexec_b32 s25, s10
; %bb.171:                              ;   in Loop: Header=BB10_128 Depth=2
	v_and_b32_e32 v32, 0xffff, v77
	v_or_b32_e32 v78, 0x10000, v77
	s_delay_alu instid0(VALU_DEP_2) | instskip(NEXT) | instid1(VALU_DEP_1)
	v_cmp_eq_u32_e64 s10, 0, v32
	v_cndmask_b32_e64 v32, v78, v77, s10
; %bb.172:                              ;   in Loop: Header=BB10_128 Depth=2
	s_or_b32 exec_lo, exec_lo, s25
	v_and_b32_e32 v33, 0xffff0000, v33
	v_and_b32_e32 v27, 0xffff0000, v27
	s_delay_alu instid0(VALU_DEP_1) | instskip(NEXT) | instid1(VALU_DEP_1)
	v_dual_max_num_f32 v33, v33, v33 :: v_dual_max_num_f32 v27, v27, v27
	v_dual_min_num_f32 v77, v27, v33 :: v_dual_max_num_f32 v27, v27, v33
	s_delay_alu instid0(VALU_DEP_1) | instskip(NEXT) | instid1(VALU_DEP_1)
	v_cndmask_b32_e32 v33, v27, v77, vcc_lo
	v_and_b32_e32 v27, 0x7f800000, v33
	s_delay_alu instid0(VALU_DEP_1) | instskip(SKIP_1) | instid1(SALU_CYCLE_1)
	v_cmp_ne_u32_e64 s10, 0x7f800000, v27
                                        ; implicit-def: $vgpr27
	s_and_saveexec_b32 s25, s10
	s_xor_b32 s10, exec_lo, s25
; %bb.173:                              ;   in Loop: Header=BB10_128 Depth=2
	v_bfe_u32 v27, v33, 16, 1
	s_delay_alu instid0(VALU_DEP_1)
	v_add3_u32 v27, v33, v27, 0x7fff
                                        ; implicit-def: $vgpr33
; %bb.174:                              ;   in Loop: Header=BB10_128 Depth=2
	s_and_not1_saveexec_b32 s25, s10
; %bb.175:                              ;   in Loop: Header=BB10_128 Depth=2
	v_and_b32_e32 v27, 0xffff, v33
	v_or_b32_e32 v77, 0x10000, v33
	s_delay_alu instid0(VALU_DEP_2) | instskip(NEXT) | instid1(VALU_DEP_1)
	v_cmp_eq_u32_e64 s10, 0, v27
	v_cndmask_b32_e64 v27, v77, v33, s10
; %bb.176:                              ;   in Loop: Header=BB10_128 Depth=2
	s_or_b32 exec_lo, exec_lo, s25
	v_dual_lshlrev_b32 v33, 16, v34 :: v_dual_lshlrev_b32 v77, 16, v28
	s_delay_alu instid0(VALU_DEP_1) | instskip(NEXT) | instid1(VALU_DEP_2)
	v_max_num_f32_e32 v33, v33, v33
	v_max_num_f32_e32 v77, v77, v77
	s_delay_alu instid0(VALU_DEP_1) | instskip(NEXT) | instid1(VALU_DEP_1)
	v_dual_min_num_f32 v78, v77, v33 :: v_dual_max_num_f32 v33, v77, v33
	v_cndmask_b32_e32 v77, v33, v78, vcc_lo
	s_delay_alu instid0(VALU_DEP_1) | instskip(NEXT) | instid1(VALU_DEP_1)
	v_and_b32_e32 v33, 0x7f800000, v77
	v_cmp_ne_u32_e64 s10, 0x7f800000, v33
                                        ; implicit-def: $vgpr33
	s_and_saveexec_b32 s25, s10
	s_delay_alu instid0(SALU_CYCLE_1)
	s_xor_b32 s10, exec_lo, s25
; %bb.177:                              ;   in Loop: Header=BB10_128 Depth=2
	v_bfe_u32 v33, v77, 16, 1
	s_delay_alu instid0(VALU_DEP_1)
	v_add3_u32 v33, v77, v33, 0x7fff
                                        ; implicit-def: $vgpr77
; %bb.178:                              ;   in Loop: Header=BB10_128 Depth=2
	s_and_not1_saveexec_b32 s25, s10
; %bb.179:                              ;   in Loop: Header=BB10_128 Depth=2
	v_and_b32_e32 v33, 0xffff, v77
	v_or_b32_e32 v78, 0x10000, v77
	s_delay_alu instid0(VALU_DEP_2) | instskip(NEXT) | instid1(VALU_DEP_1)
	v_cmp_eq_u32_e64 s10, 0, v33
	v_cndmask_b32_e64 v33, v78, v77, s10
; %bb.180:                              ;   in Loop: Header=BB10_128 Depth=2
	s_or_b32 exec_lo, exec_lo, s25
	v_and_b32_e32 v34, 0xffff0000, v34
	v_and_b32_e32 v28, 0xffff0000, v28
	s_delay_alu instid0(VALU_DEP_1) | instskip(NEXT) | instid1(VALU_DEP_1)
	v_dual_max_num_f32 v34, v34, v34 :: v_dual_max_num_f32 v28, v28, v28
	v_dual_min_num_f32 v77, v28, v34 :: v_dual_max_num_f32 v28, v28, v34
	s_delay_alu instid0(VALU_DEP_1) | instskip(NEXT) | instid1(VALU_DEP_1)
	v_cndmask_b32_e32 v34, v28, v77, vcc_lo
	v_and_b32_e32 v28, 0x7f800000, v34
	s_delay_alu instid0(VALU_DEP_1) | instskip(SKIP_1) | instid1(SALU_CYCLE_1)
	v_cmp_ne_u32_e64 s10, 0x7f800000, v28
                                        ; implicit-def: $vgpr28
	s_and_saveexec_b32 s25, s10
	s_xor_b32 s10, exec_lo, s25
; %bb.181:                              ;   in Loop: Header=BB10_128 Depth=2
	v_bfe_u32 v28, v34, 16, 1
	s_delay_alu instid0(VALU_DEP_1)
	v_add3_u32 v28, v34, v28, 0x7fff
                                        ; implicit-def: $vgpr34
; %bb.182:                              ;   in Loop: Header=BB10_128 Depth=2
	s_and_not1_saveexec_b32 s25, s10
; %bb.183:                              ;   in Loop: Header=BB10_128 Depth=2
	v_and_b32_e32 v28, 0xffff, v34
	v_or_b32_e32 v77, 0x10000, v34
	s_delay_alu instid0(VALU_DEP_2) | instskip(NEXT) | instid1(VALU_DEP_1)
	v_cmp_eq_u32_e64 s10, 0, v28
	v_cndmask_b32_e64 v28, v77, v34, s10
; %bb.184:                              ;   in Loop: Header=BB10_128 Depth=2
	s_or_b32 exec_lo, exec_lo, s25
	v_dual_lshlrev_b32 v34, 16, v35 :: v_dual_lshlrev_b32 v77, 16, v29
	s_delay_alu instid0(VALU_DEP_1) | instskip(NEXT) | instid1(VALU_DEP_1)
	v_dual_max_num_f32 v34, v34, v34 :: v_dual_max_num_f32 v77, v77, v77
	v_dual_min_num_f32 v78, v77, v34 :: v_dual_max_num_f32 v34, v77, v34
	s_delay_alu instid0(VALU_DEP_1) | instskip(NEXT) | instid1(VALU_DEP_1)
	v_cndmask_b32_e32 v77, v34, v78, vcc_lo
	v_and_b32_e32 v34, 0x7f800000, v77
	s_delay_alu instid0(VALU_DEP_1) | instskip(SKIP_1) | instid1(SALU_CYCLE_1)
	v_cmp_ne_u32_e64 s10, 0x7f800000, v34
                                        ; implicit-def: $vgpr34
	s_and_saveexec_b32 s25, s10
	s_xor_b32 s10, exec_lo, s25
; %bb.185:                              ;   in Loop: Header=BB10_128 Depth=2
	v_bfe_u32 v34, v77, 16, 1
	s_delay_alu instid0(VALU_DEP_1)
	v_add3_u32 v34, v77, v34, 0x7fff
                                        ; implicit-def: $vgpr77
; %bb.186:                              ;   in Loop: Header=BB10_128 Depth=2
	s_and_not1_saveexec_b32 s25, s10
; %bb.187:                              ;   in Loop: Header=BB10_128 Depth=2
	v_and_b32_e32 v34, 0xffff, v77
	v_or_b32_e32 v78, 0x10000, v77
	s_delay_alu instid0(VALU_DEP_2) | instskip(NEXT) | instid1(VALU_DEP_1)
	v_cmp_eq_u32_e64 s10, 0, v34
	v_cndmask_b32_e64 v34, v78, v77, s10
; %bb.188:                              ;   in Loop: Header=BB10_128 Depth=2
	s_or_b32 exec_lo, exec_lo, s25
	v_and_b32_e32 v35, 0xffff0000, v35
	v_and_b32_e32 v29, 0xffff0000, v29
	s_delay_alu instid0(VALU_DEP_1) | instskip(NEXT) | instid1(VALU_DEP_1)
	v_dual_max_num_f32 v35, v35, v35 :: v_dual_max_num_f32 v29, v29, v29
	v_dual_min_num_f32 v77, v29, v35 :: v_dual_max_num_f32 v29, v29, v35
	s_delay_alu instid0(VALU_DEP_1) | instskip(NEXT) | instid1(VALU_DEP_1)
	v_cndmask_b32_e32 v35, v29, v77, vcc_lo
	v_and_b32_e32 v29, 0x7f800000, v35
	s_delay_alu instid0(VALU_DEP_1) | instskip(SKIP_1) | instid1(SALU_CYCLE_1)
	v_cmp_ne_u32_e64 s10, 0x7f800000, v29
                                        ; implicit-def: $vgpr29
	s_and_saveexec_b32 s25, s10
	s_xor_b32 s10, exec_lo, s25
; %bb.189:                              ;   in Loop: Header=BB10_128 Depth=2
	v_bfe_u32 v29, v35, 16, 1
	s_delay_alu instid0(VALU_DEP_1)
	v_add3_u32 v29, v35, v29, 0x7fff
                                        ; implicit-def: $vgpr35
; %bb.190:                              ;   in Loop: Header=BB10_128 Depth=2
	s_and_not1_saveexec_b32 s25, s10
; %bb.191:                              ;   in Loop: Header=BB10_128 Depth=2
	v_and_b32_e32 v29, 0xffff, v35
	v_or_b32_e32 v77, 0x10000, v35
	s_delay_alu instid0(VALU_DEP_2) | instskip(NEXT) | instid1(VALU_DEP_1)
	v_cmp_eq_u32_e64 s10, 0, v29
	v_cndmask_b32_e64 v29, v77, v35, s10
; %bb.192:                              ;   in Loop: Header=BB10_128 Depth=2
	s_or_b32 exec_lo, exec_lo, s25
	v_lshlrev_b32_e32 v77, 16, v18
	s_wait_loadcnt 0x1
	s_delay_alu instid0(VALU_DEP_1) | instskip(NEXT) | instid1(VALU_DEP_1)
	v_dual_lshlrev_b32 v35, 16, v22 :: v_dual_max_num_f32 v77, v77, v77
	v_max_num_f32_e32 v35, v35, v35
	s_delay_alu instid0(VALU_DEP_1) | instskip(NEXT) | instid1(VALU_DEP_1)
	v_dual_min_num_f32 v78, v77, v35 :: v_dual_max_num_f32 v35, v77, v35
	v_cndmask_b32_e32 v77, v35, v78, vcc_lo
	s_delay_alu instid0(VALU_DEP_1) | instskip(NEXT) | instid1(VALU_DEP_1)
	v_and_b32_e32 v35, 0x7f800000, v77
	v_cmp_ne_u32_e64 s10, 0x7f800000, v35
                                        ; implicit-def: $vgpr35
	s_and_saveexec_b32 s25, s10
	s_delay_alu instid0(SALU_CYCLE_1)
	s_xor_b32 s10, exec_lo, s25
; %bb.193:                              ;   in Loop: Header=BB10_128 Depth=2
	v_bfe_u32 v35, v77, 16, 1
	s_delay_alu instid0(VALU_DEP_1)
	v_add3_u32 v35, v77, v35, 0x7fff
                                        ; implicit-def: $vgpr77
; %bb.194:                              ;   in Loop: Header=BB10_128 Depth=2
	s_and_not1_saveexec_b32 s25, s10
; %bb.195:                              ;   in Loop: Header=BB10_128 Depth=2
	v_and_b32_e32 v35, 0xffff, v77
	v_or_b32_e32 v78, 0x10000, v77
	s_delay_alu instid0(VALU_DEP_2) | instskip(NEXT) | instid1(VALU_DEP_1)
	v_cmp_eq_u32_e64 s10, 0, v35
	v_cndmask_b32_e64 v35, v78, v77, s10
; %bb.196:                              ;   in Loop: Header=BB10_128 Depth=2
	s_or_b32 exec_lo, exec_lo, s25
	v_and_b32_e32 v22, 0xffff0000, v22
	v_and_b32_e32 v18, 0xffff0000, v18
	s_delay_alu instid0(VALU_DEP_2) | instskip(NEXT) | instid1(VALU_DEP_2)
	v_max_num_f32_e32 v22, v22, v22
	v_max_num_f32_e32 v18, v18, v18
	s_delay_alu instid0(VALU_DEP_1) | instskip(NEXT) | instid1(VALU_DEP_1)
	v_dual_min_num_f32 v77, v18, v22 :: v_dual_max_num_f32 v18, v18, v22
	v_cndmask_b32_e32 v22, v18, v77, vcc_lo
	s_delay_alu instid0(VALU_DEP_1) | instskip(NEXT) | instid1(VALU_DEP_1)
	v_and_b32_e32 v18, 0x7f800000, v22
	v_cmp_ne_u32_e64 s10, 0x7f800000, v18
                                        ; implicit-def: $vgpr18
	s_and_saveexec_b32 s25, s10
	s_delay_alu instid0(SALU_CYCLE_1)
	s_xor_b32 s10, exec_lo, s25
; %bb.197:                              ;   in Loop: Header=BB10_128 Depth=2
	v_bfe_u32 v18, v22, 16, 1
	s_delay_alu instid0(VALU_DEP_1)
	v_add3_u32 v18, v22, v18, 0x7fff
                                        ; implicit-def: $vgpr22
; %bb.198:                              ;   in Loop: Header=BB10_128 Depth=2
	s_and_not1_saveexec_b32 s25, s10
; %bb.199:                              ;   in Loop: Header=BB10_128 Depth=2
	v_and_b32_e32 v18, 0xffff, v22
	v_or_b32_e32 v77, 0x10000, v22
	s_delay_alu instid0(VALU_DEP_2) | instskip(NEXT) | instid1(VALU_DEP_1)
	v_cmp_eq_u32_e64 s10, 0, v18
	v_cndmask_b32_e64 v18, v77, v22, s10
; %bb.200:                              ;   in Loop: Header=BB10_128 Depth=2
	s_or_b32 exec_lo, exec_lo, s25
	v_lshlrev_b32_e32 v77, 16, v19
	s_delay_alu instid0(VALU_DEP_1) | instskip(NEXT) | instid1(VALU_DEP_1)
	v_dual_max_num_f32 v77, v77, v77 :: v_dual_lshlrev_b32 v22, 16, v23
	v_max_num_f32_e32 v22, v22, v22
	s_delay_alu instid0(VALU_DEP_1) | instskip(NEXT) | instid1(VALU_DEP_1)
	v_dual_min_num_f32 v78, v77, v22 :: v_dual_max_num_f32 v22, v77, v22
	v_cndmask_b32_e32 v77, v22, v78, vcc_lo
	s_delay_alu instid0(VALU_DEP_1) | instskip(NEXT) | instid1(VALU_DEP_1)
	v_and_b32_e32 v22, 0x7f800000, v77
	v_cmp_ne_u32_e64 s10, 0x7f800000, v22
                                        ; implicit-def: $vgpr22
	s_and_saveexec_b32 s25, s10
	s_delay_alu instid0(SALU_CYCLE_1)
	s_xor_b32 s10, exec_lo, s25
; %bb.201:                              ;   in Loop: Header=BB10_128 Depth=2
	v_bfe_u32 v22, v77, 16, 1
	s_delay_alu instid0(VALU_DEP_1)
	v_add3_u32 v22, v77, v22, 0x7fff
                                        ; implicit-def: $vgpr77
; %bb.202:                              ;   in Loop: Header=BB10_128 Depth=2
	s_and_not1_saveexec_b32 s25, s10
; %bb.203:                              ;   in Loop: Header=BB10_128 Depth=2
	v_and_b32_e32 v22, 0xffff, v77
	v_or_b32_e32 v78, 0x10000, v77
	s_delay_alu instid0(VALU_DEP_2) | instskip(NEXT) | instid1(VALU_DEP_1)
	v_cmp_eq_u32_e64 s10, 0, v22
	v_cndmask_b32_e64 v22, v78, v77, s10
; %bb.204:                              ;   in Loop: Header=BB10_128 Depth=2
	s_or_b32 exec_lo, exec_lo, s25
	v_and_b32_e32 v23, 0xffff0000, v23
	v_and_b32_e32 v19, 0xffff0000, v19
	s_delay_alu instid0(VALU_DEP_2) | instskip(NEXT) | instid1(VALU_DEP_2)
	v_max_num_f32_e32 v23, v23, v23
	v_max_num_f32_e32 v19, v19, v19
	s_delay_alu instid0(VALU_DEP_1) | instskip(NEXT) | instid1(VALU_DEP_1)
	v_dual_min_num_f32 v77, v19, v23 :: v_dual_max_num_f32 v19, v19, v23
	v_cndmask_b32_e32 v23, v19, v77, vcc_lo
	s_delay_alu instid0(VALU_DEP_1) | instskip(NEXT) | instid1(VALU_DEP_1)
	v_and_b32_e32 v19, 0x7f800000, v23
	v_cmp_ne_u32_e64 s10, 0x7f800000, v19
                                        ; implicit-def: $vgpr19
	s_and_saveexec_b32 s25, s10
	s_delay_alu instid0(SALU_CYCLE_1)
	s_xor_b32 s10, exec_lo, s25
; %bb.205:                              ;   in Loop: Header=BB10_128 Depth=2
	v_bfe_u32 v19, v23, 16, 1
	s_delay_alu instid0(VALU_DEP_1)
	v_add3_u32 v19, v23, v19, 0x7fff
                                        ; implicit-def: $vgpr23
; %bb.206:                              ;   in Loop: Header=BB10_128 Depth=2
	s_and_not1_saveexec_b32 s25, s10
; %bb.207:                              ;   in Loop: Header=BB10_128 Depth=2
	v_and_b32_e32 v19, 0xffff, v23
	v_or_b32_e32 v77, 0x10000, v23
	s_delay_alu instid0(VALU_DEP_2) | instskip(NEXT) | instid1(VALU_DEP_1)
	v_cmp_eq_u32_e64 s10, 0, v19
	v_cndmask_b32_e64 v19, v77, v23, s10
; %bb.208:                              ;   in Loop: Header=BB10_128 Depth=2
	s_or_b32 exec_lo, exec_lo, s25
	v_lshlrev_b32_e32 v77, 16, v20
	s_delay_alu instid0(VALU_DEP_1) | instskip(NEXT) | instid1(VALU_DEP_1)
	v_dual_lshlrev_b32 v23, 16, v24 :: v_dual_max_num_f32 v77, v77, v77
	v_max_num_f32_e32 v23, v23, v23
	s_delay_alu instid0(VALU_DEP_1) | instskip(NEXT) | instid1(VALU_DEP_1)
	v_dual_min_num_f32 v78, v77, v23 :: v_dual_max_num_f32 v23, v77, v23
	v_cndmask_b32_e32 v77, v23, v78, vcc_lo
	s_delay_alu instid0(VALU_DEP_1) | instskip(NEXT) | instid1(VALU_DEP_1)
	v_and_b32_e32 v23, 0x7f800000, v77
	v_cmp_ne_u32_e64 s10, 0x7f800000, v23
                                        ; implicit-def: $vgpr23
	s_and_saveexec_b32 s25, s10
	s_delay_alu instid0(SALU_CYCLE_1)
	s_xor_b32 s10, exec_lo, s25
; %bb.209:                              ;   in Loop: Header=BB10_128 Depth=2
	v_bfe_u32 v23, v77, 16, 1
	s_delay_alu instid0(VALU_DEP_1)
	v_add3_u32 v23, v77, v23, 0x7fff
                                        ; implicit-def: $vgpr77
; %bb.210:                              ;   in Loop: Header=BB10_128 Depth=2
	s_and_not1_saveexec_b32 s25, s10
; %bb.211:                              ;   in Loop: Header=BB10_128 Depth=2
	v_and_b32_e32 v23, 0xffff, v77
	v_or_b32_e32 v78, 0x10000, v77
	s_delay_alu instid0(VALU_DEP_2) | instskip(NEXT) | instid1(VALU_DEP_1)
	v_cmp_eq_u32_e64 s10, 0, v23
	v_cndmask_b32_e64 v23, v78, v77, s10
; %bb.212:                              ;   in Loop: Header=BB10_128 Depth=2
	s_or_b32 exec_lo, exec_lo, s25
	v_and_b32_e32 v24, 0xffff0000, v24
	v_and_b32_e32 v20, 0xffff0000, v20
	s_delay_alu instid0(VALU_DEP_2) | instskip(NEXT) | instid1(VALU_DEP_2)
	v_max_num_f32_e32 v24, v24, v24
	v_max_num_f32_e32 v20, v20, v20
	s_delay_alu instid0(VALU_DEP_1) | instskip(NEXT) | instid1(VALU_DEP_1)
	v_dual_min_num_f32 v77, v20, v24 :: v_dual_max_num_f32 v20, v20, v24
	v_cndmask_b32_e32 v24, v20, v77, vcc_lo
	s_delay_alu instid0(VALU_DEP_1) | instskip(NEXT) | instid1(VALU_DEP_1)
	v_and_b32_e32 v20, 0x7f800000, v24
	v_cmp_ne_u32_e64 s10, 0x7f800000, v20
                                        ; implicit-def: $vgpr20
	s_and_saveexec_b32 s25, s10
	s_delay_alu instid0(SALU_CYCLE_1)
	s_xor_b32 s10, exec_lo, s25
; %bb.213:                              ;   in Loop: Header=BB10_128 Depth=2
	v_bfe_u32 v20, v24, 16, 1
	s_delay_alu instid0(VALU_DEP_1)
	v_add3_u32 v20, v24, v20, 0x7fff
                                        ; implicit-def: $vgpr24
; %bb.214:                              ;   in Loop: Header=BB10_128 Depth=2
	s_and_not1_saveexec_b32 s25, s10
; %bb.215:                              ;   in Loop: Header=BB10_128 Depth=2
	v_and_b32_e32 v20, 0xffff, v24
	v_or_b32_e32 v77, 0x10000, v24
	s_delay_alu instid0(VALU_DEP_2) | instskip(NEXT) | instid1(VALU_DEP_1)
	v_cmp_eq_u32_e64 s10, 0, v20
	v_cndmask_b32_e64 v20, v77, v24, s10
; %bb.216:                              ;   in Loop: Header=BB10_128 Depth=2
	s_or_b32 exec_lo, exec_lo, s25
	v_lshlrev_b32_e32 v24, 16, v25
	s_delay_alu instid0(VALU_DEP_1) | instskip(NEXT) | instid1(VALU_DEP_1)
	v_dual_max_num_f32 v24, v24, v24 :: v_dual_lshlrev_b32 v77, 16, v21
	v_max_num_f32_e32 v77, v77, v77
	s_delay_alu instid0(VALU_DEP_1) | instskip(NEXT) | instid1(VALU_DEP_1)
	v_dual_min_num_f32 v78, v77, v24 :: v_dual_max_num_f32 v24, v77, v24
	v_cndmask_b32_e32 v77, v24, v78, vcc_lo
	s_delay_alu instid0(VALU_DEP_1) | instskip(NEXT) | instid1(VALU_DEP_1)
	v_and_b32_e32 v24, 0x7f800000, v77
	v_cmp_ne_u32_e64 s10, 0x7f800000, v24
                                        ; implicit-def: $vgpr24
	s_and_saveexec_b32 s25, s10
	s_delay_alu instid0(SALU_CYCLE_1)
	s_xor_b32 s10, exec_lo, s25
; %bb.217:                              ;   in Loop: Header=BB10_128 Depth=2
	v_bfe_u32 v24, v77, 16, 1
	s_delay_alu instid0(VALU_DEP_1)
	v_add3_u32 v24, v77, v24, 0x7fff
                                        ; implicit-def: $vgpr77
; %bb.218:                              ;   in Loop: Header=BB10_128 Depth=2
	s_and_not1_saveexec_b32 s25, s10
; %bb.219:                              ;   in Loop: Header=BB10_128 Depth=2
	v_and_b32_e32 v24, 0xffff, v77
	v_or_b32_e32 v78, 0x10000, v77
	s_delay_alu instid0(VALU_DEP_2) | instskip(NEXT) | instid1(VALU_DEP_1)
	v_cmp_eq_u32_e64 s10, 0, v24
	v_cndmask_b32_e64 v24, v78, v77, s10
; %bb.220:                              ;   in Loop: Header=BB10_128 Depth=2
	s_or_b32 exec_lo, exec_lo, s25
	v_and_b32_e32 v25, 0xffff0000, v25
	v_and_b32_e32 v21, 0xffff0000, v21
	s_delay_alu instid0(VALU_DEP_2) | instskip(NEXT) | instid1(VALU_DEP_2)
	v_max_num_f32_e32 v25, v25, v25
	v_max_num_f32_e32 v21, v21, v21
	s_delay_alu instid0(VALU_DEP_1) | instskip(NEXT) | instid1(VALU_DEP_1)
	v_dual_min_num_f32 v77, v21, v25 :: v_dual_max_num_f32 v21, v21, v25
	v_cndmask_b32_e32 v25, v21, v77, vcc_lo
	s_delay_alu instid0(VALU_DEP_1) | instskip(NEXT) | instid1(VALU_DEP_1)
	v_and_b32_e32 v21, 0x7f800000, v25
	v_cmp_ne_u32_e64 s10, 0x7f800000, v21
                                        ; implicit-def: $vgpr21
	s_and_saveexec_b32 s25, s10
	s_delay_alu instid0(SALU_CYCLE_1)
	s_xor_b32 s10, exec_lo, s25
; %bb.221:                              ;   in Loop: Header=BB10_128 Depth=2
	v_bfe_u32 v21, v25, 16, 1
	s_delay_alu instid0(VALU_DEP_1)
	v_add3_u32 v21, v25, v21, 0x7fff
                                        ; implicit-def: $vgpr25
; %bb.222:                              ;   in Loop: Header=BB10_128 Depth=2
	s_and_not1_saveexec_b32 s25, s10
; %bb.223:                              ;   in Loop: Header=BB10_128 Depth=2
	v_and_b32_e32 v21, 0xffff, v25
	v_or_b32_e32 v77, 0x10000, v25
	s_delay_alu instid0(VALU_DEP_2) | instskip(NEXT) | instid1(VALU_DEP_1)
	v_cmp_eq_u32_e64 s10, 0, v21
	v_cndmask_b32_e64 v21, v77, v25, s10
; %bb.224:                              ;   in Loop: Header=BB10_128 Depth=2
	s_or_b32 exec_lo, exec_lo, s25
	v_lshlrev_b32_e32 v77, 16, v10
	s_wait_loadcnt 0x0
	s_delay_alu instid0(VALU_DEP_1) | instskip(NEXT) | instid1(VALU_DEP_1)
	v_dual_lshlrev_b32 v25, 16, v14 :: v_dual_max_num_f32 v77, v77, v77
	v_max_num_f32_e32 v25, v25, v25
	s_delay_alu instid0(VALU_DEP_1) | instskip(NEXT) | instid1(VALU_DEP_1)
	v_dual_min_num_f32 v78, v77, v25 :: v_dual_max_num_f32 v25, v77, v25
	v_cndmask_b32_e32 v77, v25, v78, vcc_lo
	s_delay_alu instid0(VALU_DEP_1) | instskip(NEXT) | instid1(VALU_DEP_1)
	v_and_b32_e32 v25, 0x7f800000, v77
	v_cmp_ne_u32_e64 s10, 0x7f800000, v25
                                        ; implicit-def: $vgpr25
	s_and_saveexec_b32 s25, s10
	s_delay_alu instid0(SALU_CYCLE_1)
	s_xor_b32 s10, exec_lo, s25
; %bb.225:                              ;   in Loop: Header=BB10_128 Depth=2
	v_bfe_u32 v25, v77, 16, 1
	s_delay_alu instid0(VALU_DEP_1)
	v_add3_u32 v25, v77, v25, 0x7fff
                                        ; implicit-def: $vgpr77
; %bb.226:                              ;   in Loop: Header=BB10_128 Depth=2
	s_and_not1_saveexec_b32 s25, s10
; %bb.227:                              ;   in Loop: Header=BB10_128 Depth=2
	v_and_b32_e32 v25, 0xffff, v77
	v_or_b32_e32 v78, 0x10000, v77
	s_delay_alu instid0(VALU_DEP_2) | instskip(NEXT) | instid1(VALU_DEP_1)
	v_cmp_eq_u32_e64 s10, 0, v25
	v_cndmask_b32_e64 v25, v78, v77, s10
; %bb.228:                              ;   in Loop: Header=BB10_128 Depth=2
	s_or_b32 exec_lo, exec_lo, s25
	v_and_b32_e32 v14, 0xffff0000, v14
	v_and_b32_e32 v10, 0xffff0000, v10
	s_delay_alu instid0(VALU_DEP_2) | instskip(NEXT) | instid1(VALU_DEP_2)
	v_max_num_f32_e32 v14, v14, v14
	v_max_num_f32_e32 v10, v10, v10
	s_delay_alu instid0(VALU_DEP_1) | instskip(NEXT) | instid1(VALU_DEP_1)
	v_dual_min_num_f32 v77, v10, v14 :: v_dual_max_num_f32 v10, v10, v14
	v_cndmask_b32_e32 v14, v10, v77, vcc_lo
	s_delay_alu instid0(VALU_DEP_1) | instskip(NEXT) | instid1(VALU_DEP_1)
	v_and_b32_e32 v10, 0x7f800000, v14
	v_cmp_ne_u32_e64 s10, 0x7f800000, v10
                                        ; implicit-def: $vgpr10
	s_and_saveexec_b32 s25, s10
	s_delay_alu instid0(SALU_CYCLE_1)
	s_xor_b32 s10, exec_lo, s25
; %bb.229:                              ;   in Loop: Header=BB10_128 Depth=2
	v_bfe_u32 v10, v14, 16, 1
	s_delay_alu instid0(VALU_DEP_1)
	v_add3_u32 v10, v14, v10, 0x7fff
                                        ; implicit-def: $vgpr14
; %bb.230:                              ;   in Loop: Header=BB10_128 Depth=2
	s_and_not1_saveexec_b32 s25, s10
; %bb.231:                              ;   in Loop: Header=BB10_128 Depth=2
	v_and_b32_e32 v10, 0xffff, v14
	v_or_b32_e32 v77, 0x10000, v14
	s_delay_alu instid0(VALU_DEP_2) | instskip(NEXT) | instid1(VALU_DEP_1)
	v_cmp_eq_u32_e64 s10, 0, v10
	v_cndmask_b32_e64 v10, v77, v14, s10
; %bb.232:                              ;   in Loop: Header=BB10_128 Depth=2
	s_or_b32 exec_lo, exec_lo, s25
	v_lshlrev_b32_e32 v77, 16, v11
	s_delay_alu instid0(VALU_DEP_1) | instskip(NEXT) | instid1(VALU_DEP_1)
	v_dual_max_num_f32 v77, v77, v77 :: v_dual_lshlrev_b32 v14, 16, v15
	v_max_num_f32_e32 v14, v14, v14
	s_delay_alu instid0(VALU_DEP_1) | instskip(NEXT) | instid1(VALU_DEP_1)
	v_dual_min_num_f32 v78, v77, v14 :: v_dual_max_num_f32 v14, v77, v14
	v_cndmask_b32_e32 v77, v14, v78, vcc_lo
	s_delay_alu instid0(VALU_DEP_1) | instskip(NEXT) | instid1(VALU_DEP_1)
	v_and_b32_e32 v14, 0x7f800000, v77
	v_cmp_ne_u32_e64 s10, 0x7f800000, v14
                                        ; implicit-def: $vgpr14
	s_and_saveexec_b32 s25, s10
	s_delay_alu instid0(SALU_CYCLE_1)
	s_xor_b32 s10, exec_lo, s25
; %bb.233:                              ;   in Loop: Header=BB10_128 Depth=2
	v_bfe_u32 v14, v77, 16, 1
	s_delay_alu instid0(VALU_DEP_1)
	v_add3_u32 v14, v77, v14, 0x7fff
                                        ; implicit-def: $vgpr77
; %bb.234:                              ;   in Loop: Header=BB10_128 Depth=2
	s_and_not1_saveexec_b32 s25, s10
; %bb.235:                              ;   in Loop: Header=BB10_128 Depth=2
	v_and_b32_e32 v14, 0xffff, v77
	v_or_b32_e32 v78, 0x10000, v77
	s_delay_alu instid0(VALU_DEP_2) | instskip(NEXT) | instid1(VALU_DEP_1)
	v_cmp_eq_u32_e64 s10, 0, v14
	v_cndmask_b32_e64 v14, v78, v77, s10
; %bb.236:                              ;   in Loop: Header=BB10_128 Depth=2
	s_or_b32 exec_lo, exec_lo, s25
	v_and_b32_e32 v15, 0xffff0000, v15
	v_and_b32_e32 v11, 0xffff0000, v11
	s_delay_alu instid0(VALU_DEP_2) | instskip(NEXT) | instid1(VALU_DEP_2)
	v_max_num_f32_e32 v15, v15, v15
	v_max_num_f32_e32 v11, v11, v11
	s_delay_alu instid0(VALU_DEP_1) | instskip(NEXT) | instid1(VALU_DEP_1)
	v_dual_min_num_f32 v77, v11, v15 :: v_dual_max_num_f32 v11, v11, v15
	v_cndmask_b32_e32 v15, v11, v77, vcc_lo
	s_delay_alu instid0(VALU_DEP_1) | instskip(NEXT) | instid1(VALU_DEP_1)
	v_and_b32_e32 v11, 0x7f800000, v15
	v_cmp_ne_u32_e64 s10, 0x7f800000, v11
                                        ; implicit-def: $vgpr11
	s_and_saveexec_b32 s25, s10
	s_delay_alu instid0(SALU_CYCLE_1)
	s_xor_b32 s10, exec_lo, s25
; %bb.237:                              ;   in Loop: Header=BB10_128 Depth=2
	v_bfe_u32 v11, v15, 16, 1
	s_delay_alu instid0(VALU_DEP_1)
	v_add3_u32 v11, v15, v11, 0x7fff
                                        ; implicit-def: $vgpr15
; %bb.238:                              ;   in Loop: Header=BB10_128 Depth=2
	s_and_not1_saveexec_b32 s25, s10
; %bb.239:                              ;   in Loop: Header=BB10_128 Depth=2
	v_and_b32_e32 v11, 0xffff, v15
	v_or_b32_e32 v77, 0x10000, v15
	s_delay_alu instid0(VALU_DEP_2) | instskip(NEXT) | instid1(VALU_DEP_1)
	v_cmp_eq_u32_e64 s10, 0, v11
	v_cndmask_b32_e64 v11, v77, v15, s10
; %bb.240:                              ;   in Loop: Header=BB10_128 Depth=2
	s_or_b32 exec_lo, exec_lo, s25
	v_lshlrev_b32_e32 v77, 16, v12
	s_delay_alu instid0(VALU_DEP_1) | instskip(NEXT) | instid1(VALU_DEP_1)
	v_dual_lshlrev_b32 v15, 16, v16 :: v_dual_max_num_f32 v77, v77, v77
	v_max_num_f32_e32 v15, v15, v15
	s_delay_alu instid0(VALU_DEP_1) | instskip(NEXT) | instid1(VALU_DEP_1)
	v_dual_min_num_f32 v78, v77, v15 :: v_dual_max_num_f32 v15, v77, v15
	v_cndmask_b32_e32 v77, v15, v78, vcc_lo
	s_delay_alu instid0(VALU_DEP_1) | instskip(NEXT) | instid1(VALU_DEP_1)
	v_and_b32_e32 v15, 0x7f800000, v77
	v_cmp_ne_u32_e64 s10, 0x7f800000, v15
                                        ; implicit-def: $vgpr15
	s_and_saveexec_b32 s25, s10
	s_delay_alu instid0(SALU_CYCLE_1)
	s_xor_b32 s10, exec_lo, s25
; %bb.241:                              ;   in Loop: Header=BB10_128 Depth=2
	v_bfe_u32 v15, v77, 16, 1
	s_delay_alu instid0(VALU_DEP_1)
	v_add3_u32 v15, v77, v15, 0x7fff
                                        ; implicit-def: $vgpr77
; %bb.242:                              ;   in Loop: Header=BB10_128 Depth=2
	s_and_not1_saveexec_b32 s25, s10
; %bb.243:                              ;   in Loop: Header=BB10_128 Depth=2
	v_and_b32_e32 v15, 0xffff, v77
	v_or_b32_e32 v78, 0x10000, v77
	s_delay_alu instid0(VALU_DEP_2) | instskip(NEXT) | instid1(VALU_DEP_1)
	v_cmp_eq_u32_e64 s10, 0, v15
	v_cndmask_b32_e64 v15, v78, v77, s10
; %bb.244:                              ;   in Loop: Header=BB10_128 Depth=2
	s_or_b32 exec_lo, exec_lo, s25
	v_and_b32_e32 v16, 0xffff0000, v16
	v_and_b32_e32 v12, 0xffff0000, v12
	s_delay_alu instid0(VALU_DEP_2) | instskip(NEXT) | instid1(VALU_DEP_2)
	v_max_num_f32_e32 v16, v16, v16
	v_max_num_f32_e32 v12, v12, v12
	s_delay_alu instid0(VALU_DEP_1) | instskip(NEXT) | instid1(VALU_DEP_1)
	v_dual_min_num_f32 v77, v12, v16 :: v_dual_max_num_f32 v12, v12, v16
	v_cndmask_b32_e32 v16, v12, v77, vcc_lo
	s_delay_alu instid0(VALU_DEP_1) | instskip(NEXT) | instid1(VALU_DEP_1)
	v_and_b32_e32 v12, 0x7f800000, v16
	v_cmp_ne_u32_e64 s10, 0x7f800000, v12
                                        ; implicit-def: $vgpr12
	s_and_saveexec_b32 s25, s10
	s_delay_alu instid0(SALU_CYCLE_1)
	s_xor_b32 s10, exec_lo, s25
; %bb.245:                              ;   in Loop: Header=BB10_128 Depth=2
	v_bfe_u32 v12, v16, 16, 1
	s_delay_alu instid0(VALU_DEP_1)
	v_add3_u32 v12, v16, v12, 0x7fff
                                        ; implicit-def: $vgpr16
; %bb.246:                              ;   in Loop: Header=BB10_128 Depth=2
	s_and_not1_saveexec_b32 s25, s10
; %bb.247:                              ;   in Loop: Header=BB10_128 Depth=2
	v_and_b32_e32 v12, 0xffff, v16
	v_or_b32_e32 v77, 0x10000, v16
	s_delay_alu instid0(VALU_DEP_2) | instskip(NEXT) | instid1(VALU_DEP_1)
	v_cmp_eq_u32_e64 s10, 0, v12
	v_cndmask_b32_e64 v12, v77, v16, s10
; %bb.248:                              ;   in Loop: Header=BB10_128 Depth=2
	s_or_b32 exec_lo, exec_lo, s25
	v_lshlrev_b32_e32 v16, 16, v17
	s_delay_alu instid0(VALU_DEP_1) | instskip(NEXT) | instid1(VALU_DEP_1)
	v_dual_max_num_f32 v16, v16, v16 :: v_dual_lshlrev_b32 v77, 16, v13
	v_max_num_f32_e32 v77, v77, v77
	s_delay_alu instid0(VALU_DEP_1) | instskip(NEXT) | instid1(VALU_DEP_1)
	v_dual_min_num_f32 v78, v77, v16 :: v_dual_max_num_f32 v16, v77, v16
	v_cndmask_b32_e32 v77, v16, v78, vcc_lo
	s_delay_alu instid0(VALU_DEP_1) | instskip(NEXT) | instid1(VALU_DEP_1)
	v_and_b32_e32 v16, 0x7f800000, v77
	v_cmp_ne_u32_e64 s10, 0x7f800000, v16
                                        ; implicit-def: $vgpr16
	s_and_saveexec_b32 s25, s10
	s_delay_alu instid0(SALU_CYCLE_1)
	s_xor_b32 s10, exec_lo, s25
; %bb.249:                              ;   in Loop: Header=BB10_128 Depth=2
	v_bfe_u32 v16, v77, 16, 1
	s_delay_alu instid0(VALU_DEP_1)
	v_add3_u32 v16, v77, v16, 0x7fff
                                        ; implicit-def: $vgpr77
; %bb.250:                              ;   in Loop: Header=BB10_128 Depth=2
	s_and_not1_saveexec_b32 s25, s10
; %bb.251:                              ;   in Loop: Header=BB10_128 Depth=2
	v_and_b32_e32 v16, 0xffff, v77
	v_or_b32_e32 v78, 0x10000, v77
	s_delay_alu instid0(VALU_DEP_2) | instskip(NEXT) | instid1(VALU_DEP_1)
	v_cmp_eq_u32_e64 s10, 0, v16
	v_cndmask_b32_e64 v16, v78, v77, s10
; %bb.252:                              ;   in Loop: Header=BB10_128 Depth=2
	s_or_b32 exec_lo, exec_lo, s25
	v_and_b32_e32 v17, 0xffff0000, v17
	v_and_b32_e32 v13, 0xffff0000, v13
	s_delay_alu instid0(VALU_DEP_2) | instskip(NEXT) | instid1(VALU_DEP_2)
	v_max_num_f32_e32 v17, v17, v17
	v_max_num_f32_e32 v13, v13, v13
	s_delay_alu instid0(VALU_DEP_1) | instskip(NEXT) | instid1(VALU_DEP_1)
	v_dual_min_num_f32 v77, v13, v17 :: v_dual_max_num_f32 v13, v13, v17
	v_cndmask_b32_e32 v17, v13, v77, vcc_lo
	s_delay_alu instid0(VALU_DEP_1) | instskip(NEXT) | instid1(VALU_DEP_1)
	v_and_b32_e32 v13, 0x7f800000, v17
	v_cmp_ne_u32_e64 s10, 0x7f800000, v13
                                        ; implicit-def: $vgpr13
	s_and_saveexec_b32 s25, s10
	s_delay_alu instid0(SALU_CYCLE_1)
	s_xor_b32 s10, exec_lo, s25
; %bb.253:                              ;   in Loop: Header=BB10_128 Depth=2
	v_bfe_u32 v13, v17, 16, 1
	s_delay_alu instid0(VALU_DEP_1)
	v_add3_u32 v13, v17, v13, 0x7fff
                                        ; implicit-def: $vgpr17
; %bb.254:                              ;   in Loop: Header=BB10_128 Depth=2
	s_and_not1_saveexec_b32 s25, s10
	s_cbranch_execz .LBB10_127
; %bb.255:                              ;   in Loop: Header=BB10_128 Depth=2
	v_and_b32_e32 v13, 0xffff, v17
	v_or_b32_e32 v77, 0x10000, v17
	s_delay_alu instid0(VALU_DEP_2) | instskip(NEXT) | instid1(VALU_DEP_1)
	v_cmp_eq_u32_e64 s10, 0, v13
	v_cndmask_b32_e64 v13, v77, v17, s10
	s_branch .LBB10_127
.LBB10_256:                             ;   in Loop: Header=BB10_49 Depth=1
	s_or_b32 exec_lo, exec_lo, s24
.LBB10_257:                             ;   in Loop: Header=BB10_49 Depth=1
	s_delay_alu instid0(SALU_CYCLE_1) | instskip(SKIP_3) | instid1(VALU_DEP_1)
	s_or_b32 exec_lo, exec_lo, s11
	v_dual_lshlrev_b32 v24, 11, v75 :: v_dual_mov_b32 v16, 0
	s_mov_b32 s10, 0
	s_mov_b32 s24, exec_lo
                                        ; implicit-def: $vgpr17
	v_cmpx_ne_u32_e64 v73, v24
	s_cbranch_execz .LBB10_295
; %bb.258:                              ;   in Loop: Header=BB10_49 Depth=1
	v_dual_lshlrev_b32 v10, 5, v74 :: v_dual_sub_nc_u32 v12, v73, v24
	s_mov_b32 s25, exec_lo
	s_delay_alu instid0(VALU_DEP_1) | instskip(NEXT) | instid1(VALU_DEP_1)
	v_dual_sub_nc_u32 v10, v62, v10 :: v_dual_ashrrev_i32 v13, 31, v12
	v_dual_ashrrev_i32 v11, 31, v10 :: v_dual_lshrrev_b32 v13, 23, v13
	s_delay_alu instid0(VALU_DEP_1) | instskip(NEXT) | instid1(VALU_DEP_1)
	v_lshrrev_b32_e32 v11, 27, v11
	v_add_nc_u32_e32 v11, v10, v11
	s_delay_alu instid0(VALU_DEP_1) | instskip(NEXT) | instid1(VALU_DEP_1)
	v_and_b32_e32 v14, 0xffffffe0, v11
	v_dual_add_nc_u32 v13, v12, v13 :: v_dual_sub_nc_u32 v25, v10, v14
	s_delay_alu instid0(VALU_DEP_1) | instskip(SKIP_1) | instid1(VALU_DEP_2)
	v_and_b32_e32 v26, 0xfffffe00, v13
	v_dual_ashrrev_i32 v11, 5, v11 :: v_dual_ashrrev_i32 v13, 9, v13
	v_dual_lshlrev_b32 v10, 4, v25 :: v_dual_sub_nc_u32 v27, v12, v26
	s_delay_alu instid0(VALU_DEP_1) | instskip(NEXT) | instid1(VALU_DEP_2)
	v_lshl_add_u32 v10, v11, 9, v10
	v_cmp_lt_i32_e32 vcc_lo, 15, v27
	s_delay_alu instid0(VALU_DEP_4) | instskip(NEXT) | instid1(VALU_DEP_1)
	v_add_co_ci_u32_e64 v13, null, 0, v13, vcc_lo
	v_dual_sub_nc_u32 v29, v12, v10 :: v_dual_sub_nc_u32 v28, v13, v11
	s_delay_alu instid0(VALU_DEP_1)
	v_cmpx_lt_i32_e32 15, v29
	s_cbranch_execz .LBB10_294
; %bb.259:                              ;   in Loop: Header=BB10_49 Depth=1
	s_trap 2
	ds_load_b64 v[12:13], v0
	v_add_nc_u32_e32 v10, v10, v24
	s_bitcmp0_b64 s[12:13], 0
	s_mov_b32 s26, 0
	s_cselect_b32 s10, -1, 0
	s_delay_alu instid0(VALU_DEP_1) | instskip(NEXT) | instid1(VALU_DEP_1)
	v_ashrrev_i32_e32 v11, 31, v10
	v_add_nc_u64_e32 v[18:19], v[10:11], v[42:43]
	v_add_nc_u64_e32 v[22:23], v[10:11], v[44:45]
	s_wait_dscnt 0x0
	v_add_nc_u64_e32 v[20:21], v[12:13], v[10:11]
	s_branch .LBB10_261
.LBB10_260:                             ;   in Loop: Header=BB10_261 Depth=2
	s_or_b32 exec_lo, exec_lo, s27
	v_dual_lshrrev_b32 v14, 16, v14 :: v_dual_lshrrev_b32 v17, 16, v32
	v_dual_lshrrev_b32 v15, 16, v15 :: v_dual_lshrrev_b32 v16, 16, v16
	v_dual_sub_nc_u32 v29, v29, v102 :: v_dual_sub_nc_u32 v28, v28, v96
	s_delay_alu instid0(VALU_DEP_3) | instskip(NEXT) | instid1(VALU_DEP_4)
	v_and_or_b32 v11, 0xffff0000, v11, v14
	v_and_or_b32 v10, 0xffff0000, v10, v17
	s_delay_alu instid0(VALU_DEP_4)
	v_and_or_b32 v12, 0xffff0000, v12, v15
	v_and_or_b32 v13, 0xffff0000, v13, v16
	v_add_nc_u64_e32 v[18:19], v[18:19], v[102:103]
	v_add_nc_u64_e32 v[20:21], v[20:21], v[102:103]
	v_cmp_gt_i32_e64 s11, 16, v29
	global_store_b128 v[22:23], v[10:13], off th:TH_STORE_NT
	s_wait_xcnt 0x0
	v_add_nc_u64_e32 v[22:23], v[22:23], v[102:103]
	s_or_b32 s26, s11, s26
	s_delay_alu instid0(SALU_CYCLE_1)
	s_and_not1_b32 exec_lo, exec_lo, s26
	s_cbranch_execz .LBB10_293
.LBB10_261:                             ;   Parent Loop BB10_49 Depth=1
                                        ; =>  This Inner Loop Header: Depth=2
	global_load_b128 v[14:17], v[20:21], off th:TH_LOAD_NT
	global_load_b128 v[10:13], v[18:19], off th:TH_LOAD_NT
	s_wait_loadcnt 0x0
	v_lshlrev_b32_e32 v33, 16, v10
	s_delay_alu instid0(VALU_DEP_1) | instskip(NEXT) | instid1(VALU_DEP_1)
	v_dual_max_num_f32 v33, v33, v33 :: v_dual_lshlrev_b32 v32, 16, v14
	v_max_num_f32_e32 v32, v32, v32
	s_delay_alu instid0(VALU_DEP_1) | instskip(NEXT) | instid1(VALU_DEP_1)
	v_dual_min_num_f32 v34, v33, v32 :: v_dual_max_num_f32 v32, v33, v32
	v_cndmask_b32_e64 v33, v32, v34, s10
	s_delay_alu instid0(VALU_DEP_1) | instskip(NEXT) | instid1(VALU_DEP_1)
	v_and_b32_e32 v32, 0x7f800000, v33
	v_cmp_ne_u32_e64 s11, 0x7f800000, v32
                                        ; implicit-def: $vgpr32
	s_wait_xcnt 0x0
	s_and_saveexec_b32 s27, s11
	s_delay_alu instid0(SALU_CYCLE_1)
	s_xor_b32 s11, exec_lo, s27
; %bb.262:                              ;   in Loop: Header=BB10_261 Depth=2
	v_bfe_u32 v32, v33, 16, 1
	s_delay_alu instid0(VALU_DEP_1)
	v_add3_u32 v32, v33, v32, 0x7fff
                                        ; implicit-def: $vgpr33
; %bb.263:                              ;   in Loop: Header=BB10_261 Depth=2
	s_and_not1_saveexec_b32 s27, s11
; %bb.264:                              ;   in Loop: Header=BB10_261 Depth=2
	v_and_b32_e32 v32, 0xffff, v33
	v_or_b32_e32 v34, 0x10000, v33
	s_delay_alu instid0(VALU_DEP_2) | instskip(NEXT) | instid1(VALU_DEP_1)
	v_cmp_eq_u32_e64 s11, 0, v32
	v_cndmask_b32_e64 v32, v34, v33, s11
; %bb.265:                              ;   in Loop: Header=BB10_261 Depth=2
	s_or_b32 exec_lo, exec_lo, s27
	v_and_b32_e32 v14, 0xffff0000, v14
	v_and_b32_e32 v10, 0xffff0000, v10
	s_delay_alu instid0(VALU_DEP_2) | instskip(NEXT) | instid1(VALU_DEP_2)
	v_max_num_f32_e32 v14, v14, v14
	v_max_num_f32_e32 v10, v10, v10
	s_delay_alu instid0(VALU_DEP_1) | instskip(NEXT) | instid1(VALU_DEP_1)
	v_dual_min_num_f32 v33, v10, v14 :: v_dual_max_num_f32 v10, v10, v14
	v_cndmask_b32_e64 v14, v10, v33, s10
	s_delay_alu instid0(VALU_DEP_1) | instskip(NEXT) | instid1(VALU_DEP_1)
	v_and_b32_e32 v10, 0x7f800000, v14
	v_cmp_ne_u32_e64 s11, 0x7f800000, v10
                                        ; implicit-def: $vgpr10
	s_and_saveexec_b32 s27, s11
	s_delay_alu instid0(SALU_CYCLE_1)
	s_xor_b32 s11, exec_lo, s27
; %bb.266:                              ;   in Loop: Header=BB10_261 Depth=2
	v_bfe_u32 v10, v14, 16, 1
	s_delay_alu instid0(VALU_DEP_1)
	v_add3_u32 v10, v14, v10, 0x7fff
                                        ; implicit-def: $vgpr14
; %bb.267:                              ;   in Loop: Header=BB10_261 Depth=2
	s_and_not1_saveexec_b32 s27, s11
; %bb.268:                              ;   in Loop: Header=BB10_261 Depth=2
	v_and_b32_e32 v10, 0xffff, v14
	v_or_b32_e32 v33, 0x10000, v14
	s_delay_alu instid0(VALU_DEP_2) | instskip(NEXT) | instid1(VALU_DEP_1)
	v_cmp_eq_u32_e64 s11, 0, v10
	v_cndmask_b32_e64 v10, v33, v14, s11
; %bb.269:                              ;   in Loop: Header=BB10_261 Depth=2
	s_or_b32 exec_lo, exec_lo, s27
	v_lshlrev_b32_e32 v33, 16, v11
	s_delay_alu instid0(VALU_DEP_1) | instskip(NEXT) | instid1(VALU_DEP_1)
	v_dual_max_num_f32 v33, v33, v33 :: v_dual_lshlrev_b32 v14, 16, v15
	v_max_num_f32_e32 v14, v14, v14
	s_delay_alu instid0(VALU_DEP_1) | instskip(NEXT) | instid1(VALU_DEP_1)
	v_dual_min_num_f32 v34, v33, v14 :: v_dual_max_num_f32 v14, v33, v14
	v_cndmask_b32_e64 v33, v14, v34, s10
	s_delay_alu instid0(VALU_DEP_1) | instskip(NEXT) | instid1(VALU_DEP_1)
	v_and_b32_e32 v14, 0x7f800000, v33
	v_cmp_ne_u32_e64 s11, 0x7f800000, v14
                                        ; implicit-def: $vgpr14
	s_and_saveexec_b32 s27, s11
	s_delay_alu instid0(SALU_CYCLE_1)
	s_xor_b32 s11, exec_lo, s27
; %bb.270:                              ;   in Loop: Header=BB10_261 Depth=2
	v_bfe_u32 v14, v33, 16, 1
	s_delay_alu instid0(VALU_DEP_1)
	v_add3_u32 v14, v33, v14, 0x7fff
                                        ; implicit-def: $vgpr33
; %bb.271:                              ;   in Loop: Header=BB10_261 Depth=2
	s_and_not1_saveexec_b32 s27, s11
; %bb.272:                              ;   in Loop: Header=BB10_261 Depth=2
	v_and_b32_e32 v14, 0xffff, v33
	v_or_b32_e32 v34, 0x10000, v33
	s_delay_alu instid0(VALU_DEP_2) | instskip(NEXT) | instid1(VALU_DEP_1)
	v_cmp_eq_u32_e64 s11, 0, v14
	v_cndmask_b32_e64 v14, v34, v33, s11
; %bb.273:                              ;   in Loop: Header=BB10_261 Depth=2
	s_or_b32 exec_lo, exec_lo, s27
	v_and_b32_e32 v15, 0xffff0000, v15
	v_and_b32_e32 v11, 0xffff0000, v11
	s_delay_alu instid0(VALU_DEP_2) | instskip(NEXT) | instid1(VALU_DEP_2)
	v_max_num_f32_e32 v15, v15, v15
	v_max_num_f32_e32 v11, v11, v11
	s_delay_alu instid0(VALU_DEP_1) | instskip(NEXT) | instid1(VALU_DEP_1)
	v_dual_min_num_f32 v33, v11, v15 :: v_dual_max_num_f32 v11, v11, v15
	v_cndmask_b32_e64 v15, v11, v33, s10
	s_delay_alu instid0(VALU_DEP_1) | instskip(NEXT) | instid1(VALU_DEP_1)
	v_and_b32_e32 v11, 0x7f800000, v15
	v_cmp_ne_u32_e64 s11, 0x7f800000, v11
                                        ; implicit-def: $vgpr11
	s_and_saveexec_b32 s27, s11
	s_delay_alu instid0(SALU_CYCLE_1)
	s_xor_b32 s11, exec_lo, s27
; %bb.274:                              ;   in Loop: Header=BB10_261 Depth=2
	v_bfe_u32 v11, v15, 16, 1
	s_delay_alu instid0(VALU_DEP_1)
	v_add3_u32 v11, v15, v11, 0x7fff
                                        ; implicit-def: $vgpr15
; %bb.275:                              ;   in Loop: Header=BB10_261 Depth=2
	s_and_not1_saveexec_b32 s27, s11
; %bb.276:                              ;   in Loop: Header=BB10_261 Depth=2
	v_and_b32_e32 v11, 0xffff, v15
	v_or_b32_e32 v33, 0x10000, v15
	s_delay_alu instid0(VALU_DEP_2) | instskip(NEXT) | instid1(VALU_DEP_1)
	v_cmp_eq_u32_e64 s11, 0, v11
	v_cndmask_b32_e64 v11, v33, v15, s11
; %bb.277:                              ;   in Loop: Header=BB10_261 Depth=2
	s_or_b32 exec_lo, exec_lo, s27
	v_lshlrev_b32_e32 v33, 16, v12
	s_delay_alu instid0(VALU_DEP_1) | instskip(NEXT) | instid1(VALU_DEP_1)
	v_dual_lshlrev_b32 v15, 16, v16 :: v_dual_max_num_f32 v33, v33, v33
	v_max_num_f32_e32 v15, v15, v15
	s_delay_alu instid0(VALU_DEP_1) | instskip(NEXT) | instid1(VALU_DEP_1)
	v_dual_min_num_f32 v34, v33, v15 :: v_dual_max_num_f32 v15, v33, v15
	v_cndmask_b32_e64 v33, v15, v34, s10
	s_delay_alu instid0(VALU_DEP_1) | instskip(NEXT) | instid1(VALU_DEP_1)
	v_and_b32_e32 v15, 0x7f800000, v33
	v_cmp_ne_u32_e64 s11, 0x7f800000, v15
                                        ; implicit-def: $vgpr15
	s_and_saveexec_b32 s27, s11
	s_delay_alu instid0(SALU_CYCLE_1)
	s_xor_b32 s11, exec_lo, s27
; %bb.278:                              ;   in Loop: Header=BB10_261 Depth=2
	v_bfe_u32 v15, v33, 16, 1
	s_delay_alu instid0(VALU_DEP_1)
	v_add3_u32 v15, v33, v15, 0x7fff
                                        ; implicit-def: $vgpr33
; %bb.279:                              ;   in Loop: Header=BB10_261 Depth=2
	s_and_not1_saveexec_b32 s27, s11
; %bb.280:                              ;   in Loop: Header=BB10_261 Depth=2
	v_and_b32_e32 v15, 0xffff, v33
	v_or_b32_e32 v34, 0x10000, v33
	s_delay_alu instid0(VALU_DEP_2) | instskip(NEXT) | instid1(VALU_DEP_1)
	v_cmp_eq_u32_e64 s11, 0, v15
	v_cndmask_b32_e64 v15, v34, v33, s11
; %bb.281:                              ;   in Loop: Header=BB10_261 Depth=2
	s_or_b32 exec_lo, exec_lo, s27
	v_and_b32_e32 v16, 0xffff0000, v16
	v_and_b32_e32 v12, 0xffff0000, v12
	s_delay_alu instid0(VALU_DEP_2) | instskip(NEXT) | instid1(VALU_DEP_2)
	v_max_num_f32_e32 v16, v16, v16
	v_max_num_f32_e32 v12, v12, v12
	s_delay_alu instid0(VALU_DEP_1) | instskip(NEXT) | instid1(VALU_DEP_1)
	v_dual_min_num_f32 v33, v12, v16 :: v_dual_max_num_f32 v12, v12, v16
	v_cndmask_b32_e64 v16, v12, v33, s10
	s_delay_alu instid0(VALU_DEP_1) | instskip(NEXT) | instid1(VALU_DEP_1)
	v_and_b32_e32 v12, 0x7f800000, v16
	v_cmp_ne_u32_e64 s11, 0x7f800000, v12
                                        ; implicit-def: $vgpr12
	s_and_saveexec_b32 s27, s11
	s_delay_alu instid0(SALU_CYCLE_1)
	s_xor_b32 s11, exec_lo, s27
; %bb.282:                              ;   in Loop: Header=BB10_261 Depth=2
	v_bfe_u32 v12, v16, 16, 1
	s_delay_alu instid0(VALU_DEP_1)
	v_add3_u32 v12, v16, v12, 0x7fff
                                        ; implicit-def: $vgpr16
; %bb.283:                              ;   in Loop: Header=BB10_261 Depth=2
	s_and_not1_saveexec_b32 s27, s11
; %bb.284:                              ;   in Loop: Header=BB10_261 Depth=2
	v_and_b32_e32 v12, 0xffff, v16
	v_or_b32_e32 v33, 0x10000, v16
	s_delay_alu instid0(VALU_DEP_2) | instskip(NEXT) | instid1(VALU_DEP_1)
	v_cmp_eq_u32_e64 s11, 0, v12
	v_cndmask_b32_e64 v12, v33, v16, s11
; %bb.285:                              ;   in Loop: Header=BB10_261 Depth=2
	s_or_b32 exec_lo, exec_lo, s27
	v_lshlrev_b32_e32 v16, 16, v17
	s_delay_alu instid0(VALU_DEP_1) | instskip(NEXT) | instid1(VALU_DEP_1)
	v_dual_max_num_f32 v16, v16, v16 :: v_dual_lshlrev_b32 v33, 16, v13
	v_max_num_f32_e32 v33, v33, v33
	s_delay_alu instid0(VALU_DEP_1) | instskip(NEXT) | instid1(VALU_DEP_1)
	v_dual_min_num_f32 v34, v33, v16 :: v_dual_max_num_f32 v16, v33, v16
	v_cndmask_b32_e64 v33, v16, v34, s10
	s_delay_alu instid0(VALU_DEP_1) | instskip(NEXT) | instid1(VALU_DEP_1)
	v_and_b32_e32 v16, 0x7f800000, v33
	v_cmp_ne_u32_e64 s11, 0x7f800000, v16
                                        ; implicit-def: $vgpr16
	s_and_saveexec_b32 s27, s11
	s_delay_alu instid0(SALU_CYCLE_1)
	s_xor_b32 s11, exec_lo, s27
; %bb.286:                              ;   in Loop: Header=BB10_261 Depth=2
	v_bfe_u32 v16, v33, 16, 1
	s_delay_alu instid0(VALU_DEP_1)
	v_add3_u32 v16, v33, v16, 0x7fff
                                        ; implicit-def: $vgpr33
; %bb.287:                              ;   in Loop: Header=BB10_261 Depth=2
	s_and_not1_saveexec_b32 s27, s11
; %bb.288:                              ;   in Loop: Header=BB10_261 Depth=2
	v_and_b32_e32 v16, 0xffff, v33
	v_or_b32_e32 v34, 0x10000, v33
	s_delay_alu instid0(VALU_DEP_2) | instskip(NEXT) | instid1(VALU_DEP_1)
	v_cmp_eq_u32_e64 s11, 0, v16
	v_cndmask_b32_e64 v16, v34, v33, s11
; %bb.289:                              ;   in Loop: Header=BB10_261 Depth=2
	s_or_b32 exec_lo, exec_lo, s27
	v_and_b32_e32 v17, 0xffff0000, v17
	v_and_b32_e32 v13, 0xffff0000, v13
	s_delay_alu instid0(VALU_DEP_2) | instskip(NEXT) | instid1(VALU_DEP_2)
	v_max_num_f32_e32 v17, v17, v17
	v_max_num_f32_e32 v13, v13, v13
	s_delay_alu instid0(VALU_DEP_1) | instskip(NEXT) | instid1(VALU_DEP_1)
	v_dual_min_num_f32 v33, v13, v17 :: v_dual_max_num_f32 v13, v13, v17
	v_cndmask_b32_e64 v17, v13, v33, s10
	s_delay_alu instid0(VALU_DEP_1) | instskip(NEXT) | instid1(VALU_DEP_1)
	v_and_b32_e32 v13, 0x7f800000, v17
	v_cmp_ne_u32_e64 s11, 0x7f800000, v13
                                        ; implicit-def: $vgpr13
	s_and_saveexec_b32 s27, s11
	s_delay_alu instid0(SALU_CYCLE_1)
	s_xor_b32 s11, exec_lo, s27
; %bb.290:                              ;   in Loop: Header=BB10_261 Depth=2
	v_bfe_u32 v13, v17, 16, 1
	s_delay_alu instid0(VALU_DEP_1)
	v_add3_u32 v13, v17, v13, 0x7fff
                                        ; implicit-def: $vgpr17
; %bb.291:                              ;   in Loop: Header=BB10_261 Depth=2
	s_and_not1_saveexec_b32 s27, s11
	s_cbranch_execz .LBB10_260
; %bb.292:                              ;   in Loop: Header=BB10_261 Depth=2
	v_and_b32_e32 v13, 0xffff, v17
	v_or_b32_e32 v33, 0x10000, v17
	s_delay_alu instid0(VALU_DEP_2) | instskip(NEXT) | instid1(VALU_DEP_1)
	v_cmp_eq_u32_e64 s11, 0, v13
	v_cndmask_b32_e64 v13, v33, v17, s11
	s_branch .LBB10_260
.LBB10_293:                             ;   in Loop: Header=BB10_49 Depth=1
	s_or_b32 exec_lo, exec_lo, s26
.LBB10_294:                             ;   in Loop: Header=BB10_49 Depth=1
	s_delay_alu instid0(SALU_CYCLE_1) | instskip(NEXT) | instid1(VALU_DEP_2)
	s_or_b32 exec_lo, exec_lo, s25
	v_cmp_lt_i32_e64 s10, 0, v28
	s_delay_alu instid0(VALU_DEP_1) | instskip(NEXT) | instid1(VALU_DEP_1)
	v_dual_cndmask_b32 v12, 0, v96, s10 :: v_dual_bitop2_b32 v10, 14, v73 bitop3:0x40
	v_dual_sub_nc_u32 v11, v27, v10 :: v_dual_cndmask_b32 v73, v27, v10, vcc_lo
	s_delay_alu instid0(VALU_DEP_1) | instskip(NEXT) | instid1(VALU_DEP_2)
	v_dual_cndmask_b32 v10, 0, v11 :: v_dual_sub_nc_u32 v11, v12, v28
	v_cmp_ne_u32_e32 vcc_lo, 0, v73
	s_delay_alu instid0(VALU_DEP_2) | instskip(NEXT) | instid1(VALU_DEP_3)
	v_add3_u32 v16, v26, v24, v10
	v_lshl_add_u32 v17, v11, 5, v25
	s_and_b32 s10, vcc_lo, exec_lo
.LBB10_295:                             ;   in Loop: Header=BB10_49 Depth=1
	s_or_b32 exec_lo, exec_lo, s24
	s_and_saveexec_b32 s11, s10
	s_cbranch_execz .LBB10_372
.LBB10_296:                             ;   in Loop: Header=BB10_49 Depth=1
	v_ashrrev_i32_e32 v11, 31, v73
	v_ashrrev_i32_e32 v10, 31, v17
	s_mov_b32 s24, exec_lo
	s_delay_alu instid0(VALU_DEP_1) | instskip(NEXT) | instid1(VALU_DEP_1)
	v_dual_lshrrev_b32 v11, 22, v11 :: v_dual_lshrrev_b32 v10, 27, v10
	v_add_nc_u32_e32 v11, v73, v11
	s_delay_alu instid0(VALU_DEP_1) | instskip(NEXT) | instid1(VALU_DEP_1)
	v_dual_add_nc_u32 v10, v17, v10 :: v_dual_ashrrev_i32 v20, 10, v11
	v_ashrrev_i32_e32 v18, 5, v10
	s_delay_alu instid0(VALU_DEP_1) | instskip(NEXT) | instid1(VALU_DEP_1)
	v_sub_nc_u32_e32 v19, v20, v18
	v_cmpx_lt_i32_e32 0, v19
	s_cbranch_execz .LBB10_364
; %bb.297:                              ;   in Loop: Header=BB10_49 Depth=1
	v_and_b32_e32 v10, 0x7fffffe0, v10
	s_trap 2
	ds_load_b64 v[12:13], v0
	v_lshlrev_b32_e32 v11, 10, v18
	v_add_nc_u64_e32 v[22:23], 0x3c0, v[44:45]
	v_sub_nc_u32_e32 v10, v17, v10
	s_bitcmp0_b64 s[12:13], 0
	s_mov_b32 s25, 0
	s_cselect_b32 vcc_lo, -1, 0
	s_delay_alu instid0(VALU_DEP_1) | instskip(NEXT) | instid1(VALU_DEP_1)
	v_lshlrev_b32_e32 v10, 1, v10
	v_add3_u32 v14, v10, v16, v11
	s_delay_alu instid0(VALU_DEP_1) | instskip(NEXT) | instid1(VALU_DEP_1)
	v_ashrrev_i32_e32 v15, 31, v14
	v_add_nc_u64_e32 v[10:11], v[14:15], v[42:43]
	s_wait_dscnt 0x0
	v_add_nc_u64_e32 v[12:13], v[12:13], v[14:15]
	v_add_nc_u64_e32 v[14:15], v[22:23], v[14:15]
	s_branch .LBB10_299
.LBB10_298:                             ;   in Loop: Header=BB10_299 Depth=2
	s_or_b32 exec_lo, exec_lo, s26
	v_sub_nc_u32_e32 v19, v19, v96
	s_clause 0xf
	flat_store_d16_hi_b16 v[14:15], v21 offset:-960 th:TH_STORE_NT
	flat_store_d16_hi_b16 v[14:15], v24 offset:-896 th:TH_STORE_NT
	;; [unrolled: 1-line block ×15, first 2 shown]
	flat_store_d16_hi_b16 v[14:15], v22 th:TH_STORE_NT
	v_add_nc_u64_e32 v[10:11], v[10:11], v[112:113]
	v_add_nc_u64_e32 v[12:13], v[12:13], v[112:113]
	v_cmp_gt_i32_e64 s10, 1, v19
	s_wait_xcnt 0x0
	v_add_nc_u64_e32 v[14:15], v[14:15], v[112:113]
	s_or_b32 s25, s10, s25
	s_delay_alu instid0(SALU_CYCLE_1)
	s_and_not1_b32 exec_lo, exec_lo, s25
	s_cbranch_execz .LBB10_363
.LBB10_299:                             ;   Parent Loop BB10_49 Depth=1
                                        ; =>  This Inner Loop Header: Depth=2
	s_clause 0x6
	flat_load_u16 v27, v[12:13] offset:128 th:TH_LOAD_NT
	flat_load_u16 v32, v[12:13] offset:192 th:TH_LOAD_NT
	;; [unrolled: 1-line block ×6, first 2 shown]
	flat_load_u16 v21, v[12:13] th:TH_LOAD_NT
	s_clause 0x7
	flat_load_u16 v76, v[10:11] offset:128 th:TH_LOAD_NT
	flat_load_u16 v75, v[10:11] offset:192 th:TH_LOAD_NT
	;; [unrolled: 1-line block ×6, first 2 shown]
	flat_load_u16 v78, v[10:11] th:TH_LOAD_NT
	flat_load_u16 v24, v[10:11] offset:64 th:TH_LOAD_NT
	flat_load_u16 v77, v[12:13] offset:64 th:TH_LOAD_NT
	s_clause 0x7
	flat_load_u16 v47, v[10:11] offset:512 th:TH_LOAD_NT
	flat_load_u16 v50, v[10:11] offset:576 th:TH_LOAD_NT
	;; [unrolled: 1-line block ×8, first 2 shown]
	s_clause 0x7
	flat_load_u16 v56, v[12:13] offset:512 th:TH_LOAD_NT
	flat_load_u16 v51, v[12:13] offset:576 th:TH_LOAD_NT
	;; [unrolled: 1-line block ×8, first 2 shown]
	s_wait_loadcnt_dscnt 0x1212
	v_dual_lshlrev_b32 v21, 16, v21 :: v_dual_lshlrev_b32 v78, 16, v78
	s_delay_alu instid0(VALU_DEP_1) | instskip(NEXT) | instid1(VALU_DEP_1)
	v_dual_max_num_f32 v21, v21, v21 :: v_dual_max_num_f32 v78, v78, v78
	v_dual_min_num_f32 v79, v78, v21 :: v_dual_max_num_f32 v21, v78, v21
	s_delay_alu instid0(VALU_DEP_1) | instskip(NEXT) | instid1(VALU_DEP_1)
	v_cndmask_b32_e32 v78, v21, v79, vcc_lo
	v_and_b32_e32 v21, 0x7f800000, v78
	s_delay_alu instid0(VALU_DEP_1) | instskip(SKIP_2) | instid1(SALU_CYCLE_1)
	v_cmp_ne_u32_e64 s10, 0x7f800000, v21
                                        ; implicit-def: $vgpr21
	s_wait_xcnt 0x0
	s_and_saveexec_b32 s26, s10
	s_xor_b32 s10, exec_lo, s26
; %bb.300:                              ;   in Loop: Header=BB10_299 Depth=2
	v_bfe_u32 v21, v78, 16, 1
	s_delay_alu instid0(VALU_DEP_1)
	v_add3_u32 v21, v78, v21, 0x7fff
                                        ; implicit-def: $vgpr78
; %bb.301:                              ;   in Loop: Header=BB10_299 Depth=2
	s_and_not1_saveexec_b32 s26, s10
; %bb.302:                              ;   in Loop: Header=BB10_299 Depth=2
	v_and_b32_e32 v21, 0xffff, v78
	v_or_b32_e32 v79, 0x10000, v78
	s_delay_alu instid0(VALU_DEP_2) | instskip(NEXT) | instid1(VALU_DEP_1)
	v_cmp_eq_u32_e64 s10, 0, v21
	v_cndmask_b32_e64 v21, v79, v78, s10
; %bb.303:                              ;   in Loop: Header=BB10_299 Depth=2
	s_or_b32 exec_lo, exec_lo, s26
	s_wait_loadcnt_dscnt 0x1010
	v_dual_lshlrev_b32 v77, 16, v77 :: v_dual_lshlrev_b32 v24, 16, v24
	s_delay_alu instid0(VALU_DEP_1) | instskip(NEXT) | instid1(VALU_DEP_1)
	v_dual_max_num_f32 v77, v77, v77 :: v_dual_max_num_f32 v24, v24, v24
	v_dual_min_num_f32 v78, v24, v77 :: v_dual_max_num_f32 v24, v24, v77
	s_delay_alu instid0(VALU_DEP_1) | instskip(NEXT) | instid1(VALU_DEP_1)
	v_cndmask_b32_e32 v77, v24, v78, vcc_lo
	v_and_b32_e32 v24, 0x7f800000, v77
	s_delay_alu instid0(VALU_DEP_1) | instskip(SKIP_1) | instid1(SALU_CYCLE_1)
	v_cmp_ne_u32_e64 s10, 0x7f800000, v24
                                        ; implicit-def: $vgpr24
	s_and_saveexec_b32 s26, s10
	s_xor_b32 s10, exec_lo, s26
; %bb.304:                              ;   in Loop: Header=BB10_299 Depth=2
	v_bfe_u32 v24, v77, 16, 1
	s_delay_alu instid0(VALU_DEP_1)
	v_add3_u32 v24, v77, v24, 0x7fff
                                        ; implicit-def: $vgpr77
; %bb.305:                              ;   in Loop: Header=BB10_299 Depth=2
	s_and_not1_saveexec_b32 s26, s10
; %bb.306:                              ;   in Loop: Header=BB10_299 Depth=2
	v_and_b32_e32 v24, 0xffff, v77
	v_or_b32_e32 v78, 0x10000, v77
	s_delay_alu instid0(VALU_DEP_2) | instskip(NEXT) | instid1(VALU_DEP_1)
	v_cmp_eq_u32_e64 s10, 0, v24
	v_cndmask_b32_e64 v24, v78, v77, s10
; %bb.307:                              ;   in Loop: Header=BB10_299 Depth=2
	s_or_b32 exec_lo, exec_lo, s26
	v_dual_lshlrev_b32 v27, 16, v27 :: v_dual_lshlrev_b32 v76, 16, v76
	s_delay_alu instid0(VALU_DEP_1) | instskip(NEXT) | instid1(VALU_DEP_1)
	v_dual_max_num_f32 v27, v27, v27 :: v_dual_max_num_f32 v76, v76, v76
	v_dual_min_num_f32 v77, v76, v27 :: v_dual_max_num_f32 v27, v76, v27
	s_delay_alu instid0(VALU_DEP_1) | instskip(NEXT) | instid1(VALU_DEP_1)
	v_cndmask_b32_e32 v76, v27, v77, vcc_lo
	v_and_b32_e32 v27, 0x7f800000, v76
	s_delay_alu instid0(VALU_DEP_1) | instskip(SKIP_1) | instid1(SALU_CYCLE_1)
	v_cmp_ne_u32_e64 s10, 0x7f800000, v27
                                        ; implicit-def: $vgpr27
	s_and_saveexec_b32 s26, s10
	s_xor_b32 s10, exec_lo, s26
; %bb.308:                              ;   in Loop: Header=BB10_299 Depth=2
	v_bfe_u32 v27, v76, 16, 1
	s_delay_alu instid0(VALU_DEP_1)
	v_add3_u32 v27, v76, v27, 0x7fff
                                        ; implicit-def: $vgpr76
; %bb.309:                              ;   in Loop: Header=BB10_299 Depth=2
	s_and_not1_saveexec_b32 s26, s10
; %bb.310:                              ;   in Loop: Header=BB10_299 Depth=2
	v_and_b32_e32 v27, 0xffff, v76
	v_or_b32_e32 v77, 0x10000, v76
	s_delay_alu instid0(VALU_DEP_2) | instskip(NEXT) | instid1(VALU_DEP_1)
	v_cmp_eq_u32_e64 s10, 0, v27
	v_cndmask_b32_e64 v27, v77, v76, s10
; %bb.311:                              ;   in Loop: Header=BB10_299 Depth=2
	s_or_b32 exec_lo, exec_lo, s26
	v_dual_lshlrev_b32 v32, 16, v32 :: v_dual_lshlrev_b32 v75, 16, v75
	s_delay_alu instid0(VALU_DEP_1) | instskip(NEXT) | instid1(VALU_DEP_1)
	v_dual_max_num_f32 v32, v32, v32 :: v_dual_max_num_f32 v75, v75, v75
	v_dual_min_num_f32 v76, v75, v32 :: v_dual_max_num_f32 v32, v75, v32
	s_delay_alu instid0(VALU_DEP_1) | instskip(NEXT) | instid1(VALU_DEP_1)
	v_cndmask_b32_e32 v75, v32, v76, vcc_lo
	v_and_b32_e32 v32, 0x7f800000, v75
	s_delay_alu instid0(VALU_DEP_1) | instskip(SKIP_1) | instid1(SALU_CYCLE_1)
	v_cmp_ne_u32_e64 s10, 0x7f800000, v32
                                        ; implicit-def: $vgpr32
	s_and_saveexec_b32 s26, s10
	s_xor_b32 s10, exec_lo, s26
; %bb.312:                              ;   in Loop: Header=BB10_299 Depth=2
	v_bfe_u32 v32, v75, 16, 1
	s_delay_alu instid0(VALU_DEP_1)
	v_add3_u32 v32, v75, v32, 0x7fff
                                        ; implicit-def: $vgpr75
; %bb.313:                              ;   in Loop: Header=BB10_299 Depth=2
	s_and_not1_saveexec_b32 s26, s10
; %bb.314:                              ;   in Loop: Header=BB10_299 Depth=2
	v_and_b32_e32 v32, 0xffff, v75
	v_or_b32_e32 v76, 0x10000, v75
	s_delay_alu instid0(VALU_DEP_2) | instskip(NEXT) | instid1(VALU_DEP_1)
	v_cmp_eq_u32_e64 s10, 0, v32
	v_cndmask_b32_e64 v32, v76, v75, s10
; %bb.315:                              ;   in Loop: Header=BB10_299 Depth=2
	s_or_b32 exec_lo, exec_lo, s26
	v_dual_lshlrev_b32 v35, 16, v35 :: v_dual_lshlrev_b32 v74, 16, v74
	s_delay_alu instid0(VALU_DEP_1) | instskip(NEXT) | instid1(VALU_DEP_1)
	v_dual_max_num_f32 v35, v35, v35 :: v_dual_max_num_f32 v74, v74, v74
	v_dual_min_num_f32 v75, v74, v35 :: v_dual_max_num_f32 v35, v74, v35
	s_delay_alu instid0(VALU_DEP_1) | instskip(NEXT) | instid1(VALU_DEP_1)
	v_cndmask_b32_e32 v74, v35, v75, vcc_lo
	v_and_b32_e32 v35, 0x7f800000, v74
	s_delay_alu instid0(VALU_DEP_1) | instskip(SKIP_1) | instid1(SALU_CYCLE_1)
	v_cmp_ne_u32_e64 s10, 0x7f800000, v35
                                        ; implicit-def: $vgpr35
	s_and_saveexec_b32 s26, s10
	s_xor_b32 s10, exec_lo, s26
; %bb.316:                              ;   in Loop: Header=BB10_299 Depth=2
	v_bfe_u32 v35, v74, 16, 1
	s_delay_alu instid0(VALU_DEP_1)
	v_add3_u32 v35, v74, v35, 0x7fff
                                        ; implicit-def: $vgpr74
; %bb.317:                              ;   in Loop: Header=BB10_299 Depth=2
	s_and_not1_saveexec_b32 s26, s10
; %bb.318:                              ;   in Loop: Header=BB10_299 Depth=2
	v_and_b32_e32 v35, 0xffff, v74
	v_or_b32_e32 v75, 0x10000, v74
	s_delay_alu instid0(VALU_DEP_2) | instskip(NEXT) | instid1(VALU_DEP_1)
	v_cmp_eq_u32_e64 s10, 0, v35
	v_cndmask_b32_e64 v35, v75, v74, s10
; %bb.319:                              ;   in Loop: Header=BB10_299 Depth=2
	s_or_b32 exec_lo, exec_lo, s26
	v_dual_lshlrev_b32 v38, 16, v38 :: v_dual_lshlrev_b32 v59, 16, v59
	s_delay_alu instid0(VALU_DEP_1) | instskip(NEXT) | instid1(VALU_DEP_1)
	v_dual_max_num_f32 v38, v38, v38 :: v_dual_max_num_f32 v59, v59, v59
	v_dual_min_num_f32 v74, v59, v38 :: v_dual_max_num_f32 v38, v59, v38
	s_delay_alu instid0(VALU_DEP_1) | instskip(NEXT) | instid1(VALU_DEP_1)
	v_cndmask_b32_e32 v59, v38, v74, vcc_lo
	v_and_b32_e32 v38, 0x7f800000, v59
	s_delay_alu instid0(VALU_DEP_1) | instskip(SKIP_1) | instid1(SALU_CYCLE_1)
	v_cmp_ne_u32_e64 s10, 0x7f800000, v38
                                        ; implicit-def: $vgpr38
	s_and_saveexec_b32 s26, s10
	s_xor_b32 s10, exec_lo, s26
; %bb.320:                              ;   in Loop: Header=BB10_299 Depth=2
	v_bfe_u32 v38, v59, 16, 1
	s_delay_alu instid0(VALU_DEP_1)
	v_add3_u32 v38, v59, v38, 0x7fff
                                        ; implicit-def: $vgpr59
; %bb.321:                              ;   in Loop: Header=BB10_299 Depth=2
	s_and_not1_saveexec_b32 s26, s10
; %bb.322:                              ;   in Loop: Header=BB10_299 Depth=2
	v_and_b32_e32 v38, 0xffff, v59
	v_or_b32_e32 v74, 0x10000, v59
	s_delay_alu instid0(VALU_DEP_2) | instskip(NEXT) | instid1(VALU_DEP_1)
	v_cmp_eq_u32_e64 s10, 0, v38
	v_cndmask_b32_e64 v38, v74, v59, s10
; %bb.323:                              ;   in Loop: Header=BB10_299 Depth=2
	s_or_b32 exec_lo, exec_lo, s26
	v_dual_lshlrev_b32 v49, 16, v49 :: v_dual_lshlrev_b32 v58, 16, v58
	s_delay_alu instid0(VALU_DEP_1) | instskip(NEXT) | instid1(VALU_DEP_1)
	v_dual_max_num_f32 v49, v49, v49 :: v_dual_max_num_f32 v58, v58, v58
	v_dual_min_num_f32 v59, v58, v49 :: v_dual_max_num_f32 v49, v58, v49
	s_delay_alu instid0(VALU_DEP_1) | instskip(NEXT) | instid1(VALU_DEP_1)
	v_cndmask_b32_e32 v58, v49, v59, vcc_lo
	v_and_b32_e32 v49, 0x7f800000, v58
	s_delay_alu instid0(VALU_DEP_1) | instskip(SKIP_1) | instid1(SALU_CYCLE_1)
	v_cmp_ne_u32_e64 s10, 0x7f800000, v49
                                        ; implicit-def: $vgpr49
	s_and_saveexec_b32 s26, s10
	s_xor_b32 s10, exec_lo, s26
; %bb.324:                              ;   in Loop: Header=BB10_299 Depth=2
	v_bfe_u32 v49, v58, 16, 1
	s_delay_alu instid0(VALU_DEP_1)
	v_add3_u32 v49, v58, v49, 0x7fff
                                        ; implicit-def: $vgpr58
; %bb.325:                              ;   in Loop: Header=BB10_299 Depth=2
	s_and_not1_saveexec_b32 s26, s10
; %bb.326:                              ;   in Loop: Header=BB10_299 Depth=2
	v_and_b32_e32 v49, 0xffff, v58
	v_or_b32_e32 v59, 0x10000, v58
	s_delay_alu instid0(VALU_DEP_2) | instskip(NEXT) | instid1(VALU_DEP_1)
	v_cmp_eq_u32_e64 s10, 0, v49
	v_cndmask_b32_e64 v49, v59, v58, s10
; %bb.327:                              ;   in Loop: Header=BB10_299 Depth=2
	s_or_b32 exec_lo, exec_lo, s26
	v_dual_lshlrev_b32 v46, 16, v46 :: v_dual_lshlrev_b32 v57, 16, v57
	s_delay_alu instid0(VALU_DEP_1) | instskip(NEXT) | instid1(VALU_DEP_1)
	v_dual_max_num_f32 v46, v46, v46 :: v_dual_max_num_f32 v57, v57, v57
	v_dual_min_num_f32 v58, v57, v46 :: v_dual_max_num_f32 v46, v57, v46
	s_delay_alu instid0(VALU_DEP_1) | instskip(NEXT) | instid1(VALU_DEP_1)
	v_cndmask_b32_e32 v57, v46, v58, vcc_lo
	v_and_b32_e32 v46, 0x7f800000, v57
	s_delay_alu instid0(VALU_DEP_1) | instskip(SKIP_1) | instid1(SALU_CYCLE_1)
	v_cmp_ne_u32_e64 s10, 0x7f800000, v46
                                        ; implicit-def: $vgpr46
	s_and_saveexec_b32 s26, s10
	s_xor_b32 s10, exec_lo, s26
; %bb.328:                              ;   in Loop: Header=BB10_299 Depth=2
	v_bfe_u32 v46, v57, 16, 1
	s_delay_alu instid0(VALU_DEP_1)
	v_add3_u32 v46, v57, v46, 0x7fff
                                        ; implicit-def: $vgpr57
; %bb.329:                              ;   in Loop: Header=BB10_299 Depth=2
	s_and_not1_saveexec_b32 s26, s10
; %bb.330:                              ;   in Loop: Header=BB10_299 Depth=2
	v_and_b32_e32 v46, 0xffff, v57
	v_or_b32_e32 v58, 0x10000, v57
	s_delay_alu instid0(VALU_DEP_2) | instskip(NEXT) | instid1(VALU_DEP_1)
	v_cmp_eq_u32_e64 s10, 0, v46
	v_cndmask_b32_e64 v46, v58, v57, s10
; %bb.331:                              ;   in Loop: Header=BB10_299 Depth=2
	s_or_b32 exec_lo, exec_lo, s26
	s_wait_loadcnt_dscnt 0x707
	v_dual_lshlrev_b32 v56, 16, v56 :: v_dual_lshlrev_b32 v47, 16, v47
	s_delay_alu instid0(VALU_DEP_1) | instskip(NEXT) | instid1(VALU_DEP_1)
	v_dual_max_num_f32 v56, v56, v56 :: v_dual_max_num_f32 v47, v47, v47
	v_dual_min_num_f32 v57, v47, v56 :: v_dual_max_num_f32 v47, v47, v56
	s_delay_alu instid0(VALU_DEP_1) | instskip(NEXT) | instid1(VALU_DEP_1)
	v_cndmask_b32_e32 v56, v47, v57, vcc_lo
	v_and_b32_e32 v47, 0x7f800000, v56
	s_delay_alu instid0(VALU_DEP_1) | instskip(SKIP_1) | instid1(SALU_CYCLE_1)
	v_cmp_ne_u32_e64 s10, 0x7f800000, v47
                                        ; implicit-def: $vgpr47
	s_and_saveexec_b32 s26, s10
	s_xor_b32 s10, exec_lo, s26
; %bb.332:                              ;   in Loop: Header=BB10_299 Depth=2
	v_bfe_u32 v47, v56, 16, 1
	s_delay_alu instid0(VALU_DEP_1)
	v_add3_u32 v47, v56, v47, 0x7fff
                                        ; implicit-def: $vgpr56
; %bb.333:                              ;   in Loop: Header=BB10_299 Depth=2
	s_and_not1_saveexec_b32 s26, s10
; %bb.334:                              ;   in Loop: Header=BB10_299 Depth=2
	v_and_b32_e32 v47, 0xffff, v56
	v_or_b32_e32 v57, 0x10000, v56
	s_delay_alu instid0(VALU_DEP_2) | instskip(NEXT) | instid1(VALU_DEP_1)
	v_cmp_eq_u32_e64 s10, 0, v47
	v_cndmask_b32_e64 v47, v57, v56, s10
; %bb.335:                              ;   in Loop: Header=BB10_299 Depth=2
	s_or_b32 exec_lo, exec_lo, s26
	s_wait_loadcnt_dscnt 0x606
	v_dual_lshlrev_b32 v51, 16, v51 :: v_dual_lshlrev_b32 v50, 16, v50
	s_delay_alu instid0(VALU_DEP_1) | instskip(NEXT) | instid1(VALU_DEP_1)
	v_dual_max_num_f32 v51, v51, v51 :: v_dual_max_num_f32 v50, v50, v50
	v_dual_min_num_f32 v56, v50, v51 :: v_dual_max_num_f32 v50, v50, v51
	s_delay_alu instid0(VALU_DEP_1) | instskip(NEXT) | instid1(VALU_DEP_1)
	v_cndmask_b32_e32 v51, v50, v56, vcc_lo
	v_and_b32_e32 v50, 0x7f800000, v51
	s_delay_alu instid0(VALU_DEP_1) | instskip(SKIP_1) | instid1(SALU_CYCLE_1)
	v_cmp_ne_u32_e64 s10, 0x7f800000, v50
                                        ; implicit-def: $vgpr50
	s_and_saveexec_b32 s26, s10
	s_xor_b32 s10, exec_lo, s26
; %bb.336:                              ;   in Loop: Header=BB10_299 Depth=2
	v_bfe_u32 v50, v51, 16, 1
	s_delay_alu instid0(VALU_DEP_1)
	v_add3_u32 v50, v51, v50, 0x7fff
                                        ; implicit-def: $vgpr51
; %bb.337:                              ;   in Loop: Header=BB10_299 Depth=2
	s_and_not1_saveexec_b32 s26, s10
; %bb.338:                              ;   in Loop: Header=BB10_299 Depth=2
	v_and_b32_e32 v50, 0xffff, v51
	v_or_b32_e32 v56, 0x10000, v51
	s_delay_alu instid0(VALU_DEP_2) | instskip(NEXT) | instid1(VALU_DEP_1)
	v_cmp_eq_u32_e64 s10, 0, v50
	v_cndmask_b32_e64 v50, v56, v51, s10
; %bb.339:                              ;   in Loop: Header=BB10_299 Depth=2
	s_or_b32 exec_lo, exec_lo, s26
	s_wait_loadcnt_dscnt 0x505
	v_dual_lshlrev_b32 v48, 16, v48 :: v_dual_lshlrev_b32 v39, 16, v39
	s_delay_alu instid0(VALU_DEP_1) | instskip(NEXT) | instid1(VALU_DEP_1)
	v_dual_max_num_f32 v48, v48, v48 :: v_dual_max_num_f32 v39, v39, v39
	v_dual_min_num_f32 v51, v39, v48 :: v_dual_max_num_f32 v39, v39, v48
	s_delay_alu instid0(VALU_DEP_1) | instskip(NEXT) | instid1(VALU_DEP_1)
	v_cndmask_b32_e32 v48, v39, v51, vcc_lo
	v_and_b32_e32 v39, 0x7f800000, v48
	s_delay_alu instid0(VALU_DEP_1) | instskip(SKIP_1) | instid1(SALU_CYCLE_1)
	v_cmp_ne_u32_e64 s10, 0x7f800000, v39
                                        ; implicit-def: $vgpr39
	s_and_saveexec_b32 s26, s10
	s_xor_b32 s10, exec_lo, s26
; %bb.340:                              ;   in Loop: Header=BB10_299 Depth=2
	v_bfe_u32 v39, v48, 16, 1
	s_delay_alu instid0(VALU_DEP_1)
	v_add3_u32 v39, v48, v39, 0x7fff
                                        ; implicit-def: $vgpr48
; %bb.341:                              ;   in Loop: Header=BB10_299 Depth=2
	s_and_not1_saveexec_b32 s26, s10
; %bb.342:                              ;   in Loop: Header=BB10_299 Depth=2
	v_and_b32_e32 v39, 0xffff, v48
	v_or_b32_e32 v51, 0x10000, v48
	s_delay_alu instid0(VALU_DEP_2) | instskip(NEXT) | instid1(VALU_DEP_1)
	v_cmp_eq_u32_e64 s10, 0, v39
	v_cndmask_b32_e64 v39, v51, v48, s10
; %bb.343:                              ;   in Loop: Header=BB10_299 Depth=2
	s_or_b32 exec_lo, exec_lo, s26
	s_wait_loadcnt_dscnt 0x404
	v_dual_lshlrev_b32 v37, 16, v37 :: v_dual_lshlrev_b32 v36, 16, v36
	s_delay_alu instid0(VALU_DEP_1) | instskip(NEXT) | instid1(VALU_DEP_1)
	v_dual_max_num_f32 v37, v37, v37 :: v_dual_max_num_f32 v36, v36, v36
	v_dual_min_num_f32 v48, v36, v37 :: v_dual_max_num_f32 v36, v36, v37
	s_delay_alu instid0(VALU_DEP_1) | instskip(NEXT) | instid1(VALU_DEP_1)
	v_cndmask_b32_e32 v37, v36, v48, vcc_lo
	v_and_b32_e32 v36, 0x7f800000, v37
	s_delay_alu instid0(VALU_DEP_1) | instskip(SKIP_1) | instid1(SALU_CYCLE_1)
	v_cmp_ne_u32_e64 s10, 0x7f800000, v36
                                        ; implicit-def: $vgpr36
	s_and_saveexec_b32 s26, s10
	s_xor_b32 s10, exec_lo, s26
; %bb.344:                              ;   in Loop: Header=BB10_299 Depth=2
	v_bfe_u32 v36, v37, 16, 1
	s_delay_alu instid0(VALU_DEP_1)
	v_add3_u32 v36, v37, v36, 0x7fff
                                        ; implicit-def: $vgpr37
; %bb.345:                              ;   in Loop: Header=BB10_299 Depth=2
	s_and_not1_saveexec_b32 s26, s10
; %bb.346:                              ;   in Loop: Header=BB10_299 Depth=2
	v_and_b32_e32 v36, 0xffff, v37
	v_or_b32_e32 v48, 0x10000, v37
	s_delay_alu instid0(VALU_DEP_2) | instskip(NEXT) | instid1(VALU_DEP_1)
	v_cmp_eq_u32_e64 s10, 0, v36
	v_cndmask_b32_e64 v36, v48, v37, s10
; %bb.347:                              ;   in Loop: Header=BB10_299 Depth=2
	s_or_b32 exec_lo, exec_lo, s26
	s_wait_loadcnt_dscnt 0x303
	v_dual_lshlrev_b32 v34, 16, v34 :: v_dual_lshlrev_b32 v33, 16, v33
	s_delay_alu instid0(VALU_DEP_1) | instskip(NEXT) | instid1(VALU_DEP_1)
	v_dual_max_num_f32 v34, v34, v34 :: v_dual_max_num_f32 v33, v33, v33
	v_dual_min_num_f32 v37, v33, v34 :: v_dual_max_num_f32 v33, v33, v34
	s_delay_alu instid0(VALU_DEP_1) | instskip(NEXT) | instid1(VALU_DEP_1)
	v_cndmask_b32_e32 v34, v33, v37, vcc_lo
	v_and_b32_e32 v33, 0x7f800000, v34
	s_delay_alu instid0(VALU_DEP_1) | instskip(SKIP_1) | instid1(SALU_CYCLE_1)
	v_cmp_ne_u32_e64 s10, 0x7f800000, v33
                                        ; implicit-def: $vgpr33
	s_and_saveexec_b32 s26, s10
	s_xor_b32 s10, exec_lo, s26
; %bb.348:                              ;   in Loop: Header=BB10_299 Depth=2
	v_bfe_u32 v33, v34, 16, 1
	s_delay_alu instid0(VALU_DEP_1)
	v_add3_u32 v33, v34, v33, 0x7fff
                                        ; implicit-def: $vgpr34
; %bb.349:                              ;   in Loop: Header=BB10_299 Depth=2
	s_and_not1_saveexec_b32 s26, s10
; %bb.350:                              ;   in Loop: Header=BB10_299 Depth=2
	v_and_b32_e32 v33, 0xffff, v34
	v_or_b32_e32 v37, 0x10000, v34
	s_delay_alu instid0(VALU_DEP_2) | instskip(NEXT) | instid1(VALU_DEP_1)
	v_cmp_eq_u32_e64 s10, 0, v33
	v_cndmask_b32_e64 v33, v37, v34, s10
; %bb.351:                              ;   in Loop: Header=BB10_299 Depth=2
	s_or_b32 exec_lo, exec_lo, s26
	s_wait_loadcnt_dscnt 0x202
	v_dual_lshlrev_b32 v29, 16, v29 :: v_dual_lshlrev_b32 v28, 16, v28
	s_delay_alu instid0(VALU_DEP_1) | instskip(NEXT) | instid1(VALU_DEP_1)
	v_dual_max_num_f32 v29, v29, v29 :: v_dual_max_num_f32 v28, v28, v28
	v_dual_min_num_f32 v34, v28, v29 :: v_dual_max_num_f32 v28, v28, v29
	s_delay_alu instid0(VALU_DEP_1) | instskip(NEXT) | instid1(VALU_DEP_1)
	v_cndmask_b32_e32 v29, v28, v34, vcc_lo
	v_and_b32_e32 v28, 0x7f800000, v29
	s_delay_alu instid0(VALU_DEP_1) | instskip(SKIP_1) | instid1(SALU_CYCLE_1)
	v_cmp_ne_u32_e64 s10, 0x7f800000, v28
                                        ; implicit-def: $vgpr28
	s_and_saveexec_b32 s26, s10
	s_xor_b32 s10, exec_lo, s26
; %bb.352:                              ;   in Loop: Header=BB10_299 Depth=2
	v_bfe_u32 v28, v29, 16, 1
	s_delay_alu instid0(VALU_DEP_1)
	v_add3_u32 v28, v29, v28, 0x7fff
                                        ; implicit-def: $vgpr29
; %bb.353:                              ;   in Loop: Header=BB10_299 Depth=2
	s_and_not1_saveexec_b32 s26, s10
; %bb.354:                              ;   in Loop: Header=BB10_299 Depth=2
	v_and_b32_e32 v28, 0xffff, v29
	v_or_b32_e32 v34, 0x10000, v29
	s_delay_alu instid0(VALU_DEP_2) | instskip(NEXT) | instid1(VALU_DEP_1)
	v_cmp_eq_u32_e64 s10, 0, v28
	v_cndmask_b32_e64 v28, v34, v29, s10
; %bb.355:                              ;   in Loop: Header=BB10_299 Depth=2
	s_or_b32 exec_lo, exec_lo, s26
	s_wait_loadcnt_dscnt 0x101
	v_dual_lshlrev_b32 v26, 16, v26 :: v_dual_lshlrev_b32 v25, 16, v25
	s_delay_alu instid0(VALU_DEP_1) | instskip(NEXT) | instid1(VALU_DEP_1)
	v_dual_max_num_f32 v26, v26, v26 :: v_dual_max_num_f32 v25, v25, v25
	v_dual_min_num_f32 v29, v25, v26 :: v_dual_max_num_f32 v25, v25, v26
	s_delay_alu instid0(VALU_DEP_1) | instskip(NEXT) | instid1(VALU_DEP_1)
	v_cndmask_b32_e32 v26, v25, v29, vcc_lo
	v_and_b32_e32 v25, 0x7f800000, v26
	s_delay_alu instid0(VALU_DEP_1) | instskip(SKIP_1) | instid1(SALU_CYCLE_1)
	v_cmp_ne_u32_e64 s10, 0x7f800000, v25
                                        ; implicit-def: $vgpr25
	s_and_saveexec_b32 s26, s10
	s_xor_b32 s10, exec_lo, s26
; %bb.356:                              ;   in Loop: Header=BB10_299 Depth=2
	v_bfe_u32 v25, v26, 16, 1
	s_delay_alu instid0(VALU_DEP_1)
	v_add3_u32 v25, v26, v25, 0x7fff
                                        ; implicit-def: $vgpr26
; %bb.357:                              ;   in Loop: Header=BB10_299 Depth=2
	s_and_not1_saveexec_b32 s26, s10
; %bb.358:                              ;   in Loop: Header=BB10_299 Depth=2
	v_and_b32_e32 v25, 0xffff, v26
	v_or_b32_e32 v29, 0x10000, v26
	s_delay_alu instid0(VALU_DEP_2) | instskip(NEXT) | instid1(VALU_DEP_1)
	v_cmp_eq_u32_e64 s10, 0, v25
	v_cndmask_b32_e64 v25, v29, v26, s10
; %bb.359:                              ;   in Loop: Header=BB10_299 Depth=2
	s_or_b32 exec_lo, exec_lo, s26
	s_wait_loadcnt_dscnt 0x0
	v_dual_lshlrev_b32 v23, 16, v23 :: v_dual_lshlrev_b32 v22, 16, v22
	s_delay_alu instid0(VALU_DEP_1) | instskip(NEXT) | instid1(VALU_DEP_1)
	v_dual_max_num_f32 v23, v23, v23 :: v_dual_max_num_f32 v22, v22, v22
	v_dual_min_num_f32 v26, v22, v23 :: v_dual_max_num_f32 v22, v22, v23
	s_delay_alu instid0(VALU_DEP_1) | instskip(NEXT) | instid1(VALU_DEP_1)
	v_cndmask_b32_e32 v23, v22, v26, vcc_lo
	v_and_b32_e32 v22, 0x7f800000, v23
	s_delay_alu instid0(VALU_DEP_1) | instskip(SKIP_1) | instid1(SALU_CYCLE_1)
	v_cmp_ne_u32_e64 s10, 0x7f800000, v22
                                        ; implicit-def: $vgpr22
	s_and_saveexec_b32 s26, s10
	s_xor_b32 s10, exec_lo, s26
; %bb.360:                              ;   in Loop: Header=BB10_299 Depth=2
	v_bfe_u32 v22, v23, 16, 1
	s_delay_alu instid0(VALU_DEP_1)
	v_add3_u32 v22, v23, v22, 0x7fff
                                        ; implicit-def: $vgpr23
; %bb.361:                              ;   in Loop: Header=BB10_299 Depth=2
	s_and_not1_saveexec_b32 s26, s10
	s_cbranch_execz .LBB10_298
; %bb.362:                              ;   in Loop: Header=BB10_299 Depth=2
	v_and_b32_e32 v22, 0xffff, v23
	v_or_b32_e32 v26, 0x10000, v23
	s_delay_alu instid0(VALU_DEP_2) | instskip(NEXT) | instid1(VALU_DEP_1)
	v_cmp_eq_u32_e64 s10, 0, v22
	v_cndmask_b32_e64 v22, v26, v23, s10
	s_branch .LBB10_298
.LBB10_363:                             ;   in Loop: Header=BB10_49 Depth=1
	s_or_b32 exec_lo, exec_lo, s25
.LBB10_364:                             ;   in Loop: Header=BB10_49 Depth=1
	s_delay_alu instid0(SALU_CYCLE_1) | instskip(SKIP_1) | instid1(VALU_DEP_1)
	s_or_b32 exec_lo, exec_lo, s24
	v_lshlrev_b32_e32 v10, 10, v20
	v_cmp_ne_u32_e32 vcc_lo, v73, v10
	s_and_b32 exec_lo, exec_lo, vcc_lo
	s_cbranch_execz .LBB10_372
; %bb.365:                              ;   in Loop: Header=BB10_49 Depth=1
	v_dual_lshlrev_b32 v11, 5, v18 :: v_dual_lshlrev_b32 v12, 5, v19
	s_delay_alu instid0(VALU_DEP_1) | instskip(NEXT) | instid1(VALU_DEP_1)
	v_sub_nc_u32_e32 v11, v17, v11
	v_sub_nc_u32_e32 v11, v11, v12
	s_delay_alu instid0(VALU_DEP_1) | instskip(NEXT) | instid1(VALU_DEP_1)
	v_ashrrev_i32_e32 v12, 31, v11
	v_lshrrev_b32_e32 v12, 27, v12
	s_delay_alu instid0(VALU_DEP_1) | instskip(NEXT) | instid1(VALU_DEP_1)
	v_add_nc_u32_e32 v12, v11, v12
	v_and_b32_e32 v13, 0x7fffffe0, v12
	s_delay_alu instid0(VALU_DEP_1) | instskip(NEXT) | instid1(VALU_DEP_1)
	v_dual_lshlrev_b32 v12, 1, v12 :: v_dual_sub_nc_u32 v11, v11, v13
	v_and_b32_e32 v12, 0xffffffc0, v12
	s_delay_alu instid0(VALU_DEP_2) | instskip(NEXT) | instid1(VALU_DEP_1)
	v_lshlrev_b32_e32 v11, 1, v11
	v_add3_u32 v10, v12, v11, v10
	s_delay_alu instid0(VALU_DEP_1) | instskip(NEXT) | instid1(VALU_DEP_1)
	v_sub_nc_u32_e32 v17, v73, v10
	v_cmp_lt_i32_e32 vcc_lo, 1, v17
	s_and_b32 exec_lo, exec_lo, vcc_lo
	s_cbranch_execz .LBB10_372
; %bb.366:                              ;   in Loop: Header=BB10_49 Depth=1
	s_trap 2
	ds_load_b64 v[12:13], v0
	v_add_nc_u32_e32 v14, v10, v16
	s_bitcmp0_b64 s[12:13], 0
	s_mov_b32 s12, 0
	s_cselect_b32 vcc_lo, -1, 0
	s_delay_alu instid0(VALU_DEP_1) | instskip(NEXT) | instid1(VALU_DEP_1)
	v_ashrrev_i32_e32 v15, 31, v14
	v_add_nc_u64_e32 v[10:11], v[14:15], v[42:43]
	s_wait_dscnt 0x0
	v_add_nc_u64_e32 v[12:13], v[12:13], v[14:15]
	v_add_nc_u64_e32 v[14:15], v[14:15], v[44:45]
	s_branch .LBB10_368
.LBB10_367:                             ;   in Loop: Header=BB10_368 Depth=2
	s_or_b32 exec_lo, exec_lo, s13
	v_sub_nc_u32_e32 v17, v17, v114
	flat_store_d16_hi_b16 v[14:15], v16 th:TH_STORE_NT
	v_add_nc_u64_e32 v[10:11], v[10:11], v[114:115]
	v_add_nc_u64_e32 v[12:13], v[12:13], v[114:115]
	s_wait_xcnt 0x0
	v_add_nc_u64_e32 v[14:15], v[14:15], v[114:115]
	v_cmp_gt_i32_e64 s10, 2, v17
	s_or_b32 s12, s10, s12
	s_delay_alu instid0(SALU_CYCLE_1)
	s_and_not1_b32 exec_lo, exec_lo, s12
	s_cbranch_execz .LBB10_372
.LBB10_368:                             ;   Parent Loop BB10_49 Depth=1
                                        ; =>  This Inner Loop Header: Depth=2
	flat_load_u16 v16, v[12:13] th:TH_LOAD_NT
	flat_load_u16 v18, v[10:11] th:TH_LOAD_NT
	s_wait_loadcnt_dscnt 0x0
	v_dual_lshlrev_b32 v16, 16, v16 :: v_dual_lshlrev_b32 v18, 16, v18
	s_delay_alu instid0(VALU_DEP_1) | instskip(NEXT) | instid1(VALU_DEP_1)
	v_dual_max_num_f32 v16, v16, v16 :: v_dual_max_num_f32 v18, v18, v18
	v_dual_min_num_f32 v19, v18, v16 :: v_dual_max_num_f32 v16, v18, v16
	s_delay_alu instid0(VALU_DEP_1) | instskip(NEXT) | instid1(VALU_DEP_1)
	v_cndmask_b32_e32 v18, v16, v19, vcc_lo
	v_and_b32_e32 v16, 0x7f800000, v18
	s_delay_alu instid0(VALU_DEP_1) | instskip(SKIP_2) | instid1(SALU_CYCLE_1)
	v_cmp_ne_u32_e64 s10, 0x7f800000, v16
                                        ; implicit-def: $vgpr16
	s_wait_xcnt 0x0
	s_and_saveexec_b32 s13, s10
	s_xor_b32 s10, exec_lo, s13
; %bb.369:                              ;   in Loop: Header=BB10_368 Depth=2
	v_bfe_u32 v16, v18, 16, 1
	s_delay_alu instid0(VALU_DEP_1)
	v_add3_u32 v16, v18, v16, 0x7fff
                                        ; implicit-def: $vgpr18
; %bb.370:                              ;   in Loop: Header=BB10_368 Depth=2
	s_and_not1_saveexec_b32 s13, s10
	s_cbranch_execz .LBB10_367
; %bb.371:                              ;   in Loop: Header=BB10_368 Depth=2
	v_and_b32_e32 v16, 0xffff, v18
	v_or_b32_e32 v19, 0x10000, v18
	s_delay_alu instid0(VALU_DEP_2) | instskip(NEXT) | instid1(VALU_DEP_1)
	v_cmp_eq_u32_e64 s10, 0, v16
	v_cndmask_b32_e64 v16, v19, v18, s10
	s_branch .LBB10_367
.LBB10_372:                             ;   in Loop: Header=BB10_49 Depth=1
	s_or_b32 exec_lo, exec_lo, s11
	v_cmp_ne_u32_e64 s10, 0, v86
	s_and_saveexec_b32 s11, s2
	s_cbranch_execz .LBB10_391
.LBB10_373:                             ;   in Loop: Header=BB10_49 Depth=1
	s_and_saveexec_b32 s12, s3
	s_delay_alu instid0(SALU_CYCLE_1)
	s_xor_b32 s12, exec_lo, s12
	s_cbranch_execz .LBB10_388
; %bb.374:                              ;   in Loop: Header=BB10_49 Depth=1
	s_and_saveexec_b32 s13, s4
	s_cbranch_execz .LBB10_387
; %bb.375:                              ;   in Loop: Header=BB10_49 Depth=1
	s_mov_b32 s25, exec_lo
	s_mov_b32 s24, exec_lo
	v_mbcnt_lo_u32_b32 v10, s25, 0
	global_wb scope:SCOPE_DEV
	s_wait_storecnt 0x0
	s_wait_loadcnt_dscnt 0x0
	global_inv scope:SCOPE_DEV
	v_cmpx_eq_u32_e32 0, v10
	s_cbranch_execz .LBB10_377
; %bb.376:                              ;   in Loop: Header=BB10_49 Depth=1
	s_bcnt1_i32_b32 s25, s25
	s_delay_alu instid0(SALU_CYCLE_1)
	v_mov_b32_e32 v86, s25
	s_wait_loadcnt 0x0
	ds_add_u64 v0, v[86:87]
	s_trap 2
.LBB10_377:                             ;   in Loop: Header=BB10_49 Depth=1
	s_or_b32 exec_lo, exec_lo, s24
	s_trap 2
	ds_load_b64 v[10:11], v0
	s_wait_dscnt 0x0
	v_add_nc_u64_e32 v[70:71], v[70:71], v[96:97]
	s_mov_b32 s24, exec_lo
	s_delay_alu instid0(VALU_DEP_1)
	v_cmpx_lt_u64_e64 v[10:11], v[70:71]
	s_cbranch_execz .LBB10_386
; %bb.378:                              ;   in Loop: Header=BB10_49 Depth=1
	s_mov_b32 s25, 0
	s_mov_b32 s28, 0
                                        ; implicit-def: $sgpr26
                                        ; implicit-def: $sgpr27
	s_branch .LBB10_380
.LBB10_379:                             ;   in Loop: Header=BB10_380 Depth=2
	s_or_b32 exec_lo, exec_lo, s40
	s_delay_alu instid0(SALU_CYCLE_1) | instskip(NEXT) | instid1(SALU_CYCLE_1)
	s_and_b32 s29, exec_lo, s41
	s_or_b32 s25, s29, s25
	s_and_not1_b32 s26, s26, exec_lo
	s_and_b32 s29, s27, exec_lo
	s_delay_alu instid0(SALU_CYCLE_1)
	s_or_b32 s26, s26, s29
	s_and_not1_b32 exec_lo, exec_lo, s25
	s_cbranch_execz .LBB10_384
.LBB10_380:                             ;   Parent Loop BB10_49 Depth=1
                                        ; =>  This Inner Loop Header: Depth=2
	s_add_co_i32 s28, s28, 1
	s_delay_alu instid0(SALU_CYCLE_1) | instskip(SKIP_1) | instid1(SALU_CYCLE_1)
	s_cmp_lg_u32 s28, 0x2710
	s_cselect_b32 s29, -1, 0
	s_and_b32 vcc_lo, exec_lo, s29
	s_cbranch_vccz .LBB10_382
; %bb.381:                              ;   in Loop: Header=BB10_380 Depth=2
	s_mov_b32 s41, -1
	s_or_b32 s27, s27, exec_lo
	s_and_saveexec_b32 s40, s29
	s_cbranch_execz .LBB10_379
	s_branch .LBB10_383
.LBB10_382:                             ;   in Loop: Header=BB10_380 Depth=2
	s_trap 2
	ds_load_b64 v[10:11], v0
	s_and_not1_b32 s29, s29, exec_lo
	s_mov_b32 s28, 0
	s_wait_loadcnt_dscnt 0x0
	flat_load_b32 v10, v[10:11] scope:SCOPE_SYS
	s_wait_loadcnt_dscnt 0x0
	global_inv scope:SCOPE_SYS
	v_cmp_eq_u32_e32 vcc_lo, 0, v10
	s_and_b32 s40, vcc_lo, exec_lo
	s_delay_alu instid0(SALU_CYCLE_1)
	s_or_b32 s29, s29, s40
	s_mov_b32 s41, -1
	s_or_b32 s27, s27, exec_lo
	s_and_saveexec_b32 s40, s29
	s_cbranch_execz .LBB10_379
.LBB10_383:                             ;   in Loop: Header=BB10_380 Depth=2
	s_sleep 1
	s_trap 2
	ds_load_b64 v[10:11], v0
	s_wait_dscnt 0x0
	s_and_not1_b32 s27, s27, exec_lo
	v_cmp_ge_u64_e32 vcc_lo, v[10:11], v[70:71]
	s_or_not1_b32 s41, vcc_lo, exec_lo
	s_branch .LBB10_379
.LBB10_384:                             ;   in Loop: Header=BB10_49 Depth=1
	s_or_b32 exec_lo, exec_lo, s25
	s_and_saveexec_b32 s25, s26
	s_delay_alu instid0(SALU_CYCLE_1)
	s_xor_b32 s25, exec_lo, s25
	s_cbranch_execz .LBB10_386
; %bb.385:                              ;   in Loop: Header=BB10_49 Depth=1
	ds_store_b32 v0, v63
	s_trap 2
.LBB10_386:                             ;   in Loop: Header=BB10_49 Depth=1
	s_or_b32 exec_lo, exec_lo, s24
	;;#ASMSTART
	s_wakeup
	;;#ASMEND
.LBB10_387:                             ;   in Loop: Header=BB10_49 Depth=1
	s_or_b32 exec_lo, exec_lo, s13
.LBB10_388:                             ;   in Loop: Header=BB10_49 Depth=1
	s_and_not1_saveexec_b32 s12, s12
	s_cbranch_execz .LBB10_390
; %bb.389:                              ;   in Loop: Header=BB10_49 Depth=1
	global_wb scope:SCOPE_DEV
	s_wait_storecnt 0x0
	s_wait_loadcnt_dscnt 0x0
	global_inv scope:SCOPE_DEV
	s_barrier_signal -1
	s_barrier_wait -1
.LBB10_390:                             ;   in Loop: Header=BB10_49 Depth=1
	s_or_b32 exec_lo, exec_lo, s12
.LBB10_391:                             ;   in Loop: Header=BB10_49 Depth=1
	s_delay_alu instid0(SALU_CYCLE_1) | instskip(SKIP_1) | instid1(VALU_DEP_1)
	s_or_b32 exec_lo, exec_lo, s11
	v_and_b32_e32 v10, 16, v30
	v_cmp_ne_u32_e32 vcc_lo, 0, v10
	s_and_b32 s11, vcc_lo, s10
	s_delay_alu instid0(SALU_CYCLE_1)
	s_and_saveexec_b32 s10, s11
	s_cbranch_execz .LBB10_393
; %bb.392:                              ;   in Loop: Header=BB10_49 Depth=1
	global_wb scope:SCOPE_SYS
	s_wait_storecnt 0x0
	s_wait_loadcnt_dscnt 0x0
	global_inv scope:SCOPE_SYS
.LBB10_393:                             ;   in Loop: Header=BB10_49 Depth=1
	s_or_b32 exec_lo, exec_lo, s10
	v_cmp_ne_u32_e32 vcc_lo, 0, v10
	s_xor_b32 s10, s7, -1
	s_delay_alu instid0(SALU_CYCLE_1) | instskip(NEXT) | instid1(SALU_CYCLE_1)
	s_and_b32 s11, vcc_lo, s10
	s_and_saveexec_b32 s10, s11
	s_cbranch_execz .LBB10_395
; %bb.394:                              ;   in Loop: Header=BB10_49 Depth=1
	global_wb scope:SCOPE_SYS
	s_wait_storecnt 0x0
	s_wait_loadcnt_dscnt 0x0
	flat_store_b32 v[84:85], v63 scope:SCOPE_SYS
.LBB10_395:                             ;   in Loop: Header=BB10_49 Depth=1
	s_wait_xcnt 0x0
	s_or_b32 exec_lo, exec_lo, s10
	v_and_b32_e32 v10, 48, v30
	s_mov_b32 s10, exec_lo
	s_delay_alu instid0(VALU_DEP_1)
	v_cmpx_ne_u32_e32 0, v10
	s_cbranch_execz .LBB10_397
; %bb.396:                              ;   in Loop: Header=BB10_49 Depth=1
	v_add_nc_u64_e32 v[8:9], 1, v[8:9]
	global_wb scope:SCOPE_SYS
	s_wait_storecnt 0x0
	s_wait_loadcnt_dscnt 0x0
	flat_store_b64 v[64:65], v[8:9] scope:SCOPE_SYS
.LBB10_397:                             ;   in Loop: Header=BB10_49 Depth=1
	s_wait_xcnt 0x0
	s_or_b32 exec_lo, exec_lo, s10
	v_mov_b32_e32 v10, v41
.LBB10_398:                             ;   in Loop: Header=BB10_49 Depth=1
	s_or_b32 exec_lo, exec_lo, s23
	s_and_saveexec_b32 s11, s22
	s_cbranch_execz .LBB10_48
; %bb.399:                              ;   in Loop: Header=BB10_49 Depth=1
	s_delay_alu instid0(VALU_DEP_1) | instskip(SKIP_2) | instid1(VALU_DEP_2)
	v_sub_nc_u32_e32 v10, v40, v10
	v_and_b32_e32 v11, 12, v30
	s_mov_b32 s12, exec_lo
	v_min_i32_e32 v10, v41, v10
	s_delay_alu instid0(VALU_DEP_2)
	v_cmpx_ne_u32_e32 0, v11
	s_cbranch_execz .LBB10_425
; %bb.400:                              ;   in Loop: Header=BB10_49 Depth=1
	v_and_b32_e32 v86, 8, v30
	s_wait_dscnt 0x0
	v_add_nc_u64_e32 v[12:13], 1, v[8:9]
	s_mov_b32 s13, exec_lo
	s_wait_loadcnt 0x0
	v_add_nc_u64_e32 v[14:15], v[80:81], v[86:87]
	s_delay_alu instid0(VALU_DEP_1)
	v_cmpx_lt_u64_e64 v[14:15], v[12:13]
	s_cbranch_execz .LBB10_412
; %bb.401:                              ;   in Loop: Header=BB10_49 Depth=1
	v_and_b32_e32 v9, 64, v30
	s_mov_b32 s22, 0
	s_mov_b32 s26, 0
                                        ; implicit-def: $sgpr23
                                        ; implicit-def: $sgpr24
                                        ; implicit-def: $sgpr25
	s_delay_alu instid0(VALU_DEP_1)
	v_cmp_eq_u32_e32 vcc_lo, 0, v9
	s_branch .LBB10_405
.LBB10_402:                             ;   in Loop: Header=BB10_405 Depth=2
	s_wait_loadcnt_dscnt 0x0
	v_add_nc_u64_e32 v[14:15], v[80:81], v[86:87]
	s_or_b32 s29, s29, exec_lo
	s_delay_alu instid0(VALU_DEP_1)
	v_cmp_ge_u64_e64 s10, v[14:15], v[12:13]
	s_or_not1_b32 s28, s10, exec_lo
.LBB10_403:                             ;   in Loop: Header=BB10_405 Depth=2
	s_or_b32 exec_lo, exec_lo, s41
	s_delay_alu instid0(SALU_CYCLE_1)
	s_and_not1_b32 s10, s25, exec_lo
	s_and_b32 s25, s29, exec_lo
	s_and_not1_b32 s24, s24, exec_lo
	s_and_b32 s28, s28, exec_lo
	s_or_b32 s25, s10, s25
	s_or_b32 s24, s24, s28
.LBB10_404:                             ;   in Loop: Header=BB10_405 Depth=2
	s_or_b32 exec_lo, exec_lo, s27
	s_delay_alu instid0(SALU_CYCLE_1) | instskip(NEXT) | instid1(SALU_CYCLE_1)
	s_and_b32 s10, exec_lo, s24
	s_or_b32 s22, s10, s22
	s_and_not1_b32 s10, s23, exec_lo
	s_and_b32 s23, s25, exec_lo
	s_delay_alu instid0(SALU_CYCLE_1)
	s_or_b32 s23, s10, s23
	s_and_not1_b32 exec_lo, exec_lo, s22
	s_cbranch_execz .LBB10_409
.LBB10_405:                             ;   Parent Loop BB10_49 Depth=1
                                        ; =>  This Inner Loop Header: Depth=2
	s_sleep 1
	s_wait_loadcnt_dscnt 0x0
	flat_load_b64 v[80:81], v[64:65] scope:SCOPE_SYS
	s_or_b32 s25, s25, exec_lo
	s_or_b32 s24, s24, exec_lo
                                        ; implicit-def: $vgpr9
	s_wait_xcnt 0x0
	s_and_saveexec_b32 s27, vcc_lo
	s_cbranch_execz .LBB10_404
; %bb.406:                              ;   in Loop: Header=BB10_405 Depth=2
	s_cmp_lt_i32 s26, 0x270f
	s_mov_b32 s28, -1
	s_cselect_b32 s40, -1, 0
	s_cmp_gt_i32 s26, 0x270e
	s_cbranch_scc0 .LBB10_408
; %bb.407:                              ;   in Loop: Header=BB10_405 Depth=2
	s_trap 2
	ds_load_b64 v[14:15], v0
	s_and_not1_b32 s26, s40, exec_lo
	s_mov_b32 s29, 0
	s_wait_storecnt 0x0
	s_wait_loadcnt_dscnt 0x0
	flat_load_b32 v9, v[14:15] scope:SCOPE_SYS
	s_wait_loadcnt_dscnt 0x0
	global_inv scope:SCOPE_SYS
	v_cmp_eq_u32_e64 s10, 0, v9
	s_and_b32 s10, s10, exec_lo
	s_delay_alu instid0(SALU_CYCLE_1)
	s_or_b32 s40, s26, s10
	s_mov_b32 s26, 0
	s_and_saveexec_b32 s41, s40
	s_cbranch_execz .LBB10_403
	s_branch .LBB10_402
.LBB10_408:                             ;   in Loop: Header=BB10_405 Depth=2
	s_add_co_i32 s26, s26, 1
	s_mov_b32 s29, -1
                                        ; implicit-def: $vgpr9
	s_and_saveexec_b32 s41, s40
	s_cbranch_execz .LBB10_403
	s_branch .LBB10_402
.LBB10_409:                             ;   in Loop: Header=BB10_49 Depth=1
	s_or_b32 exec_lo, exec_lo, s22
	s_xor_b32 s10, s23, -1
	s_delay_alu instid0(SALU_CYCLE_1) | instskip(NEXT) | instid1(SALU_CYCLE_1)
	s_and_saveexec_b32 s22, s10
	s_xor_b32 s10, exec_lo, s22
	s_cbranch_execz .LBB10_411
; %bb.410:                              ;   in Loop: Header=BB10_49 Depth=1
	v_or_b32_e32 v30, 64, v30
	s_wait_storecnt 0x0
	s_wait_loadcnt_dscnt 0x0
	ds_store_b32 v0, v9
	s_trap 2
.LBB10_411:                             ;   in Loop: Header=BB10_49 Depth=1
	s_or_b32 exec_lo, exec_lo, s10
.LBB10_412:                             ;   in Loop: Header=BB10_49 Depth=1
	s_delay_alu instid0(SALU_CYCLE_1) | instskip(SKIP_2) | instid1(VALU_DEP_1)
	s_or_b32 exec_lo, exec_lo, s13
	v_and_b32_e32 v9, 0x108, v30
	;;#ASMSTART
	s_wakeup
	;;#ASMEND
	v_cmp_ne_u32_e32 vcc_lo, 0x108, v9
	v_and_b32_e32 v8, 7, v8
	s_and_saveexec_b32 s10, vcc_lo
	s_delay_alu instid0(SALU_CYCLE_1)
	s_xor_b32 s10, exec_lo, s10
; %bb.413:                              ;   in Loop: Header=BB10_49 Depth=1
	v_mov_b32_e32 v9, v87
; %bb.414:                              ;   in Loop: Header=BB10_49 Depth=1
	s_and_not1_saveexec_b32 s10, s10
	s_cbranch_execz .LBB10_416
; %bb.415:                              ;   in Loop: Header=BB10_49 Depth=1
	v_dual_ashrrev_i32 v11, 31, v10 :: v_dual_mov_b32 v9, v87
	v_mad_nc_u64_u32 v[14:15], v8, 24, v[6:7]
	s_delay_alu instid0(VALU_DEP_2)
	v_lshlrev_b64_e32 v[16:17], 1, v[10:11]
	flat_store_b64 v[14:15], v[16:17] offset:8
.LBB10_416:                             ;   in Loop: Header=BB10_49 Depth=1
	s_wait_xcnt 0x0
	s_or_b32 exec_lo, exec_lo, s10
	v_and_b32_e32 v11, 0x100, v30
	s_mov_b32 s10, -1
	s_mov_b32 s13, exec_lo
                                        ; implicit-def: $vgpr14_vgpr15
	s_delay_alu instid0(VALU_DEP_1)
	v_cmpx_ne_u32_e32 0, v11
	s_cbranch_execz .LBB10_420
; %bb.417:                              ;   in Loop: Header=BB10_49 Depth=1
	v_mad_nc_u64_u32 v[16:17], v8, 24, v[6:7]
	s_mov_b32 s22, exec_lo
                                        ; implicit-def: $vgpr14_vgpr15
	s_delay_alu instid0(VALU_DEP_1)
	v_mad_u32 v17, v9, 24, v17
	flat_load_b32 v11, v[16:17]
	s_wait_loadcnt_dscnt 0x0
	v_cmp_ne_u32_e32 vcc_lo, 1, v11
	s_wait_xcnt 0x0
	v_cmpx_eq_u32_e32 1, v11
	s_cbranch_execz .LBB10_419
; %bb.418:                              ;   in Loop: Header=BB10_49 Depth=1
	flat_load_b32 v14, v[16:17] offset:4 scope:SCOPE_SYS
	s_wait_loadcnt_dscnt 0x0
	v_ashrrev_i32_e32 v15, 31, v14
	s_delay_alu instid0(VALU_DEP_1)
	v_lshrrev_b64 v[14:15], 1, v[14:15]
.LBB10_419:                             ;   in Loop: Header=BB10_49 Depth=1
	s_wait_xcnt 0x0
	s_or_b32 exec_lo, exec_lo, s22
	s_delay_alu instid0(SALU_CYCLE_1)
	s_or_not1_b32 s10, vcc_lo, exec_lo
.LBB10_420:                             ;   in Loop: Header=BB10_49 Depth=1
	s_or_b32 exec_lo, exec_lo, s13
	s_and_saveexec_b32 s13, s10
; %bb.421:                              ;   in Loop: Header=BB10_49 Depth=1
	v_mul_u64_e32 v[14:15], v[8:9], v[66:67]
; %bb.422:                              ;   in Loop: Header=BB10_49 Depth=1
	s_or_b32 exec_lo, exec_lo, s13
	v_cmp_eq_u32_e32 vcc_lo, 0, v86
	v_and_b32_e32 v16, 0x2000, v30
	s_delay_alu instid0(VALU_DEP_3) | instskip(SKIP_2) | instid1(VALU_DEP_1)
	v_lshl_add_u64 v[8:9], v[14:15], 1, v[68:69]
	s_mov_b32 s10, exec_lo
	v_cndmask_b32_e32 v11, 0xc8, v72, vcc_lo
	v_add_nc_u32_e32 v11, v0, v11
	ds_store_b64 v11, v[8:9] offset:584
	v_cmpx_ne_u32_e32 0, v16
	s_cbranch_execz .LBB10_424
; %bb.423:                              ;   in Loop: Header=BB10_49 Depth=1
	ds_load_b64 v[8:9], v0 offset:872
	s_wait_dscnt 0x0
	v_add_nc_u64_e32 v[8:9], 1, v[8:9]
	ds_store_b64 v0, v[8:9] offset:872
.LBB10_424:                             ;   in Loop: Header=BB10_49 Depth=1
	s_or_b32 exec_lo, exec_lo, s10
	v_mov_b64_e32 v[8:9], v[12:13]
.LBB10_425:                             ;   in Loop: Header=BB10_49 Depth=1
	s_or_b32 exec_lo, exec_lo, s12
	s_and_saveexec_b32 s10, s2
	s_cbranch_execz .LBB10_444
; %bb.426:                              ;   in Loop: Header=BB10_49 Depth=1
	s_and_saveexec_b32 s12, s3
	s_delay_alu instid0(SALU_CYCLE_1)
	s_xor_b32 s12, exec_lo, s12
	s_cbranch_execz .LBB10_441
; %bb.427:                              ;   in Loop: Header=BB10_49 Depth=1
	s_and_saveexec_b32 s13, s4
	s_cbranch_execz .LBB10_440
; %bb.428:                              ;   in Loop: Header=BB10_49 Depth=1
	s_mov_b32 s23, exec_lo
	s_mov_b32 s22, exec_lo
	v_mbcnt_lo_u32_b32 v11, s23, 0
	global_wb scope:SCOPE_DEV
	s_wait_storecnt 0x0
	s_wait_loadcnt_dscnt 0x0
	global_inv scope:SCOPE_DEV
	v_cmpx_eq_u32_e32 0, v11
	s_cbranch_execz .LBB10_430
; %bb.429:                              ;   in Loop: Header=BB10_49 Depth=1
	s_bcnt1_i32_b32 s23, s23
	s_delay_alu instid0(SALU_CYCLE_1)
	v_mov_b32_e32 v86, s23
	s_wait_loadcnt 0x0
	ds_add_u64 v0, v[86:87]
	s_trap 2
.LBB10_430:                             ;   in Loop: Header=BB10_49 Depth=1
	s_or_b32 exec_lo, exec_lo, s22
	s_trap 2
	ds_load_b64 v[12:13], v0
	s_wait_dscnt 0x0
	v_add_nc_u64_e32 v[70:71], v[70:71], v[96:97]
	s_mov_b32 s22, exec_lo
	s_delay_alu instid0(VALU_DEP_1)
	v_cmpx_lt_u64_e64 v[12:13], v[70:71]
	s_cbranch_execz .LBB10_439
; %bb.431:                              ;   in Loop: Header=BB10_49 Depth=1
	s_mov_b32 s23, 0
	s_mov_b32 s26, 0
                                        ; implicit-def: $sgpr24
                                        ; implicit-def: $sgpr25
	s_branch .LBB10_433
.LBB10_432:                             ;   in Loop: Header=BB10_433 Depth=2
	s_or_b32 exec_lo, exec_lo, s28
	s_delay_alu instid0(SALU_CYCLE_1) | instskip(NEXT) | instid1(SALU_CYCLE_1)
	s_and_b32 s27, exec_lo, s29
	s_or_b32 s23, s27, s23
	s_and_not1_b32 s24, s24, exec_lo
	s_and_b32 s27, s25, exec_lo
	s_delay_alu instid0(SALU_CYCLE_1)
	s_or_b32 s24, s24, s27
	s_and_not1_b32 exec_lo, exec_lo, s23
	s_cbranch_execz .LBB10_437
.LBB10_433:                             ;   Parent Loop BB10_49 Depth=1
                                        ; =>  This Inner Loop Header: Depth=2
	s_add_co_i32 s26, s26, 1
	s_delay_alu instid0(SALU_CYCLE_1) | instskip(SKIP_1) | instid1(SALU_CYCLE_1)
	s_cmp_lg_u32 s26, 0x2710
	s_cselect_b32 s27, -1, 0
	s_and_b32 vcc_lo, exec_lo, s27
	s_cbranch_vccz .LBB10_435
; %bb.434:                              ;   in Loop: Header=BB10_433 Depth=2
	s_mov_b32 s29, -1
	s_or_b32 s25, s25, exec_lo
	s_and_saveexec_b32 s28, s27
	s_cbranch_execz .LBB10_432
	s_branch .LBB10_436
.LBB10_435:                             ;   in Loop: Header=BB10_433 Depth=2
	s_trap 2
	ds_load_b64 v[12:13], v0
	s_and_not1_b32 s27, s27, exec_lo
	s_mov_b32 s26, 0
	s_wait_loadcnt_dscnt 0x0
	flat_load_b32 v11, v[12:13] scope:SCOPE_SYS
	s_wait_loadcnt_dscnt 0x0
	global_inv scope:SCOPE_SYS
	v_cmp_eq_u32_e32 vcc_lo, 0, v11
	s_and_b32 s28, vcc_lo, exec_lo
	s_delay_alu instid0(SALU_CYCLE_1)
	s_or_b32 s27, s27, s28
	s_mov_b32 s29, -1
	s_or_b32 s25, s25, exec_lo
	s_and_saveexec_b32 s28, s27
	s_cbranch_execz .LBB10_432
.LBB10_436:                             ;   in Loop: Header=BB10_433 Depth=2
	s_sleep 1
	s_trap 2
	ds_load_b64 v[12:13], v0
	s_wait_dscnt 0x0
	s_and_not1_b32 s25, s25, exec_lo
	v_cmp_ge_u64_e32 vcc_lo, v[12:13], v[70:71]
	s_or_not1_b32 s29, vcc_lo, exec_lo
	s_branch .LBB10_432
.LBB10_437:                             ;   in Loop: Header=BB10_49 Depth=1
	s_or_b32 exec_lo, exec_lo, s23
	s_and_saveexec_b32 s23, s24
	s_delay_alu instid0(SALU_CYCLE_1)
	s_xor_b32 s23, exec_lo, s23
	s_cbranch_execz .LBB10_439
; %bb.438:                              ;   in Loop: Header=BB10_49 Depth=1
	ds_store_b32 v0, v63
	s_trap 2
.LBB10_439:                             ;   in Loop: Header=BB10_49 Depth=1
	s_or_b32 exec_lo, exec_lo, s22
	;;#ASMSTART
	s_wakeup
	;;#ASMEND
.LBB10_440:                             ;   in Loop: Header=BB10_49 Depth=1
	s_or_b32 exec_lo, exec_lo, s13
.LBB10_441:                             ;   in Loop: Header=BB10_49 Depth=1
	s_and_not1_saveexec_b32 s12, s12
	s_cbranch_execz .LBB10_443
; %bb.442:                              ;   in Loop: Header=BB10_49 Depth=1
	global_wb scope:SCOPE_DEV
	s_wait_storecnt 0x0
	s_wait_loadcnt_dscnt 0x0
	global_inv scope:SCOPE_DEV
	s_barrier_signal -1
	s_barrier_wait -1
.LBB10_443:                             ;   in Loop: Header=BB10_49 Depth=1
	s_or_b32 exec_lo, exec_lo, s12
.LBB10_444:                             ;   in Loop: Header=BB10_49 Depth=1
	s_delay_alu instid0(SALU_CYCLE_1)
	s_or_b32 exec_lo, exec_lo, s10
	s_trap 2
	ds_load_b32 v11, v0
	v_cmp_lt_i32_e32 vcc_lo, 0, v10
	s_wait_dscnt 0x0
	v_readfirstlane_b32 s10, v11
	v_and_b32_e32 v11, 16, v30
	s_cmp_eq_u32 s10, 0
	s_delay_alu instid0(VALU_DEP_1) | instskip(SKIP_1) | instid1(SALU_CYCLE_1)
	v_cmp_ne_u32_e64 s10, 0, v11
	s_cselect_b32 s12, -1, 0
	s_and_b32 s12, vcc_lo, s12
	s_delay_alu instid0(SALU_CYCLE_1) | instskip(NEXT) | instid1(SALU_CYCLE_1)
	s_and_b32 s12, s10, s12
	s_and_saveexec_b32 s10, s12
	s_cbranch_execz .LBB10_446
; %bb.445:                              ;   in Loop: Header=BB10_49 Depth=1
	global_wb scope:SCOPE_SYS
	s_wait_loadcnt 0x0
	s_wait_storecnt 0x0
	global_inv scope:SCOPE_SYS
.LBB10_446:                             ;   in Loop: Header=BB10_49 Depth=1
	s_or_b32 exec_lo, exec_lo, s10
	v_cmp_ne_u32_e32 vcc_lo, 0, v11
	s_xor_b32 s10, s7, -1
	s_delay_alu instid0(SALU_CYCLE_1) | instskip(NEXT) | instid1(SALU_CYCLE_1)
	s_and_b32 s12, vcc_lo, s10
	s_and_saveexec_b32 s10, s12
	s_cbranch_execz .LBB10_448
; %bb.447:                              ;   in Loop: Header=BB10_49 Depth=1
	global_wb scope:SCOPE_SYS
	s_wait_loadcnt 0x0
	s_wait_storecnt 0x0
	flat_store_b32 v[84:85], v63 scope:SCOPE_SYS
.LBB10_448:                             ;   in Loop: Header=BB10_49 Depth=1
	s_wait_xcnt 0x0
	s_or_b32 exec_lo, exec_lo, s10
	v_and_b32_e32 v10, 48, v30
	s_mov_b32 s10, exec_lo
	s_delay_alu instid0(VALU_DEP_1)
	v_cmpx_ne_u32_e32 0, v10
	s_cbranch_execz .LBB10_47
; %bb.449:                              ;   in Loop: Header=BB10_49 Depth=1
	v_add_nc_u64_e32 v[8:9], 1, v[8:9]
	global_wb scope:SCOPE_SYS
	s_wait_storecnt 0x0
	s_wait_loadcnt_dscnt 0x0
	flat_store_b64 v[64:65], v[8:9] scope:SCOPE_SYS
	s_branch .LBB10_47
.LBB10_450:
	s_or_b32 exec_lo, exec_lo, s19
.LBB10_451:
	s_delay_alu instid0(SALU_CYCLE_1)
	s_or_b32 exec_lo, exec_lo, s18
                                        ; implicit-def: $vgpr52_vgpr53
                                        ; implicit-def: $vgpr4_vgpr5
                                        ; implicit-def: $vgpr66
                                        ; implicit-def: $vgpr80_vgpr81
                                        ; implicit-def: $vgpr68_vgpr69
                                        ; implicit-def: $vgpr64_vgpr65
                                        ; implicit-def: $vgpr0
                                        ; implicit-def: $vgpr15
                                        ; implicit-def: $vgpr82_vgpr83
.LBB10_452:
	s_and_not1_saveexec_b32 s11, s17
	s_cbranch_execz .LBB10_848
; %bb.453:
	v_mov_b64_e32 v[70:71], 0
	s_mov_b32 s17, exec_lo
	v_cmpx_ne_u64_e32 0, v[4:5]
	s_cbranch_execz .LBB10_847
; %bb.454:
	v_dual_ashrrev_i32 v67, 31, v66 :: v_dual_bitop2_b32 v10, 31, v31 bitop3:0x40
	s_wait_dscnt 0x1
	v_dual_mov_b32 v85, 0 :: v_dual_lshrrev_b32 v56, 5, v0
	v_dual_lshrrev_b32 v86, 5, v1 :: v_dual_bitop2_b32 v57, 31, v0 bitop3:0x40
	s_delay_alu instid0(VALU_DEP_3) | instskip(NEXT) | instid1(VALU_DEP_3)
	v_cmp_eq_u32_e64 s4, 0, v10
	v_dual_mov_b32 v87, v85 :: v_dual_lshlrev_b32 v10, 11, v56
	v_mov_b32_e32 v99, v85
	s_lshr_b32 s2, s15, 27
	v_cmp_eq_u32_e32 vcc_lo, 32, v1
	s_delay_alu instid0(VALU_DEP_3)
	v_lshl_or_b32 v96, v57, 4, v10
	v_lshlrev_b32_e32 v10, 1, v1
	v_mov_b64_e32 v[114:115], 0
	v_mov_b64_e32 v[70:71], 0
	v_cmp_ge_u32_e64 s1, v0, v1
	s_add_co_i32 s7, s15, s2
	v_cmp_ne_u32_e64 s2, 32, v1
	v_cmp_ne_u32_e64 s3, v1, v60
	v_cmp_le_u32_e64 s5, v57, v15
	v_cmp_eq_u32_e64 s6, 0, v57
	v_dual_mov_b32 v97, v85 :: v_dual_lshlrev_b32 v98, 11, v86
	v_dual_mov_b32 v101, v85 :: v_dual_lshlrev_b32 v100, 9, v86
	v_dual_mov_b32 v103, v85 :: v_dual_lshlrev_b32 v102, 10, v86
	v_and_b32_e32 v112, 0x3fc0, v10
	v_dual_mov_b32 v113, v85 :: v_dual_mov_b32 v58, 1
	s_ashr_i32 s19, s7, 5
	s_mov_b32 s18, 0
	s_xor_b32 s20, vcc_lo, -1
	s_trap 2
	s_branch .LBB10_457
.LBB10_455:                             ;   in Loop: Header=BB10_457 Depth=1
	s_wait_xcnt 0x0
	s_or_b32 exec_lo, exec_lo, s7
.LBB10_456:                             ;   in Loop: Header=BB10_457 Depth=1
	s_delay_alu instid0(SALU_CYCLE_1) | instskip(SKIP_1) | instid1(VALU_DEP_1)
	s_or_b32 exec_lo, exec_lo, s10
	v_add_nc_u64_e32 v[114:115], v[114:115], v[82:83]
	v_cmp_ge_u64_e32 vcc_lo, v[114:115], v[4:5]
	s_or_b32 s18, vcc_lo, s18
	s_delay_alu instid0(SALU_CYCLE_1)
	s_and_not1_b32 exec_lo, exec_lo, s18
	s_cbranch_execz .LBB10_846
.LBB10_457:                             ; =>This Loop Header: Depth=1
                                        ;     Child Loop BB10_466 Depth 2
                                        ;     Child Loop BB10_490 Depth 2
	;; [unrolled: 1-line block ×10, first 2 shown]
	v_sub_nc_u64_e32 v[10:11], v[4:5], v[114:115]
	v_mov_b32_e32 v14, 0
	s_delay_alu instid0(VALU_DEP_2) | instskip(NEXT) | instid1(VALU_DEP_1)
	v_min_u64 v[116:117], v[82:83], v[10:11]
	v_add_nc_u32_e32 v10, 15, v116
	s_delay_alu instid0(VALU_DEP_2) | instskip(NEXT) | instid1(VALU_DEP_2)
	v_cmp_eq_u64_e32 vcc_lo, 0, v[116:117]
	v_and_b32_e32 v10, 0x3ffffff0, v10
	s_or_b32 s21, s1, vcc_lo
	s_delay_alu instid0(SALU_CYCLE_1) | instskip(NEXT) | instid1(VALU_DEP_1)
	s_xor_b32 s7, s21, -1
	v_max_i32_e32 v117, s19, v10
	s_and_saveexec_b32 s22, s7
	s_cbranch_execz .LBB10_800
; %bb.458:                              ;   in Loop: Header=BB10_457 Depth=1
	s_and_saveexec_b32 s7, s0
	s_cbranch_execz .LBB10_460
; %bb.459:                              ;   in Loop: Header=BB10_457 Depth=1
	s_trap 2
	ds_load_b64 v[14:15], v0
	ds_load_2addr_b64 v[10:13], v0 offset1:1
	v_add_nc_u64_e32 v[16:17], v[114:115], v[52:53]
	s_delay_alu instid0(VALU_DEP_1) | instskip(SKIP_1) | instid1(VALU_DEP_1)
	v_lshlrev_b64_e32 v[16:17], 1, v[16:17]
	s_wait_dscnt 0x1
	v_add_nc_u64_e32 v[18:19], v[14:15], v[16:17]
	v_cmp_ne_u64_e32 vcc_lo, 0, v[14:15]
	s_wait_dscnt 0x0
	v_add_nc_u64_e32 v[10:11], v[10:11], v[16:17]
	v_add_nc_u64_e32 v[12:13], v[12:13], v[16:17]
	s_delay_alu instid0(VALU_DEP_4)
	v_dual_cndmask_b32 v15, 0, v19 :: v_dual_cndmask_b32 v14, 0, v18
	ds_store_b64 v0, v[10:11]
	ds_store_b64 v0, v[12:13]
	;; [unrolled: 1-line block ×3, first 2 shown]
.LBB10_460:                             ;   in Loop: Header=BB10_457 Depth=1
	s_or_b32 exec_lo, exec_lo, s7
	v_and_b32_e32 v10, 4, v30
	s_mov_b32 s10, exec_lo
	s_delay_alu instid0(VALU_DEP_1)
	v_cmpx_ne_u32_e32 0, v10
	s_cbranch_execz .LBB10_482
; %bb.461:                              ;   in Loop: Header=BB10_457 Depth=1
	s_wait_dscnt 0x0
	v_add_nc_u64_e32 v[10:11], 1, v[8:9]
	s_mov_b32 s12, exec_lo
	s_wait_loadcnt 0x0
	s_delay_alu instid0(VALU_DEP_1)
	v_cmpx_lt_u64_e64 v[80:81], v[10:11]
	s_cbranch_execz .LBB10_473
; %bb.462:                              ;   in Loop: Header=BB10_457 Depth=1
	v_and_b32_e32 v9, 64, v30
	s_mov_b32 s13, 0
	s_mov_b32 s26, 0
                                        ; implicit-def: $sgpr23
                                        ; implicit-def: $sgpr24
                                        ; implicit-def: $sgpr25
	s_delay_alu instid0(VALU_DEP_1)
	v_cmp_eq_u32_e32 vcc_lo, 0, v9
	s_branch .LBB10_466
.LBB10_463:                             ;   in Loop: Header=BB10_466 Depth=2
	s_wait_loadcnt_dscnt 0x0
	v_cmp_ge_u64_e64 s7, v[80:81], v[10:11]
	s_or_b32 s29, s29, exec_lo
	s_or_not1_b32 s28, s7, exec_lo
.LBB10_464:                             ;   in Loop: Header=BB10_466 Depth=2
	s_or_b32 exec_lo, exec_lo, s41
	s_delay_alu instid0(SALU_CYCLE_1)
	s_and_not1_b32 s7, s25, exec_lo
	s_and_b32 s25, s29, exec_lo
	s_and_not1_b32 s24, s24, exec_lo
	s_and_b32 s28, s28, exec_lo
	s_or_b32 s25, s7, s25
	s_or_b32 s24, s24, s28
.LBB10_465:                             ;   in Loop: Header=BB10_466 Depth=2
	s_or_b32 exec_lo, exec_lo, s27
	s_delay_alu instid0(SALU_CYCLE_1) | instskip(NEXT) | instid1(SALU_CYCLE_1)
	s_and_b32 s7, exec_lo, s24
	s_or_b32 s13, s7, s13
	s_and_not1_b32 s7, s23, exec_lo
	s_and_b32 s23, s25, exec_lo
	s_delay_alu instid0(SALU_CYCLE_1)
	s_or_b32 s23, s7, s23
	s_and_not1_b32 exec_lo, exec_lo, s13
	s_cbranch_execz .LBB10_470
.LBB10_466:                             ;   Parent Loop BB10_457 Depth=1
                                        ; =>  This Inner Loop Header: Depth=2
	s_sleep 1
	s_wait_loadcnt_dscnt 0x0
	flat_load_b64 v[80:81], v[64:65] scope:SCOPE_SYS
	s_or_b32 s25, s25, exec_lo
	s_or_b32 s24, s24, exec_lo
                                        ; implicit-def: $vgpr9
	s_wait_xcnt 0x0
	s_and_saveexec_b32 s27, vcc_lo
	s_cbranch_execz .LBB10_465
; %bb.467:                              ;   in Loop: Header=BB10_466 Depth=2
	s_cmp_lt_i32 s26, 0x270f
	s_mov_b32 s28, -1
	s_cselect_b32 s40, -1, 0
	s_cmp_gt_i32 s26, 0x270e
	s_cbranch_scc0 .LBB10_469
; %bb.468:                              ;   in Loop: Header=BB10_466 Depth=2
	s_trap 2
	ds_load_b64 v[12:13], v0
	s_and_not1_b32 s26, s40, exec_lo
	s_mov_b32 s29, 0
	s_wait_storecnt 0x0
	s_wait_loadcnt_dscnt 0x0
	flat_load_b32 v9, v[12:13] scope:SCOPE_SYS
	s_wait_loadcnt_dscnt 0x0
	global_inv scope:SCOPE_SYS
	v_cmp_eq_u32_e64 s7, 0, v9
	s_and_b32 s7, s7, exec_lo
	s_delay_alu instid0(SALU_CYCLE_1)
	s_or_b32 s40, s26, s7
	s_mov_b32 s26, 0
	s_and_saveexec_b32 s41, s40
	s_cbranch_execz .LBB10_464
	s_branch .LBB10_463
.LBB10_469:                             ;   in Loop: Header=BB10_466 Depth=2
	s_add_co_i32 s26, s26, 1
	s_mov_b32 s29, -1
                                        ; implicit-def: $vgpr9
	s_and_saveexec_b32 s41, s40
	s_cbranch_execz .LBB10_464
	s_branch .LBB10_463
.LBB10_470:                             ;   in Loop: Header=BB10_457 Depth=1
	s_or_b32 exec_lo, exec_lo, s13
	s_xor_b32 s7, s23, -1
	s_delay_alu instid0(SALU_CYCLE_1) | instskip(NEXT) | instid1(SALU_CYCLE_1)
	s_and_saveexec_b32 s13, s7
	s_xor_b32 s7, exec_lo, s13
	s_cbranch_execz .LBB10_472
; %bb.471:                              ;   in Loop: Header=BB10_457 Depth=1
	v_or_b32_e32 v30, 64, v30
	s_wait_storecnt 0x0
	s_wait_loadcnt_dscnt 0x0
	ds_store_b32 v0, v9
	s_trap 2
.LBB10_472:                             ;   in Loop: Header=BB10_457 Depth=1
	s_or_b32 exec_lo, exec_lo, s7
.LBB10_473:                             ;   in Loop: Header=BB10_457 Depth=1
	s_delay_alu instid0(SALU_CYCLE_1) | instskip(SKIP_4) | instid1(VALU_DEP_2)
	s_or_b32 exec_lo, exec_lo, s12
	v_and_b32_e32 v9, 0x100, v30
	v_and_b32_e32 v84, 7, v8
	s_mov_b32 s7, -1
	;;#ASMSTART
	s_wakeup
	;;#ASMEND
	v_cmp_ne_u32_e32 vcc_lo, 0, v9
                                        ; implicit-def: $vgpr8_vgpr9
	s_and_saveexec_b32 s12, vcc_lo
	s_cbranch_execz .LBB10_477
; %bb.474:                              ;   in Loop: Header=BB10_457 Depth=1
	v_mad_nc_u64_u32 v[12:13], v84, 24, v[6:7]
	flat_load_b32 v8, v[12:13]
	s_wait_loadcnt_dscnt 0x0
	v_cmp_eq_u32_e64 s7, 1, v8
	v_cmp_ne_u32_e32 vcc_lo, 1, v8
                                        ; implicit-def: $vgpr8_vgpr9
	s_wait_xcnt 0x0
	s_and_saveexec_b32 s13, s7
	s_cbranch_execz .LBB10_476
; %bb.475:                              ;   in Loop: Header=BB10_457 Depth=1
	flat_load_b32 v8, v[12:13] offset:4 scope:SCOPE_SYS
	s_wait_loadcnt_dscnt 0x0
	v_ashrrev_i32_e32 v9, 31, v8
	s_delay_alu instid0(VALU_DEP_1)
	v_lshrrev_b64 v[8:9], 1, v[8:9]
.LBB10_476:                             ;   in Loop: Header=BB10_457 Depth=1
	s_wait_xcnt 0x0
	s_or_b32 exec_lo, exec_lo, s13
	s_delay_alu instid0(SALU_CYCLE_1)
	s_or_not1_b32 s7, vcc_lo, exec_lo
.LBB10_477:                             ;   in Loop: Header=BB10_457 Depth=1
	s_or_b32 exec_lo, exec_lo, s12
	s_and_saveexec_b32 s12, s7
; %bb.478:                              ;   in Loop: Header=BB10_457 Depth=1
	v_mul_u64_e32 v[8:9], v[84:85], v[66:67]
; %bb.479:                              ;   in Loop: Header=BB10_457 Depth=1
	s_or_b32 exec_lo, exec_lo, s12
	v_and_b32_e32 v12, 0x2000, v30
	s_delay_alu instid0(VALU_DEP_2)
	v_lshl_add_u64 v[8:9], v[8:9], 1, v[68:69]
	s_mov_b32 s7, exec_lo
	ds_store_b64 v0, v[8:9] offset:728
	v_cmpx_ne_u32_e32 0, v12
	s_cbranch_execz .LBB10_481
; %bb.480:                              ;   in Loop: Header=BB10_457 Depth=1
	ds_load_b64 v[8:9], v0 offset:872
	s_wait_dscnt 0x0
	v_add_nc_u64_e32 v[8:9], 1, v[8:9]
	ds_store_b64 v0, v[8:9] offset:872
.LBB10_481:                             ;   in Loop: Header=BB10_457 Depth=1
	s_or_b32 exec_lo, exec_lo, s7
	v_mov_b64_e32 v[8:9], v[10:11]
.LBB10_482:                             ;   in Loop: Header=BB10_457 Depth=1
	s_or_b32 exec_lo, exec_lo, s10
	s_and_saveexec_b32 s7, s2
	s_cbranch_execz .LBB10_501
; %bb.483:                              ;   in Loop: Header=BB10_457 Depth=1
	s_and_saveexec_b32 s10, s3
	s_delay_alu instid0(SALU_CYCLE_1)
	s_xor_b32 s10, exec_lo, s10
	s_cbranch_execz .LBB10_498
; %bb.484:                              ;   in Loop: Header=BB10_457 Depth=1
	s_and_saveexec_b32 s12, s4
	s_cbranch_execz .LBB10_497
; %bb.485:                              ;   in Loop: Header=BB10_457 Depth=1
	s_mov_b32 s23, exec_lo
	s_mov_b32 s13, exec_lo
	v_mbcnt_lo_u32_b32 v10, s23, 0
	global_wb scope:SCOPE_DEV
	s_wait_storecnt 0x0
	s_wait_loadcnt_dscnt 0x0
	global_inv scope:SCOPE_DEV
	v_cmpx_eq_u32_e32 0, v10
	s_cbranch_execz .LBB10_487
; %bb.486:                              ;   in Loop: Header=BB10_457 Depth=1
	s_bcnt1_i32_b32 s23, s23
	s_delay_alu instid0(SALU_CYCLE_1)
	v_mov_b32_e32 v84, s23
	s_wait_loadcnt 0x0
	ds_add_u64 v0, v[84:85]
	s_trap 2
.LBB10_487:                             ;   in Loop: Header=BB10_457 Depth=1
	s_or_b32 exec_lo, exec_lo, s13
	s_trap 2
	ds_load_b64 v[10:11], v0
	s_wait_dscnt 0x0
	v_add_nc_u64_e32 v[70:71], v[70:71], v[86:87]
	s_mov_b32 s13, exec_lo
	s_delay_alu instid0(VALU_DEP_1)
	v_cmpx_lt_u64_e64 v[10:11], v[70:71]
	s_cbranch_execz .LBB10_496
; %bb.488:                              ;   in Loop: Header=BB10_457 Depth=1
	s_mov_b32 s23, 0
	s_mov_b32 s26, 0
                                        ; implicit-def: $sgpr24
                                        ; implicit-def: $sgpr25
	s_branch .LBB10_490
.LBB10_489:                             ;   in Loop: Header=BB10_490 Depth=2
	s_or_b32 exec_lo, exec_lo, s28
	s_delay_alu instid0(SALU_CYCLE_1) | instskip(NEXT) | instid1(SALU_CYCLE_1)
	s_and_b32 s27, exec_lo, s29
	s_or_b32 s23, s27, s23
	s_and_not1_b32 s24, s24, exec_lo
	s_and_b32 s27, s25, exec_lo
	s_delay_alu instid0(SALU_CYCLE_1)
	s_or_b32 s24, s24, s27
	s_and_not1_b32 exec_lo, exec_lo, s23
	s_cbranch_execz .LBB10_494
.LBB10_490:                             ;   Parent Loop BB10_457 Depth=1
                                        ; =>  This Inner Loop Header: Depth=2
	s_add_co_i32 s26, s26, 1
	s_delay_alu instid0(SALU_CYCLE_1) | instskip(SKIP_1) | instid1(SALU_CYCLE_1)
	s_cmp_lg_u32 s26, 0x2710
	s_cselect_b32 s27, -1, 0
	s_and_b32 vcc_lo, exec_lo, s27
	s_cbranch_vccz .LBB10_492
; %bb.491:                              ;   in Loop: Header=BB10_490 Depth=2
	s_mov_b32 s29, -1
	s_or_b32 s25, s25, exec_lo
	s_and_saveexec_b32 s28, s27
	s_cbranch_execz .LBB10_489
	s_branch .LBB10_493
.LBB10_492:                             ;   in Loop: Header=BB10_490 Depth=2
	s_trap 2
	ds_load_b64 v[10:11], v0
	s_and_not1_b32 s27, s27, exec_lo
	s_mov_b32 s26, 0
	s_wait_loadcnt_dscnt 0x0
	flat_load_b32 v10, v[10:11] scope:SCOPE_SYS
	s_wait_loadcnt_dscnt 0x0
	global_inv scope:SCOPE_SYS
	v_cmp_eq_u32_e32 vcc_lo, 0, v10
	s_and_b32 s28, vcc_lo, exec_lo
	s_delay_alu instid0(SALU_CYCLE_1)
	s_or_b32 s27, s27, s28
	s_mov_b32 s29, -1
	s_or_b32 s25, s25, exec_lo
	s_and_saveexec_b32 s28, s27
	s_cbranch_execz .LBB10_489
.LBB10_493:                             ;   in Loop: Header=BB10_490 Depth=2
	s_sleep 1
	s_trap 2
	ds_load_b64 v[10:11], v0
	s_wait_dscnt 0x0
	s_and_not1_b32 s25, s25, exec_lo
	v_cmp_ge_u64_e32 vcc_lo, v[10:11], v[70:71]
	s_or_not1_b32 s29, vcc_lo, exec_lo
	s_branch .LBB10_489
.LBB10_494:                             ;   in Loop: Header=BB10_457 Depth=1
	s_or_b32 exec_lo, exec_lo, s23
	s_and_saveexec_b32 s23, s24
	s_delay_alu instid0(SALU_CYCLE_1)
	s_xor_b32 s23, exec_lo, s23
	s_cbranch_execz .LBB10_496
; %bb.495:                              ;   in Loop: Header=BB10_457 Depth=1
	ds_store_b32 v0, v58
	s_trap 2
.LBB10_496:                             ;   in Loop: Header=BB10_457 Depth=1
	s_or_b32 exec_lo, exec_lo, s13
	;;#ASMSTART
	s_wakeup
	;;#ASMEND
.LBB10_497:                             ;   in Loop: Header=BB10_457 Depth=1
	s_or_b32 exec_lo, exec_lo, s12
.LBB10_498:                             ;   in Loop: Header=BB10_457 Depth=1
	s_and_not1_saveexec_b32 s10, s10
	s_cbranch_execz .LBB10_500
; %bb.499:                              ;   in Loop: Header=BB10_457 Depth=1
	global_wb scope:SCOPE_DEV
	s_wait_storecnt 0x0
	s_wait_loadcnt_dscnt 0x0
	global_inv scope:SCOPE_DEV
	s_barrier_signal -1
	s_barrier_wait -1
.LBB10_500:                             ;   in Loop: Header=BB10_457 Depth=1
	s_or_b32 exec_lo, exec_lo, s10
.LBB10_501:                             ;   in Loop: Header=BB10_457 Depth=1
	s_delay_alu instid0(SALU_CYCLE_1) | instskip(SKIP_3) | instid1(VALU_DEP_1)
	s_or_b32 exec_lo, exec_lo, s7
	s_trap 2
	ds_load_b32 v10, v0
	v_and_b32_e32 v11, 0x4000, v30
	v_cmp_ne_u32_e32 vcc_lo, 0, v11
	s_and_b32 s10, s20, vcc_lo
	s_delay_alu instid0(SALU_CYCLE_1)
	s_and_saveexec_b32 s7, s10
	s_cbranch_execz .LBB10_520
; %bb.502:                              ;   in Loop: Header=BB10_457 Depth=1
	s_and_saveexec_b32 s10, s3
	s_delay_alu instid0(SALU_CYCLE_1)
	s_xor_b32 s10, exec_lo, s10
	s_cbranch_execz .LBB10_517
; %bb.503:                              ;   in Loop: Header=BB10_457 Depth=1
	s_and_saveexec_b32 s12, s4
	s_cbranch_execz .LBB10_516
; %bb.504:                              ;   in Loop: Header=BB10_457 Depth=1
	s_mov_b32 s23, exec_lo
	s_mov_b32 s13, exec_lo
	v_mbcnt_lo_u32_b32 v11, s23, 0
	global_wb scope:SCOPE_DEV
	s_wait_storecnt 0x0
	s_wait_loadcnt_dscnt 0x0
	global_inv scope:SCOPE_DEV
	v_cmpx_eq_u32_e32 0, v11
	s_cbranch_execz .LBB10_506
; %bb.505:                              ;   in Loop: Header=BB10_457 Depth=1
	s_bcnt1_i32_b32 s23, s23
	s_delay_alu instid0(SALU_CYCLE_1)
	v_mov_b32_e32 v84, s23
	s_wait_loadcnt 0x0
	ds_add_u64 v0, v[84:85]
	s_trap 2
.LBB10_506:                             ;   in Loop: Header=BB10_457 Depth=1
	s_or_b32 exec_lo, exec_lo, s13
	s_trap 2
	ds_load_b64 v[12:13], v0
	s_wait_dscnt 0x0
	v_add_nc_u64_e32 v[70:71], v[70:71], v[86:87]
	s_mov_b32 s13, exec_lo
	s_delay_alu instid0(VALU_DEP_1)
	v_cmpx_lt_u64_e64 v[12:13], v[70:71]
	s_cbranch_execz .LBB10_515
; %bb.507:                              ;   in Loop: Header=BB10_457 Depth=1
	s_mov_b32 s23, 0
	s_mov_b32 s26, 0
                                        ; implicit-def: $sgpr24
                                        ; implicit-def: $sgpr25
	s_branch .LBB10_509
.LBB10_508:                             ;   in Loop: Header=BB10_509 Depth=2
	s_or_b32 exec_lo, exec_lo, s28
	s_delay_alu instid0(SALU_CYCLE_1) | instskip(NEXT) | instid1(SALU_CYCLE_1)
	s_and_b32 s27, exec_lo, s29
	s_or_b32 s23, s27, s23
	s_and_not1_b32 s24, s24, exec_lo
	s_and_b32 s27, s25, exec_lo
	s_delay_alu instid0(SALU_CYCLE_1)
	s_or_b32 s24, s24, s27
	s_and_not1_b32 exec_lo, exec_lo, s23
	s_cbranch_execz .LBB10_513
.LBB10_509:                             ;   Parent Loop BB10_457 Depth=1
                                        ; =>  This Inner Loop Header: Depth=2
	s_add_co_i32 s26, s26, 1
	s_delay_alu instid0(SALU_CYCLE_1) | instskip(SKIP_1) | instid1(SALU_CYCLE_1)
	s_cmp_lg_u32 s26, 0x2710
	s_cselect_b32 s27, -1, 0
	s_and_b32 vcc_lo, exec_lo, s27
	s_cbranch_vccz .LBB10_511
; %bb.510:                              ;   in Loop: Header=BB10_509 Depth=2
	s_mov_b32 s29, -1
	s_or_b32 s25, s25, exec_lo
	s_and_saveexec_b32 s28, s27
	s_cbranch_execz .LBB10_508
	s_branch .LBB10_512
.LBB10_511:                             ;   in Loop: Header=BB10_509 Depth=2
	s_trap 2
	ds_load_b64 v[12:13], v0
	s_and_not1_b32 s27, s27, exec_lo
	s_mov_b32 s26, 0
	s_wait_loadcnt_dscnt 0x0
	flat_load_b32 v11, v[12:13] scope:SCOPE_SYS
	s_wait_loadcnt_dscnt 0x0
	global_inv scope:SCOPE_SYS
	v_cmp_eq_u32_e32 vcc_lo, 0, v11
	s_and_b32 s28, vcc_lo, exec_lo
	s_delay_alu instid0(SALU_CYCLE_1)
	s_or_b32 s27, s27, s28
	s_mov_b32 s29, -1
	s_or_b32 s25, s25, exec_lo
	s_and_saveexec_b32 s28, s27
	s_cbranch_execz .LBB10_508
.LBB10_512:                             ;   in Loop: Header=BB10_509 Depth=2
	s_sleep 1
	s_trap 2
	ds_load_b64 v[12:13], v0
	s_wait_dscnt 0x0
	s_and_not1_b32 s25, s25, exec_lo
	v_cmp_ge_u64_e32 vcc_lo, v[12:13], v[70:71]
	s_or_not1_b32 s29, vcc_lo, exec_lo
	s_branch .LBB10_508
.LBB10_513:                             ;   in Loop: Header=BB10_457 Depth=1
	s_or_b32 exec_lo, exec_lo, s23
	s_and_saveexec_b32 s23, s24
	s_delay_alu instid0(SALU_CYCLE_1)
	s_xor_b32 s23, exec_lo, s23
	s_cbranch_execz .LBB10_515
; %bb.514:                              ;   in Loop: Header=BB10_457 Depth=1
	ds_store_b32 v0, v58
	s_trap 2
.LBB10_515:                             ;   in Loop: Header=BB10_457 Depth=1
	s_or_b32 exec_lo, exec_lo, s13
	;;#ASMSTART
	s_wakeup
	;;#ASMEND
.LBB10_516:                             ;   in Loop: Header=BB10_457 Depth=1
	s_or_b32 exec_lo, exec_lo, s12
.LBB10_517:                             ;   in Loop: Header=BB10_457 Depth=1
	s_and_not1_saveexec_b32 s10, s10
	s_cbranch_execz .LBB10_519
; %bb.518:                              ;   in Loop: Header=BB10_457 Depth=1
	global_wb scope:SCOPE_DEV
	s_wait_storecnt 0x0
	s_wait_loadcnt_dscnt 0x0
	global_inv scope:SCOPE_DEV
	s_barrier_signal -1
	s_barrier_wait -1
.LBB10_519:                             ;   in Loop: Header=BB10_457 Depth=1
	s_or_b32 exec_lo, exec_lo, s10
.LBB10_520:                             ;   in Loop: Header=BB10_457 Depth=1
	s_delay_alu instid0(SALU_CYCLE_1)
	s_or_b32 exec_lo, exec_lo, s7
	s_trap 2
	ds_load_b64 v[118:119], v0
	v_min_u32_e32 v117, v117, v116
	s_wait_dscnt 0x0
	v_cmp_eq_u64_e32 vcc_lo, 0, v[118:119]
	s_cbranch_vccnz .LBB10_528
; %bb.521:                              ;   in Loop: Header=BB10_457 Depth=1
	s_trap 2
	ds_load_b64 v[40:41], v0
	s_wait_dscnt 0x0
	v_cmp_eq_u64_e32 vcc_lo, 0, v[40:41]
	s_cbranch_vccnz .LBB10_528
; %bb.522:                              ;   in Loop: Header=BB10_457 Depth=1
	s_trap 2
	ds_load_b64 v[12:13], v0
	s_mov_b32 s7, -1
	s_wait_dscnt 0x0
	v_readfirstlane_b32 s12, v12
	v_readfirstlane_b32 s13, v13
	s_and_saveexec_b32 s10, s5
	s_cbranch_execz .LBB10_524
; %bb.523:                              ;   in Loop: Header=BB10_457 Depth=1
	ds_load_b32 v11, v0 offset:720
	s_wait_dscnt 0x0
	v_and_b32_e32 v11, 15, v11
	s_delay_alu instid0(VALU_DEP_1)
	v_cmp_eq_u32_e32 vcc_lo, 0, v11
	s_or_not1_b32 s7, vcc_lo, exec_lo
.LBB10_524:                             ;   in Loop: Header=BB10_457 Depth=1
	s_or_b32 exec_lo, exec_lo, s10
	s_and_saveexec_b32 s10, s6
	s_cbranch_execz .LBB10_526
; %bb.525:                              ;   in Loop: Header=BB10_457 Depth=1
	ds_load_b32 v11, v0 offset:784
	s_wait_dscnt 0x0
	v_and_b32_e32 v11, 15, v11
	s_delay_alu instid0(VALU_DEP_1) | instskip(SKIP_3) | instid1(SALU_CYCLE_1)
	v_cmp_eq_u32_e32 vcc_lo, 0, v11
	s_and_b32 s23, s7, vcc_lo
	s_and_not1_b32 s7, s7, exec_lo
	s_and_b32 s23, s23, exec_lo
	s_or_b32 s7, s7, s23
.LBB10_526:                             ;   in Loop: Header=BB10_457 Depth=1
	s_or_b32 exec_lo, exec_lo, s10
	v_cmp_eq_u32_e32 vcc_lo, 0, v10
	s_xor_b32 s7, s7, -1
	v_mov_b32_e32 v16, 0
	v_cndmask_b32_e64 v11, 0, 1, s7
	s_mov_b32 s7, -1
	v_cndmask_b32_e32 v84, 0, v117, vcc_lo
	s_delay_alu instid0(VALU_DEP_2) | instskip(NEXT) | instid1(VALU_DEP_2)
	v_cmp_ne_u32_e32 vcc_lo, 0, v11
	v_lshlrev_b32_e32 v59, 1, v84
	s_cbranch_vccz .LBB10_529
; %bb.527:                              ;   in Loop: Header=BB10_457 Depth=1
	v_mov_b32_e32 v17, v0
	s_and_saveexec_b32 s10, s7
	s_cbranch_execnz .LBB10_700
	s_branch .LBB10_776
.LBB10_528:                             ;   in Loop: Header=BB10_457 Depth=1
	s_mov_b32 s7, 0
	s_and_saveexec_b32 s10, s2
	s_cbranch_execnz .LBB10_777
	s_branch .LBB10_795
.LBB10_529:                             ;   in Loop: Header=BB10_457 Depth=1
	v_lshrrev_b32_e32 v62, 10, v84
	s_mov_b32 s10, exec_lo
	s_delay_alu instid0(VALU_DEP_1) | instskip(NEXT) | instid1(VALU_DEP_1)
	v_sub_nc_u32_e32 v61, v62, v56
	v_cmpx_lt_i32_e32 0, v61
	s_cbranch_execz .LBB10_661
; %bb.530:                              ;   in Loop: Header=BB10_457 Depth=1
	s_trap 2
	ds_load_b64 v[10:11], v0
	v_add_nc_u64_e32 v[42:43], v[118:119], v[96:97]
	v_add_nc_u64_e32 v[46:47], v[40:41], v[96:97]
	s_bitcmp0_b64 s[12:13], 0
	s_mov_b32 s23, 0
	s_cselect_b32 vcc_lo, -1, 0
	s_wait_dscnt 0x0
	v_add_nc_u64_e32 v[44:45], v[10:11], v[96:97]
	s_branch .LBB10_532
.LBB10_531:                             ;   in Loop: Header=BB10_532 Depth=2
	s_or_b32 exec_lo, exec_lo, s24
	v_dual_lshrrev_b32 v17, 16, v22 :: v_dual_lshrrev_b32 v22, 16, v35
	v_dual_lshrrev_b32 v32, 16, v32 :: v_dual_lshrrev_b32 v23, 16, v23
	v_lshrrev_b32_e32 v24, 16, v24
	s_delay_alu instid0(VALU_DEP_3)
	v_and_or_b32 v19, 0xffff0000, v19, v17
	v_lshrrev_b32_e32 v17, 16, v51
	v_and_or_b32 v18, 0xffff0000, v18, v22
	v_and_or_b32 v20, 0xffff0000, v20, v23
	;; [unrolled: 1-line block ×5, first 2 shown]
	v_dual_lshrrev_b32 v17, 16, v33 :: v_dual_lshrrev_b32 v22, 16, v34
	v_dual_lshrrev_b32 v23, 16, v48 :: v_dual_lshrrev_b32 v24, 16, v63
	v_lshrrev_b32_e32 v32, 16, v49
	s_delay_alu instid0(VALU_DEP_3)
	v_and_or_b32 v28, 0xffff0000, v28, v17
	v_lshrrev_b32_e32 v17, 16, v50
	v_and_or_b32 v29, 0xffff0000, v29, v22
	v_and_or_b32 v22, 0xffff0000, v36, v24
	;; [unrolled: 1-line block ×3, first 2 shown]
	v_dual_lshrrev_b32 v14, 16, v14 :: v_dual_lshrrev_b32 v32, 16, v25
	v_dual_lshrrev_b32 v15, 16, v15 :: v_dual_lshrrev_b32 v16, 16, v16
	v_and_or_b32 v23, 0xffff0000, v37, v23
	v_and_or_b32 v25, 0xffff0000, v39, v17
	v_sub_nc_u32_e32 v61, v61, v86
	v_and_or_b32 v11, 0xffff0000, v11, v14
	v_and_or_b32 v10, 0xffff0000, v10, v32
	;; [unrolled: 1-line block ×4, first 2 shown]
	s_clause 0x3
	global_store_b128 v[46:47], v[22:25], off th:TH_STORE_NT
	global_store_b128 v[46:47], v[26:29], off offset:512 th:TH_STORE_NT
	global_store_b128 v[46:47], v[18:21], off offset:1024 th:TH_STORE_NT
	;; [unrolled: 1-line block ×3, first 2 shown]
	v_add_nc_u64_e32 v[42:43], v[42:43], v[98:99]
	v_add_nc_u64_e32 v[44:45], v[44:45], v[98:99]
	v_cmp_gt_i32_e64 s7, 1, v61
	s_wait_xcnt 0x0
	v_add_nc_u64_e32 v[46:47], v[46:47], v[98:99]
	s_or_b32 s23, s7, s23
	s_delay_alu instid0(SALU_CYCLE_1)
	s_and_not1_b32 exec_lo, exec_lo, s23
	s_cbranch_execz .LBB10_660
.LBB10_532:                             ;   Parent Loop BB10_457 Depth=1
                                        ; =>  This Inner Loop Header: Depth=2
	global_load_b128 v[48:51], v[44:45], off th:TH_LOAD_NT
	s_clause 0x3
	global_load_b128 v[36:39], v[42:43], off th:TH_LOAD_NT
	global_load_b128 v[26:29], v[42:43], off offset:512 th:TH_LOAD_NT
	global_load_b128 v[18:21], v[42:43], off offset:1024 th:TH_LOAD_NT
	;; [unrolled: 1-line block ×3, first 2 shown]
	s_clause 0x2
	global_load_b128 v[32:35], v[44:45], off offset:512 th:TH_LOAD_NT
	global_load_b128 v[22:25], v[44:45], off offset:1024 th:TH_LOAD_NT
	;; [unrolled: 1-line block ×3, first 2 shown]
	s_wait_loadcnt 0x7
	v_lshlrev_b32_e32 v63, 16, v48
	s_wait_loadcnt 0x6
	s_delay_alu instid0(VALU_DEP_1) | instskip(NEXT) | instid1(VALU_DEP_1)
	v_dual_max_num_f32 v63, v63, v63 :: v_dual_lshlrev_b32 v72, 16, v36
	v_max_num_f32_e32 v72, v72, v72
	s_delay_alu instid0(VALU_DEP_1) | instskip(NEXT) | instid1(VALU_DEP_1)
	v_dual_min_num_f32 v73, v72, v63 :: v_dual_max_num_f32 v63, v72, v63
	v_cndmask_b32_e32 v72, v63, v73, vcc_lo
	s_delay_alu instid0(VALU_DEP_1) | instskip(NEXT) | instid1(VALU_DEP_1)
	v_and_b32_e32 v63, 0x7f800000, v72
	v_cmp_ne_u32_e64 s7, 0x7f800000, v63
                                        ; implicit-def: $vgpr63
	s_wait_xcnt 0x0
	s_and_saveexec_b32 s24, s7
	s_delay_alu instid0(SALU_CYCLE_1)
	s_xor_b32 s7, exec_lo, s24
; %bb.533:                              ;   in Loop: Header=BB10_532 Depth=2
	v_bfe_u32 v63, v72, 16, 1
	s_delay_alu instid0(VALU_DEP_1)
	v_add3_u32 v63, v72, v63, 0x7fff
                                        ; implicit-def: $vgpr72
; %bb.534:                              ;   in Loop: Header=BB10_532 Depth=2
	s_and_not1_saveexec_b32 s24, s7
; %bb.535:                              ;   in Loop: Header=BB10_532 Depth=2
	v_and_b32_e32 v63, 0xffff, v72
	v_or_b32_e32 v73, 0x10000, v72
	s_delay_alu instid0(VALU_DEP_2) | instskip(NEXT) | instid1(VALU_DEP_1)
	v_cmp_eq_u32_e64 s7, 0, v63
	v_cndmask_b32_e64 v63, v73, v72, s7
; %bb.536:                              ;   in Loop: Header=BB10_532 Depth=2
	s_or_b32 exec_lo, exec_lo, s24
	v_and_b32_e32 v48, 0xffff0000, v48
	v_and_b32_e32 v36, 0xffff0000, v36
	s_delay_alu instid0(VALU_DEP_2) | instskip(NEXT) | instid1(VALU_DEP_2)
	v_max_num_f32_e32 v48, v48, v48
	v_max_num_f32_e32 v36, v36, v36
	s_delay_alu instid0(VALU_DEP_1) | instskip(NEXT) | instid1(VALU_DEP_1)
	v_dual_min_num_f32 v72, v36, v48 :: v_dual_max_num_f32 v36, v36, v48
	v_cndmask_b32_e32 v48, v36, v72, vcc_lo
	s_delay_alu instid0(VALU_DEP_1) | instskip(NEXT) | instid1(VALU_DEP_1)
	v_and_b32_e32 v36, 0x7f800000, v48
	v_cmp_ne_u32_e64 s7, 0x7f800000, v36
                                        ; implicit-def: $vgpr36
	s_and_saveexec_b32 s24, s7
	s_delay_alu instid0(SALU_CYCLE_1)
	s_xor_b32 s7, exec_lo, s24
; %bb.537:                              ;   in Loop: Header=BB10_532 Depth=2
	v_bfe_u32 v36, v48, 16, 1
	s_delay_alu instid0(VALU_DEP_1)
	v_add3_u32 v36, v48, v36, 0x7fff
                                        ; implicit-def: $vgpr48
; %bb.538:                              ;   in Loop: Header=BB10_532 Depth=2
	s_and_not1_saveexec_b32 s24, s7
; %bb.539:                              ;   in Loop: Header=BB10_532 Depth=2
	v_and_b32_e32 v36, 0xffff, v48
	v_or_b32_e32 v72, 0x10000, v48
	s_delay_alu instid0(VALU_DEP_2) | instskip(NEXT) | instid1(VALU_DEP_1)
	v_cmp_eq_u32_e64 s7, 0, v36
	v_cndmask_b32_e64 v36, v72, v48, s7
; %bb.540:                              ;   in Loop: Header=BB10_532 Depth=2
	s_or_b32 exec_lo, exec_lo, s24
	v_lshlrev_b32_e32 v72, 16, v37
	s_delay_alu instid0(VALU_DEP_1) | instskip(NEXT) | instid1(VALU_DEP_1)
	v_dual_lshlrev_b32 v48, 16, v49 :: v_dual_max_num_f32 v72, v72, v72
	v_max_num_f32_e32 v48, v48, v48
	s_delay_alu instid0(VALU_DEP_1) | instskip(NEXT) | instid1(VALU_DEP_1)
	v_dual_min_num_f32 v73, v72, v48 :: v_dual_max_num_f32 v48, v72, v48
	v_cndmask_b32_e32 v72, v48, v73, vcc_lo
	s_delay_alu instid0(VALU_DEP_1) | instskip(NEXT) | instid1(VALU_DEP_1)
	v_and_b32_e32 v48, 0x7f800000, v72
	v_cmp_ne_u32_e64 s7, 0x7f800000, v48
                                        ; implicit-def: $vgpr48
	s_and_saveexec_b32 s24, s7
	s_delay_alu instid0(SALU_CYCLE_1)
	s_xor_b32 s7, exec_lo, s24
; %bb.541:                              ;   in Loop: Header=BB10_532 Depth=2
	v_bfe_u32 v48, v72, 16, 1
	s_delay_alu instid0(VALU_DEP_1)
	v_add3_u32 v48, v72, v48, 0x7fff
                                        ; implicit-def: $vgpr72
; %bb.542:                              ;   in Loop: Header=BB10_532 Depth=2
	s_and_not1_saveexec_b32 s24, s7
; %bb.543:                              ;   in Loop: Header=BB10_532 Depth=2
	v_and_b32_e32 v48, 0xffff, v72
	v_or_b32_e32 v73, 0x10000, v72
	s_delay_alu instid0(VALU_DEP_2) | instskip(NEXT) | instid1(VALU_DEP_1)
	v_cmp_eq_u32_e64 s7, 0, v48
	v_cndmask_b32_e64 v48, v73, v72, s7
; %bb.544:                              ;   in Loop: Header=BB10_532 Depth=2
	s_or_b32 exec_lo, exec_lo, s24
	v_and_b32_e32 v49, 0xffff0000, v49
	v_and_b32_e32 v37, 0xffff0000, v37
	s_delay_alu instid0(VALU_DEP_2) | instskip(NEXT) | instid1(VALU_DEP_2)
	v_max_num_f32_e32 v49, v49, v49
	v_max_num_f32_e32 v37, v37, v37
	s_delay_alu instid0(VALU_DEP_1) | instskip(NEXT) | instid1(VALU_DEP_1)
	v_dual_min_num_f32 v72, v37, v49 :: v_dual_max_num_f32 v37, v37, v49
	v_cndmask_b32_e32 v49, v37, v72, vcc_lo
	s_delay_alu instid0(VALU_DEP_1) | instskip(NEXT) | instid1(VALU_DEP_1)
	v_and_b32_e32 v37, 0x7f800000, v49
	v_cmp_ne_u32_e64 s7, 0x7f800000, v37
                                        ; implicit-def: $vgpr37
	s_and_saveexec_b32 s24, s7
	s_delay_alu instid0(SALU_CYCLE_1)
	s_xor_b32 s7, exec_lo, s24
; %bb.545:                              ;   in Loop: Header=BB10_532 Depth=2
	v_bfe_u32 v37, v49, 16, 1
	s_delay_alu instid0(VALU_DEP_1)
	v_add3_u32 v37, v49, v37, 0x7fff
                                        ; implicit-def: $vgpr49
; %bb.546:                              ;   in Loop: Header=BB10_532 Depth=2
	s_and_not1_saveexec_b32 s24, s7
; %bb.547:                              ;   in Loop: Header=BB10_532 Depth=2
	v_and_b32_e32 v37, 0xffff, v49
	v_or_b32_e32 v72, 0x10000, v49
	s_delay_alu instid0(VALU_DEP_2) | instskip(NEXT) | instid1(VALU_DEP_1)
	v_cmp_eq_u32_e64 s7, 0, v37
	v_cndmask_b32_e64 v37, v72, v49, s7
; %bb.548:                              ;   in Loop: Header=BB10_532 Depth=2
	s_or_b32 exec_lo, exec_lo, s24
	v_lshlrev_b32_e32 v72, 16, v38
	s_delay_alu instid0(VALU_DEP_1) | instskip(NEXT) | instid1(VALU_DEP_1)
	v_dual_max_num_f32 v72, v72, v72 :: v_dual_lshlrev_b32 v49, 16, v50
	v_max_num_f32_e32 v49, v49, v49
	s_delay_alu instid0(VALU_DEP_1) | instskip(NEXT) | instid1(VALU_DEP_1)
	v_dual_min_num_f32 v73, v72, v49 :: v_dual_max_num_f32 v49, v72, v49
	v_cndmask_b32_e32 v72, v49, v73, vcc_lo
	s_delay_alu instid0(VALU_DEP_1) | instskip(NEXT) | instid1(VALU_DEP_1)
	v_and_b32_e32 v49, 0x7f800000, v72
	v_cmp_ne_u32_e64 s7, 0x7f800000, v49
                                        ; implicit-def: $vgpr49
	s_and_saveexec_b32 s24, s7
	s_delay_alu instid0(SALU_CYCLE_1)
	s_xor_b32 s7, exec_lo, s24
; %bb.549:                              ;   in Loop: Header=BB10_532 Depth=2
	v_bfe_u32 v49, v72, 16, 1
	s_delay_alu instid0(VALU_DEP_1)
	v_add3_u32 v49, v72, v49, 0x7fff
                                        ; implicit-def: $vgpr72
; %bb.550:                              ;   in Loop: Header=BB10_532 Depth=2
	s_and_not1_saveexec_b32 s24, s7
; %bb.551:                              ;   in Loop: Header=BB10_532 Depth=2
	v_and_b32_e32 v49, 0xffff, v72
	v_or_b32_e32 v73, 0x10000, v72
	s_delay_alu instid0(VALU_DEP_2) | instskip(NEXT) | instid1(VALU_DEP_1)
	v_cmp_eq_u32_e64 s7, 0, v49
	v_cndmask_b32_e64 v49, v73, v72, s7
; %bb.552:                              ;   in Loop: Header=BB10_532 Depth=2
	s_or_b32 exec_lo, exec_lo, s24
	v_and_b32_e32 v50, 0xffff0000, v50
	v_and_b32_e32 v38, 0xffff0000, v38
	s_delay_alu instid0(VALU_DEP_2) | instskip(NEXT) | instid1(VALU_DEP_2)
	v_max_num_f32_e32 v50, v50, v50
	v_max_num_f32_e32 v38, v38, v38
	s_delay_alu instid0(VALU_DEP_1) | instskip(NEXT) | instid1(VALU_DEP_1)
	v_dual_min_num_f32 v72, v38, v50 :: v_dual_max_num_f32 v38, v38, v50
	v_cndmask_b32_e32 v50, v38, v72, vcc_lo
	s_delay_alu instid0(VALU_DEP_1) | instskip(NEXT) | instid1(VALU_DEP_1)
	v_and_b32_e32 v38, 0x7f800000, v50
	v_cmp_ne_u32_e64 s7, 0x7f800000, v38
                                        ; implicit-def: $vgpr38
	s_and_saveexec_b32 s24, s7
	s_delay_alu instid0(SALU_CYCLE_1)
	s_xor_b32 s7, exec_lo, s24
; %bb.553:                              ;   in Loop: Header=BB10_532 Depth=2
	v_bfe_u32 v38, v50, 16, 1
	s_delay_alu instid0(VALU_DEP_1)
	v_add3_u32 v38, v50, v38, 0x7fff
                                        ; implicit-def: $vgpr50
; %bb.554:                              ;   in Loop: Header=BB10_532 Depth=2
	s_and_not1_saveexec_b32 s24, s7
; %bb.555:                              ;   in Loop: Header=BB10_532 Depth=2
	v_and_b32_e32 v38, 0xffff, v50
	v_or_b32_e32 v72, 0x10000, v50
	s_delay_alu instid0(VALU_DEP_2) | instskip(NEXT) | instid1(VALU_DEP_1)
	v_cmp_eq_u32_e64 s7, 0, v38
	v_cndmask_b32_e64 v38, v72, v50, s7
; %bb.556:                              ;   in Loop: Header=BB10_532 Depth=2
	s_or_b32 exec_lo, exec_lo, s24
	v_lshlrev_b32_e32 v72, 16, v39
	s_delay_alu instid0(VALU_DEP_1) | instskip(NEXT) | instid1(VALU_DEP_1)
	v_dual_lshlrev_b32 v50, 16, v51 :: v_dual_max_num_f32 v72, v72, v72
	v_max_num_f32_e32 v50, v50, v50
	s_delay_alu instid0(VALU_DEP_1) | instskip(NEXT) | instid1(VALU_DEP_1)
	v_dual_min_num_f32 v73, v72, v50 :: v_dual_max_num_f32 v50, v72, v50
	v_cndmask_b32_e32 v72, v50, v73, vcc_lo
	s_delay_alu instid0(VALU_DEP_1) | instskip(NEXT) | instid1(VALU_DEP_1)
	v_and_b32_e32 v50, 0x7f800000, v72
	v_cmp_ne_u32_e64 s7, 0x7f800000, v50
                                        ; implicit-def: $vgpr50
	s_and_saveexec_b32 s24, s7
	s_delay_alu instid0(SALU_CYCLE_1)
	s_xor_b32 s7, exec_lo, s24
; %bb.557:                              ;   in Loop: Header=BB10_532 Depth=2
	v_bfe_u32 v50, v72, 16, 1
	s_delay_alu instid0(VALU_DEP_1)
	v_add3_u32 v50, v72, v50, 0x7fff
                                        ; implicit-def: $vgpr72
; %bb.558:                              ;   in Loop: Header=BB10_532 Depth=2
	s_and_not1_saveexec_b32 s24, s7
; %bb.559:                              ;   in Loop: Header=BB10_532 Depth=2
	v_and_b32_e32 v50, 0xffff, v72
	v_or_b32_e32 v73, 0x10000, v72
	s_delay_alu instid0(VALU_DEP_2) | instskip(NEXT) | instid1(VALU_DEP_1)
	v_cmp_eq_u32_e64 s7, 0, v50
	v_cndmask_b32_e64 v50, v73, v72, s7
; %bb.560:                              ;   in Loop: Header=BB10_532 Depth=2
	s_or_b32 exec_lo, exec_lo, s24
	v_and_b32_e32 v51, 0xffff0000, v51
	v_and_b32_e32 v39, 0xffff0000, v39
	s_delay_alu instid0(VALU_DEP_2) | instskip(NEXT) | instid1(VALU_DEP_2)
	v_max_num_f32_e32 v51, v51, v51
	v_max_num_f32_e32 v39, v39, v39
	s_delay_alu instid0(VALU_DEP_1) | instskip(NEXT) | instid1(VALU_DEP_1)
	v_dual_min_num_f32 v72, v39, v51 :: v_dual_max_num_f32 v39, v39, v51
	v_cndmask_b32_e32 v51, v39, v72, vcc_lo
	s_delay_alu instid0(VALU_DEP_1) | instskip(NEXT) | instid1(VALU_DEP_1)
	v_and_b32_e32 v39, 0x7f800000, v51
	v_cmp_ne_u32_e64 s7, 0x7f800000, v39
                                        ; implicit-def: $vgpr39
	s_and_saveexec_b32 s24, s7
	s_delay_alu instid0(SALU_CYCLE_1)
	s_xor_b32 s7, exec_lo, s24
; %bb.561:                              ;   in Loop: Header=BB10_532 Depth=2
	v_bfe_u32 v39, v51, 16, 1
	s_delay_alu instid0(VALU_DEP_1)
	v_add3_u32 v39, v51, v39, 0x7fff
                                        ; implicit-def: $vgpr51
; %bb.562:                              ;   in Loop: Header=BB10_532 Depth=2
	s_and_not1_saveexec_b32 s24, s7
; %bb.563:                              ;   in Loop: Header=BB10_532 Depth=2
	v_and_b32_e32 v39, 0xffff, v51
	v_or_b32_e32 v72, 0x10000, v51
	s_delay_alu instid0(VALU_DEP_2) | instskip(NEXT) | instid1(VALU_DEP_1)
	v_cmp_eq_u32_e64 s7, 0, v39
	v_cndmask_b32_e64 v39, v72, v51, s7
; %bb.564:                              ;   in Loop: Header=BB10_532 Depth=2
	s_or_b32 exec_lo, exec_lo, s24
	s_wait_loadcnt 0x2
	v_dual_lshlrev_b32 v51, 16, v32 :: v_dual_lshlrev_b32 v72, 16, v26
	s_delay_alu instid0(VALU_DEP_1) | instskip(NEXT) | instid1(VALU_DEP_1)
	v_dual_max_num_f32 v51, v51, v51 :: v_dual_max_num_f32 v72, v72, v72
	v_dual_min_num_f32 v73, v72, v51 :: v_dual_max_num_f32 v51, v72, v51
	s_delay_alu instid0(VALU_DEP_1) | instskip(NEXT) | instid1(VALU_DEP_1)
	v_cndmask_b32_e32 v72, v51, v73, vcc_lo
	v_and_b32_e32 v51, 0x7f800000, v72
	s_delay_alu instid0(VALU_DEP_1) | instskip(SKIP_1) | instid1(SALU_CYCLE_1)
	v_cmp_ne_u32_e64 s7, 0x7f800000, v51
                                        ; implicit-def: $vgpr51
	s_and_saveexec_b32 s24, s7
	s_xor_b32 s7, exec_lo, s24
; %bb.565:                              ;   in Loop: Header=BB10_532 Depth=2
	v_bfe_u32 v51, v72, 16, 1
	s_delay_alu instid0(VALU_DEP_1)
	v_add3_u32 v51, v72, v51, 0x7fff
                                        ; implicit-def: $vgpr72
; %bb.566:                              ;   in Loop: Header=BB10_532 Depth=2
	s_and_not1_saveexec_b32 s24, s7
; %bb.567:                              ;   in Loop: Header=BB10_532 Depth=2
	v_and_b32_e32 v51, 0xffff, v72
	v_or_b32_e32 v73, 0x10000, v72
	s_delay_alu instid0(VALU_DEP_2) | instskip(NEXT) | instid1(VALU_DEP_1)
	v_cmp_eq_u32_e64 s7, 0, v51
	v_cndmask_b32_e64 v51, v73, v72, s7
; %bb.568:                              ;   in Loop: Header=BB10_532 Depth=2
	s_or_b32 exec_lo, exec_lo, s24
	v_and_b32_e32 v32, 0xffff0000, v32
	v_and_b32_e32 v26, 0xffff0000, v26
	s_delay_alu instid0(VALU_DEP_1) | instskip(NEXT) | instid1(VALU_DEP_1)
	v_dual_max_num_f32 v32, v32, v32 :: v_dual_max_num_f32 v26, v26, v26
	v_dual_min_num_f32 v72, v26, v32 :: v_dual_max_num_f32 v26, v26, v32
	s_delay_alu instid0(VALU_DEP_1) | instskip(NEXT) | instid1(VALU_DEP_1)
	v_cndmask_b32_e32 v32, v26, v72, vcc_lo
	v_and_b32_e32 v26, 0x7f800000, v32
	s_delay_alu instid0(VALU_DEP_1) | instskip(SKIP_1) | instid1(SALU_CYCLE_1)
	v_cmp_ne_u32_e64 s7, 0x7f800000, v26
                                        ; implicit-def: $vgpr26
	s_and_saveexec_b32 s24, s7
	s_xor_b32 s7, exec_lo, s24
; %bb.569:                              ;   in Loop: Header=BB10_532 Depth=2
	v_bfe_u32 v26, v32, 16, 1
	s_delay_alu instid0(VALU_DEP_1)
	v_add3_u32 v26, v32, v26, 0x7fff
                                        ; implicit-def: $vgpr32
; %bb.570:                              ;   in Loop: Header=BB10_532 Depth=2
	s_and_not1_saveexec_b32 s24, s7
; %bb.571:                              ;   in Loop: Header=BB10_532 Depth=2
	v_and_b32_e32 v26, 0xffff, v32
	v_or_b32_e32 v72, 0x10000, v32
	s_delay_alu instid0(VALU_DEP_2) | instskip(NEXT) | instid1(VALU_DEP_1)
	v_cmp_eq_u32_e64 s7, 0, v26
	v_cndmask_b32_e64 v26, v72, v32, s7
; %bb.572:                              ;   in Loop: Header=BB10_532 Depth=2
	s_or_b32 exec_lo, exec_lo, s24
	v_dual_lshlrev_b32 v32, 16, v33 :: v_dual_lshlrev_b32 v72, 16, v27
	s_delay_alu instid0(VALU_DEP_1) | instskip(NEXT) | instid1(VALU_DEP_2)
	v_max_num_f32_e32 v32, v32, v32
	v_max_num_f32_e32 v72, v72, v72
	s_delay_alu instid0(VALU_DEP_1) | instskip(NEXT) | instid1(VALU_DEP_1)
	v_dual_min_num_f32 v73, v72, v32 :: v_dual_max_num_f32 v32, v72, v32
	v_cndmask_b32_e32 v72, v32, v73, vcc_lo
	s_delay_alu instid0(VALU_DEP_1) | instskip(NEXT) | instid1(VALU_DEP_1)
	v_and_b32_e32 v32, 0x7f800000, v72
	v_cmp_ne_u32_e64 s7, 0x7f800000, v32
                                        ; implicit-def: $vgpr32
	s_and_saveexec_b32 s24, s7
	s_delay_alu instid0(SALU_CYCLE_1)
	s_xor_b32 s7, exec_lo, s24
; %bb.573:                              ;   in Loop: Header=BB10_532 Depth=2
	v_bfe_u32 v32, v72, 16, 1
	s_delay_alu instid0(VALU_DEP_1)
	v_add3_u32 v32, v72, v32, 0x7fff
                                        ; implicit-def: $vgpr72
; %bb.574:                              ;   in Loop: Header=BB10_532 Depth=2
	s_and_not1_saveexec_b32 s24, s7
; %bb.575:                              ;   in Loop: Header=BB10_532 Depth=2
	v_and_b32_e32 v32, 0xffff, v72
	v_or_b32_e32 v73, 0x10000, v72
	s_delay_alu instid0(VALU_DEP_2) | instskip(NEXT) | instid1(VALU_DEP_1)
	v_cmp_eq_u32_e64 s7, 0, v32
	v_cndmask_b32_e64 v32, v73, v72, s7
; %bb.576:                              ;   in Loop: Header=BB10_532 Depth=2
	s_or_b32 exec_lo, exec_lo, s24
	v_and_b32_e32 v33, 0xffff0000, v33
	v_and_b32_e32 v27, 0xffff0000, v27
	s_delay_alu instid0(VALU_DEP_1) | instskip(NEXT) | instid1(VALU_DEP_1)
	v_dual_max_num_f32 v33, v33, v33 :: v_dual_max_num_f32 v27, v27, v27
	v_dual_min_num_f32 v72, v27, v33 :: v_dual_max_num_f32 v27, v27, v33
	s_delay_alu instid0(VALU_DEP_1) | instskip(NEXT) | instid1(VALU_DEP_1)
	v_cndmask_b32_e32 v33, v27, v72, vcc_lo
	v_and_b32_e32 v27, 0x7f800000, v33
	s_delay_alu instid0(VALU_DEP_1) | instskip(SKIP_1) | instid1(SALU_CYCLE_1)
	v_cmp_ne_u32_e64 s7, 0x7f800000, v27
                                        ; implicit-def: $vgpr27
	s_and_saveexec_b32 s24, s7
	s_xor_b32 s7, exec_lo, s24
; %bb.577:                              ;   in Loop: Header=BB10_532 Depth=2
	v_bfe_u32 v27, v33, 16, 1
	s_delay_alu instid0(VALU_DEP_1)
	v_add3_u32 v27, v33, v27, 0x7fff
                                        ; implicit-def: $vgpr33
; %bb.578:                              ;   in Loop: Header=BB10_532 Depth=2
	s_and_not1_saveexec_b32 s24, s7
; %bb.579:                              ;   in Loop: Header=BB10_532 Depth=2
	v_and_b32_e32 v27, 0xffff, v33
	v_or_b32_e32 v72, 0x10000, v33
	s_delay_alu instid0(VALU_DEP_2) | instskip(NEXT) | instid1(VALU_DEP_1)
	v_cmp_eq_u32_e64 s7, 0, v27
	v_cndmask_b32_e64 v27, v72, v33, s7
; %bb.580:                              ;   in Loop: Header=BB10_532 Depth=2
	s_or_b32 exec_lo, exec_lo, s24
	v_dual_lshlrev_b32 v33, 16, v34 :: v_dual_lshlrev_b32 v72, 16, v28
	s_delay_alu instid0(VALU_DEP_1) | instskip(NEXT) | instid1(VALU_DEP_1)
	v_dual_max_num_f32 v33, v33, v33 :: v_dual_max_num_f32 v72, v72, v72
	v_dual_min_num_f32 v73, v72, v33 :: v_dual_max_num_f32 v33, v72, v33
	s_delay_alu instid0(VALU_DEP_1) | instskip(NEXT) | instid1(VALU_DEP_1)
	v_cndmask_b32_e32 v72, v33, v73, vcc_lo
	v_and_b32_e32 v33, 0x7f800000, v72
	s_delay_alu instid0(VALU_DEP_1) | instskip(SKIP_1) | instid1(SALU_CYCLE_1)
	v_cmp_ne_u32_e64 s7, 0x7f800000, v33
                                        ; implicit-def: $vgpr33
	s_and_saveexec_b32 s24, s7
	s_xor_b32 s7, exec_lo, s24
; %bb.581:                              ;   in Loop: Header=BB10_532 Depth=2
	v_bfe_u32 v33, v72, 16, 1
	s_delay_alu instid0(VALU_DEP_1)
	v_add3_u32 v33, v72, v33, 0x7fff
                                        ; implicit-def: $vgpr72
; %bb.582:                              ;   in Loop: Header=BB10_532 Depth=2
	s_and_not1_saveexec_b32 s24, s7
; %bb.583:                              ;   in Loop: Header=BB10_532 Depth=2
	v_and_b32_e32 v33, 0xffff, v72
	v_or_b32_e32 v73, 0x10000, v72
	s_delay_alu instid0(VALU_DEP_2) | instskip(NEXT) | instid1(VALU_DEP_1)
	v_cmp_eq_u32_e64 s7, 0, v33
	v_cndmask_b32_e64 v33, v73, v72, s7
; %bb.584:                              ;   in Loop: Header=BB10_532 Depth=2
	s_or_b32 exec_lo, exec_lo, s24
	v_and_b32_e32 v34, 0xffff0000, v34
	v_and_b32_e32 v28, 0xffff0000, v28
	s_delay_alu instid0(VALU_DEP_1) | instskip(NEXT) | instid1(VALU_DEP_1)
	v_dual_max_num_f32 v34, v34, v34 :: v_dual_max_num_f32 v28, v28, v28
	v_dual_min_num_f32 v72, v28, v34 :: v_dual_max_num_f32 v28, v28, v34
	s_delay_alu instid0(VALU_DEP_1) | instskip(NEXT) | instid1(VALU_DEP_1)
	v_cndmask_b32_e32 v34, v28, v72, vcc_lo
	v_and_b32_e32 v28, 0x7f800000, v34
	s_delay_alu instid0(VALU_DEP_1) | instskip(SKIP_1) | instid1(SALU_CYCLE_1)
	v_cmp_ne_u32_e64 s7, 0x7f800000, v28
                                        ; implicit-def: $vgpr28
	s_and_saveexec_b32 s24, s7
	s_xor_b32 s7, exec_lo, s24
; %bb.585:                              ;   in Loop: Header=BB10_532 Depth=2
	v_bfe_u32 v28, v34, 16, 1
	s_delay_alu instid0(VALU_DEP_1)
	v_add3_u32 v28, v34, v28, 0x7fff
                                        ; implicit-def: $vgpr34
; %bb.586:                              ;   in Loop: Header=BB10_532 Depth=2
	s_and_not1_saveexec_b32 s24, s7
; %bb.587:                              ;   in Loop: Header=BB10_532 Depth=2
	v_and_b32_e32 v28, 0xffff, v34
	v_or_b32_e32 v72, 0x10000, v34
	s_delay_alu instid0(VALU_DEP_2) | instskip(NEXT) | instid1(VALU_DEP_1)
	v_cmp_eq_u32_e64 s7, 0, v28
	v_cndmask_b32_e64 v28, v72, v34, s7
; %bb.588:                              ;   in Loop: Header=BB10_532 Depth=2
	s_or_b32 exec_lo, exec_lo, s24
	v_dual_lshlrev_b32 v34, 16, v35 :: v_dual_lshlrev_b32 v72, 16, v29
	s_delay_alu instid0(VALU_DEP_1) | instskip(NEXT) | instid1(VALU_DEP_1)
	v_dual_max_num_f32 v34, v34, v34 :: v_dual_max_num_f32 v72, v72, v72
	v_dual_min_num_f32 v73, v72, v34 :: v_dual_max_num_f32 v34, v72, v34
	s_delay_alu instid0(VALU_DEP_1) | instskip(NEXT) | instid1(VALU_DEP_1)
	v_cndmask_b32_e32 v72, v34, v73, vcc_lo
	v_and_b32_e32 v34, 0x7f800000, v72
	s_delay_alu instid0(VALU_DEP_1) | instskip(SKIP_1) | instid1(SALU_CYCLE_1)
	v_cmp_ne_u32_e64 s7, 0x7f800000, v34
                                        ; implicit-def: $vgpr34
	s_and_saveexec_b32 s24, s7
	s_xor_b32 s7, exec_lo, s24
; %bb.589:                              ;   in Loop: Header=BB10_532 Depth=2
	v_bfe_u32 v34, v72, 16, 1
	s_delay_alu instid0(VALU_DEP_1)
	v_add3_u32 v34, v72, v34, 0x7fff
                                        ; implicit-def: $vgpr72
; %bb.590:                              ;   in Loop: Header=BB10_532 Depth=2
	s_and_not1_saveexec_b32 s24, s7
; %bb.591:                              ;   in Loop: Header=BB10_532 Depth=2
	v_and_b32_e32 v34, 0xffff, v72
	v_or_b32_e32 v73, 0x10000, v72
	s_delay_alu instid0(VALU_DEP_2) | instskip(NEXT) | instid1(VALU_DEP_1)
	v_cmp_eq_u32_e64 s7, 0, v34
	v_cndmask_b32_e64 v34, v73, v72, s7
; %bb.592:                              ;   in Loop: Header=BB10_532 Depth=2
	s_or_b32 exec_lo, exec_lo, s24
	v_and_b32_e32 v35, 0xffff0000, v35
	v_and_b32_e32 v29, 0xffff0000, v29
	s_delay_alu instid0(VALU_DEP_1) | instskip(NEXT) | instid1(VALU_DEP_1)
	v_dual_max_num_f32 v35, v35, v35 :: v_dual_max_num_f32 v29, v29, v29
	v_dual_min_num_f32 v72, v29, v35 :: v_dual_max_num_f32 v29, v29, v35
	s_delay_alu instid0(VALU_DEP_1) | instskip(NEXT) | instid1(VALU_DEP_1)
	v_cndmask_b32_e32 v35, v29, v72, vcc_lo
	v_and_b32_e32 v29, 0x7f800000, v35
	s_delay_alu instid0(VALU_DEP_1) | instskip(SKIP_1) | instid1(SALU_CYCLE_1)
	v_cmp_ne_u32_e64 s7, 0x7f800000, v29
                                        ; implicit-def: $vgpr29
	s_and_saveexec_b32 s24, s7
	s_xor_b32 s7, exec_lo, s24
; %bb.593:                              ;   in Loop: Header=BB10_532 Depth=2
	v_bfe_u32 v29, v35, 16, 1
	s_delay_alu instid0(VALU_DEP_1)
	v_add3_u32 v29, v35, v29, 0x7fff
                                        ; implicit-def: $vgpr35
; %bb.594:                              ;   in Loop: Header=BB10_532 Depth=2
	s_and_not1_saveexec_b32 s24, s7
; %bb.595:                              ;   in Loop: Header=BB10_532 Depth=2
	v_and_b32_e32 v29, 0xffff, v35
	v_or_b32_e32 v72, 0x10000, v35
	s_delay_alu instid0(VALU_DEP_2) | instskip(NEXT) | instid1(VALU_DEP_1)
	v_cmp_eq_u32_e64 s7, 0, v29
	v_cndmask_b32_e64 v29, v72, v35, s7
; %bb.596:                              ;   in Loop: Header=BB10_532 Depth=2
	s_or_b32 exec_lo, exec_lo, s24
	v_lshlrev_b32_e32 v72, 16, v18
	s_wait_loadcnt 0x1
	s_delay_alu instid0(VALU_DEP_1) | instskip(NEXT) | instid1(VALU_DEP_1)
	v_dual_max_num_f32 v72, v72, v72 :: v_dual_lshlrev_b32 v35, 16, v22
	v_max_num_f32_e32 v35, v35, v35
	s_delay_alu instid0(VALU_DEP_1) | instskip(NEXT) | instid1(VALU_DEP_1)
	v_dual_min_num_f32 v73, v72, v35 :: v_dual_max_num_f32 v35, v72, v35
	v_cndmask_b32_e32 v72, v35, v73, vcc_lo
	s_delay_alu instid0(VALU_DEP_1) | instskip(NEXT) | instid1(VALU_DEP_1)
	v_and_b32_e32 v35, 0x7f800000, v72
	v_cmp_ne_u32_e64 s7, 0x7f800000, v35
                                        ; implicit-def: $vgpr35
	s_and_saveexec_b32 s24, s7
	s_delay_alu instid0(SALU_CYCLE_1)
	s_xor_b32 s7, exec_lo, s24
; %bb.597:                              ;   in Loop: Header=BB10_532 Depth=2
	v_bfe_u32 v35, v72, 16, 1
	s_delay_alu instid0(VALU_DEP_1)
	v_add3_u32 v35, v72, v35, 0x7fff
                                        ; implicit-def: $vgpr72
; %bb.598:                              ;   in Loop: Header=BB10_532 Depth=2
	s_and_not1_saveexec_b32 s24, s7
; %bb.599:                              ;   in Loop: Header=BB10_532 Depth=2
	v_and_b32_e32 v35, 0xffff, v72
	v_or_b32_e32 v73, 0x10000, v72
	s_delay_alu instid0(VALU_DEP_2) | instskip(NEXT) | instid1(VALU_DEP_1)
	v_cmp_eq_u32_e64 s7, 0, v35
	v_cndmask_b32_e64 v35, v73, v72, s7
; %bb.600:                              ;   in Loop: Header=BB10_532 Depth=2
	s_or_b32 exec_lo, exec_lo, s24
	v_and_b32_e32 v22, 0xffff0000, v22
	v_and_b32_e32 v18, 0xffff0000, v18
	s_delay_alu instid0(VALU_DEP_2) | instskip(NEXT) | instid1(VALU_DEP_2)
	v_max_num_f32_e32 v22, v22, v22
	v_max_num_f32_e32 v18, v18, v18
	s_delay_alu instid0(VALU_DEP_1) | instskip(NEXT) | instid1(VALU_DEP_1)
	v_dual_min_num_f32 v72, v18, v22 :: v_dual_max_num_f32 v18, v18, v22
	v_cndmask_b32_e32 v22, v18, v72, vcc_lo
	s_delay_alu instid0(VALU_DEP_1) | instskip(NEXT) | instid1(VALU_DEP_1)
	v_and_b32_e32 v18, 0x7f800000, v22
	v_cmp_ne_u32_e64 s7, 0x7f800000, v18
                                        ; implicit-def: $vgpr18
	s_and_saveexec_b32 s24, s7
	s_delay_alu instid0(SALU_CYCLE_1)
	s_xor_b32 s7, exec_lo, s24
; %bb.601:                              ;   in Loop: Header=BB10_532 Depth=2
	v_bfe_u32 v18, v22, 16, 1
	s_delay_alu instid0(VALU_DEP_1)
	v_add3_u32 v18, v22, v18, 0x7fff
                                        ; implicit-def: $vgpr22
; %bb.602:                              ;   in Loop: Header=BB10_532 Depth=2
	s_and_not1_saveexec_b32 s24, s7
; %bb.603:                              ;   in Loop: Header=BB10_532 Depth=2
	v_and_b32_e32 v18, 0xffff, v22
	v_or_b32_e32 v72, 0x10000, v22
	s_delay_alu instid0(VALU_DEP_2) | instskip(NEXT) | instid1(VALU_DEP_1)
	v_cmp_eq_u32_e64 s7, 0, v18
	v_cndmask_b32_e64 v18, v72, v22, s7
; %bb.604:                              ;   in Loop: Header=BB10_532 Depth=2
	s_or_b32 exec_lo, exec_lo, s24
	v_lshlrev_b32_e32 v72, 16, v19
	s_delay_alu instid0(VALU_DEP_1) | instskip(NEXT) | instid1(VALU_DEP_1)
	v_dual_lshlrev_b32 v22, 16, v23 :: v_dual_max_num_f32 v72, v72, v72
	v_max_num_f32_e32 v22, v22, v22
	s_delay_alu instid0(VALU_DEP_1) | instskip(NEXT) | instid1(VALU_DEP_1)
	v_dual_min_num_f32 v73, v72, v22 :: v_dual_max_num_f32 v22, v72, v22
	v_cndmask_b32_e32 v72, v22, v73, vcc_lo
	s_delay_alu instid0(VALU_DEP_1) | instskip(NEXT) | instid1(VALU_DEP_1)
	v_and_b32_e32 v22, 0x7f800000, v72
	v_cmp_ne_u32_e64 s7, 0x7f800000, v22
                                        ; implicit-def: $vgpr22
	s_and_saveexec_b32 s24, s7
	s_delay_alu instid0(SALU_CYCLE_1)
	s_xor_b32 s7, exec_lo, s24
; %bb.605:                              ;   in Loop: Header=BB10_532 Depth=2
	v_bfe_u32 v22, v72, 16, 1
	s_delay_alu instid0(VALU_DEP_1)
	v_add3_u32 v22, v72, v22, 0x7fff
                                        ; implicit-def: $vgpr72
; %bb.606:                              ;   in Loop: Header=BB10_532 Depth=2
	s_and_not1_saveexec_b32 s24, s7
; %bb.607:                              ;   in Loop: Header=BB10_532 Depth=2
	v_and_b32_e32 v22, 0xffff, v72
	v_or_b32_e32 v73, 0x10000, v72
	s_delay_alu instid0(VALU_DEP_2) | instskip(NEXT) | instid1(VALU_DEP_1)
	v_cmp_eq_u32_e64 s7, 0, v22
	v_cndmask_b32_e64 v22, v73, v72, s7
; %bb.608:                              ;   in Loop: Header=BB10_532 Depth=2
	s_or_b32 exec_lo, exec_lo, s24
	v_and_b32_e32 v23, 0xffff0000, v23
	v_and_b32_e32 v19, 0xffff0000, v19
	s_delay_alu instid0(VALU_DEP_2) | instskip(NEXT) | instid1(VALU_DEP_2)
	v_max_num_f32_e32 v23, v23, v23
	v_max_num_f32_e32 v19, v19, v19
	s_delay_alu instid0(VALU_DEP_1) | instskip(NEXT) | instid1(VALU_DEP_1)
	v_dual_min_num_f32 v72, v19, v23 :: v_dual_max_num_f32 v19, v19, v23
	v_cndmask_b32_e32 v23, v19, v72, vcc_lo
	s_delay_alu instid0(VALU_DEP_1) | instskip(NEXT) | instid1(VALU_DEP_1)
	v_and_b32_e32 v19, 0x7f800000, v23
	v_cmp_ne_u32_e64 s7, 0x7f800000, v19
                                        ; implicit-def: $vgpr19
	s_and_saveexec_b32 s24, s7
	s_delay_alu instid0(SALU_CYCLE_1)
	s_xor_b32 s7, exec_lo, s24
; %bb.609:                              ;   in Loop: Header=BB10_532 Depth=2
	v_bfe_u32 v19, v23, 16, 1
	s_delay_alu instid0(VALU_DEP_1)
	v_add3_u32 v19, v23, v19, 0x7fff
                                        ; implicit-def: $vgpr23
; %bb.610:                              ;   in Loop: Header=BB10_532 Depth=2
	s_and_not1_saveexec_b32 s24, s7
; %bb.611:                              ;   in Loop: Header=BB10_532 Depth=2
	v_and_b32_e32 v19, 0xffff, v23
	v_or_b32_e32 v72, 0x10000, v23
	s_delay_alu instid0(VALU_DEP_2) | instskip(NEXT) | instid1(VALU_DEP_1)
	v_cmp_eq_u32_e64 s7, 0, v19
	v_cndmask_b32_e64 v19, v72, v23, s7
; %bb.612:                              ;   in Loop: Header=BB10_532 Depth=2
	s_or_b32 exec_lo, exec_lo, s24
	v_lshlrev_b32_e32 v23, 16, v24
	s_delay_alu instid0(VALU_DEP_1) | instskip(NEXT) | instid1(VALU_DEP_1)
	v_dual_max_num_f32 v23, v23, v23 :: v_dual_lshlrev_b32 v72, 16, v20
	v_max_num_f32_e32 v72, v72, v72
	s_delay_alu instid0(VALU_DEP_1) | instskip(NEXT) | instid1(VALU_DEP_1)
	v_dual_min_num_f32 v73, v72, v23 :: v_dual_max_num_f32 v23, v72, v23
	v_cndmask_b32_e32 v72, v23, v73, vcc_lo
	s_delay_alu instid0(VALU_DEP_1) | instskip(NEXT) | instid1(VALU_DEP_1)
	v_and_b32_e32 v23, 0x7f800000, v72
	v_cmp_ne_u32_e64 s7, 0x7f800000, v23
                                        ; implicit-def: $vgpr23
	s_and_saveexec_b32 s24, s7
	s_delay_alu instid0(SALU_CYCLE_1)
	s_xor_b32 s7, exec_lo, s24
; %bb.613:                              ;   in Loop: Header=BB10_532 Depth=2
	v_bfe_u32 v23, v72, 16, 1
	s_delay_alu instid0(VALU_DEP_1)
	v_add3_u32 v23, v72, v23, 0x7fff
                                        ; implicit-def: $vgpr72
; %bb.614:                              ;   in Loop: Header=BB10_532 Depth=2
	s_and_not1_saveexec_b32 s24, s7
; %bb.615:                              ;   in Loop: Header=BB10_532 Depth=2
	v_and_b32_e32 v23, 0xffff, v72
	v_or_b32_e32 v73, 0x10000, v72
	s_delay_alu instid0(VALU_DEP_2) | instskip(NEXT) | instid1(VALU_DEP_1)
	v_cmp_eq_u32_e64 s7, 0, v23
	v_cndmask_b32_e64 v23, v73, v72, s7
; %bb.616:                              ;   in Loop: Header=BB10_532 Depth=2
	s_or_b32 exec_lo, exec_lo, s24
	v_and_b32_e32 v24, 0xffff0000, v24
	v_and_b32_e32 v20, 0xffff0000, v20
	s_delay_alu instid0(VALU_DEP_2) | instskip(NEXT) | instid1(VALU_DEP_2)
	v_max_num_f32_e32 v24, v24, v24
	v_max_num_f32_e32 v20, v20, v20
	s_delay_alu instid0(VALU_DEP_1) | instskip(NEXT) | instid1(VALU_DEP_1)
	v_dual_min_num_f32 v72, v20, v24 :: v_dual_max_num_f32 v20, v20, v24
	v_cndmask_b32_e32 v24, v20, v72, vcc_lo
	s_delay_alu instid0(VALU_DEP_1) | instskip(NEXT) | instid1(VALU_DEP_1)
	v_and_b32_e32 v20, 0x7f800000, v24
	v_cmp_ne_u32_e64 s7, 0x7f800000, v20
                                        ; implicit-def: $vgpr20
	s_and_saveexec_b32 s24, s7
	s_delay_alu instid0(SALU_CYCLE_1)
	s_xor_b32 s7, exec_lo, s24
; %bb.617:                              ;   in Loop: Header=BB10_532 Depth=2
	v_bfe_u32 v20, v24, 16, 1
	s_delay_alu instid0(VALU_DEP_1)
	v_add3_u32 v20, v24, v20, 0x7fff
                                        ; implicit-def: $vgpr24
; %bb.618:                              ;   in Loop: Header=BB10_532 Depth=2
	s_and_not1_saveexec_b32 s24, s7
; %bb.619:                              ;   in Loop: Header=BB10_532 Depth=2
	v_and_b32_e32 v20, 0xffff, v24
	v_or_b32_e32 v72, 0x10000, v24
	s_delay_alu instid0(VALU_DEP_2) | instskip(NEXT) | instid1(VALU_DEP_1)
	v_cmp_eq_u32_e64 s7, 0, v20
	v_cndmask_b32_e64 v20, v72, v24, s7
; %bb.620:                              ;   in Loop: Header=BB10_532 Depth=2
	s_or_b32 exec_lo, exec_lo, s24
	v_lshlrev_b32_e32 v72, 16, v21
	s_delay_alu instid0(VALU_DEP_1) | instskip(NEXT) | instid1(VALU_DEP_1)
	v_dual_lshlrev_b32 v24, 16, v25 :: v_dual_max_num_f32 v72, v72, v72
	v_max_num_f32_e32 v24, v24, v24
	s_delay_alu instid0(VALU_DEP_1) | instskip(NEXT) | instid1(VALU_DEP_1)
	v_dual_min_num_f32 v73, v72, v24 :: v_dual_max_num_f32 v24, v72, v24
	v_cndmask_b32_e32 v72, v24, v73, vcc_lo
	s_delay_alu instid0(VALU_DEP_1) | instskip(NEXT) | instid1(VALU_DEP_1)
	v_and_b32_e32 v24, 0x7f800000, v72
	v_cmp_ne_u32_e64 s7, 0x7f800000, v24
                                        ; implicit-def: $vgpr24
	s_and_saveexec_b32 s24, s7
	s_delay_alu instid0(SALU_CYCLE_1)
	s_xor_b32 s7, exec_lo, s24
; %bb.621:                              ;   in Loop: Header=BB10_532 Depth=2
	v_bfe_u32 v24, v72, 16, 1
	s_delay_alu instid0(VALU_DEP_1)
	v_add3_u32 v24, v72, v24, 0x7fff
                                        ; implicit-def: $vgpr72
; %bb.622:                              ;   in Loop: Header=BB10_532 Depth=2
	s_and_not1_saveexec_b32 s24, s7
; %bb.623:                              ;   in Loop: Header=BB10_532 Depth=2
	v_and_b32_e32 v24, 0xffff, v72
	v_or_b32_e32 v73, 0x10000, v72
	s_delay_alu instid0(VALU_DEP_2) | instskip(NEXT) | instid1(VALU_DEP_1)
	v_cmp_eq_u32_e64 s7, 0, v24
	v_cndmask_b32_e64 v24, v73, v72, s7
; %bb.624:                              ;   in Loop: Header=BB10_532 Depth=2
	s_or_b32 exec_lo, exec_lo, s24
	v_and_b32_e32 v25, 0xffff0000, v25
	v_and_b32_e32 v21, 0xffff0000, v21
	s_delay_alu instid0(VALU_DEP_2) | instskip(NEXT) | instid1(VALU_DEP_2)
	v_max_num_f32_e32 v25, v25, v25
	v_max_num_f32_e32 v21, v21, v21
	s_delay_alu instid0(VALU_DEP_1) | instskip(NEXT) | instid1(VALU_DEP_1)
	v_dual_min_num_f32 v72, v21, v25 :: v_dual_max_num_f32 v21, v21, v25
	v_cndmask_b32_e32 v25, v21, v72, vcc_lo
	s_delay_alu instid0(VALU_DEP_1) | instskip(NEXT) | instid1(VALU_DEP_1)
	v_and_b32_e32 v21, 0x7f800000, v25
	v_cmp_ne_u32_e64 s7, 0x7f800000, v21
                                        ; implicit-def: $vgpr21
	s_and_saveexec_b32 s24, s7
	s_delay_alu instid0(SALU_CYCLE_1)
	s_xor_b32 s7, exec_lo, s24
; %bb.625:                              ;   in Loop: Header=BB10_532 Depth=2
	v_bfe_u32 v21, v25, 16, 1
	s_delay_alu instid0(VALU_DEP_1)
	v_add3_u32 v21, v25, v21, 0x7fff
                                        ; implicit-def: $vgpr25
; %bb.626:                              ;   in Loop: Header=BB10_532 Depth=2
	s_and_not1_saveexec_b32 s24, s7
; %bb.627:                              ;   in Loop: Header=BB10_532 Depth=2
	v_and_b32_e32 v21, 0xffff, v25
	v_or_b32_e32 v72, 0x10000, v25
	s_delay_alu instid0(VALU_DEP_2) | instskip(NEXT) | instid1(VALU_DEP_1)
	v_cmp_eq_u32_e64 s7, 0, v21
	v_cndmask_b32_e64 v21, v72, v25, s7
; %bb.628:                              ;   in Loop: Header=BB10_532 Depth=2
	s_or_b32 exec_lo, exec_lo, s24
	v_lshlrev_b32_e32 v72, 16, v10
	s_wait_loadcnt 0x0
	s_delay_alu instid0(VALU_DEP_1) | instskip(NEXT) | instid1(VALU_DEP_1)
	v_dual_max_num_f32 v72, v72, v72 :: v_dual_lshlrev_b32 v25, 16, v14
	v_max_num_f32_e32 v25, v25, v25
	s_delay_alu instid0(VALU_DEP_1) | instskip(NEXT) | instid1(VALU_DEP_1)
	v_dual_min_num_f32 v73, v72, v25 :: v_dual_max_num_f32 v25, v72, v25
	v_cndmask_b32_e32 v72, v25, v73, vcc_lo
	s_delay_alu instid0(VALU_DEP_1) | instskip(NEXT) | instid1(VALU_DEP_1)
	v_and_b32_e32 v25, 0x7f800000, v72
	v_cmp_ne_u32_e64 s7, 0x7f800000, v25
                                        ; implicit-def: $vgpr25
	s_and_saveexec_b32 s24, s7
	s_delay_alu instid0(SALU_CYCLE_1)
	s_xor_b32 s7, exec_lo, s24
; %bb.629:                              ;   in Loop: Header=BB10_532 Depth=2
	v_bfe_u32 v25, v72, 16, 1
	s_delay_alu instid0(VALU_DEP_1)
	v_add3_u32 v25, v72, v25, 0x7fff
                                        ; implicit-def: $vgpr72
; %bb.630:                              ;   in Loop: Header=BB10_532 Depth=2
	s_and_not1_saveexec_b32 s24, s7
; %bb.631:                              ;   in Loop: Header=BB10_532 Depth=2
	v_and_b32_e32 v25, 0xffff, v72
	v_or_b32_e32 v73, 0x10000, v72
	s_delay_alu instid0(VALU_DEP_2) | instskip(NEXT) | instid1(VALU_DEP_1)
	v_cmp_eq_u32_e64 s7, 0, v25
	v_cndmask_b32_e64 v25, v73, v72, s7
; %bb.632:                              ;   in Loop: Header=BB10_532 Depth=2
	s_or_b32 exec_lo, exec_lo, s24
	v_and_b32_e32 v14, 0xffff0000, v14
	v_and_b32_e32 v10, 0xffff0000, v10
	s_delay_alu instid0(VALU_DEP_2) | instskip(NEXT) | instid1(VALU_DEP_2)
	v_max_num_f32_e32 v14, v14, v14
	v_max_num_f32_e32 v10, v10, v10
	s_delay_alu instid0(VALU_DEP_1) | instskip(NEXT) | instid1(VALU_DEP_1)
	v_dual_min_num_f32 v72, v10, v14 :: v_dual_max_num_f32 v10, v10, v14
	v_cndmask_b32_e32 v14, v10, v72, vcc_lo
	s_delay_alu instid0(VALU_DEP_1) | instskip(NEXT) | instid1(VALU_DEP_1)
	v_and_b32_e32 v10, 0x7f800000, v14
	v_cmp_ne_u32_e64 s7, 0x7f800000, v10
                                        ; implicit-def: $vgpr10
	s_and_saveexec_b32 s24, s7
	s_delay_alu instid0(SALU_CYCLE_1)
	s_xor_b32 s7, exec_lo, s24
; %bb.633:                              ;   in Loop: Header=BB10_532 Depth=2
	v_bfe_u32 v10, v14, 16, 1
	s_delay_alu instid0(VALU_DEP_1)
	v_add3_u32 v10, v14, v10, 0x7fff
                                        ; implicit-def: $vgpr14
; %bb.634:                              ;   in Loop: Header=BB10_532 Depth=2
	s_and_not1_saveexec_b32 s24, s7
; %bb.635:                              ;   in Loop: Header=BB10_532 Depth=2
	v_and_b32_e32 v10, 0xffff, v14
	v_or_b32_e32 v72, 0x10000, v14
	s_delay_alu instid0(VALU_DEP_2) | instskip(NEXT) | instid1(VALU_DEP_1)
	v_cmp_eq_u32_e64 s7, 0, v10
	v_cndmask_b32_e64 v10, v72, v14, s7
; %bb.636:                              ;   in Loop: Header=BB10_532 Depth=2
	s_or_b32 exec_lo, exec_lo, s24
	v_lshlrev_b32_e32 v72, 16, v11
	s_delay_alu instid0(VALU_DEP_1) | instskip(NEXT) | instid1(VALU_DEP_1)
	v_dual_lshlrev_b32 v14, 16, v15 :: v_dual_max_num_f32 v72, v72, v72
	v_max_num_f32_e32 v14, v14, v14
	s_delay_alu instid0(VALU_DEP_1) | instskip(NEXT) | instid1(VALU_DEP_1)
	v_dual_min_num_f32 v73, v72, v14 :: v_dual_max_num_f32 v14, v72, v14
	v_cndmask_b32_e32 v72, v14, v73, vcc_lo
	s_delay_alu instid0(VALU_DEP_1) | instskip(NEXT) | instid1(VALU_DEP_1)
	v_and_b32_e32 v14, 0x7f800000, v72
	v_cmp_ne_u32_e64 s7, 0x7f800000, v14
                                        ; implicit-def: $vgpr14
	s_and_saveexec_b32 s24, s7
	s_delay_alu instid0(SALU_CYCLE_1)
	s_xor_b32 s7, exec_lo, s24
; %bb.637:                              ;   in Loop: Header=BB10_532 Depth=2
	v_bfe_u32 v14, v72, 16, 1
	s_delay_alu instid0(VALU_DEP_1)
	v_add3_u32 v14, v72, v14, 0x7fff
                                        ; implicit-def: $vgpr72
; %bb.638:                              ;   in Loop: Header=BB10_532 Depth=2
	s_and_not1_saveexec_b32 s24, s7
; %bb.639:                              ;   in Loop: Header=BB10_532 Depth=2
	v_and_b32_e32 v14, 0xffff, v72
	v_or_b32_e32 v73, 0x10000, v72
	s_delay_alu instid0(VALU_DEP_2) | instskip(NEXT) | instid1(VALU_DEP_1)
	v_cmp_eq_u32_e64 s7, 0, v14
	v_cndmask_b32_e64 v14, v73, v72, s7
; %bb.640:                              ;   in Loop: Header=BB10_532 Depth=2
	s_or_b32 exec_lo, exec_lo, s24
	v_and_b32_e32 v15, 0xffff0000, v15
	v_and_b32_e32 v11, 0xffff0000, v11
	s_delay_alu instid0(VALU_DEP_2) | instskip(NEXT) | instid1(VALU_DEP_2)
	v_max_num_f32_e32 v15, v15, v15
	v_max_num_f32_e32 v11, v11, v11
	s_delay_alu instid0(VALU_DEP_1) | instskip(NEXT) | instid1(VALU_DEP_1)
	v_dual_min_num_f32 v72, v11, v15 :: v_dual_max_num_f32 v11, v11, v15
	v_cndmask_b32_e32 v15, v11, v72, vcc_lo
	s_delay_alu instid0(VALU_DEP_1) | instskip(NEXT) | instid1(VALU_DEP_1)
	v_and_b32_e32 v11, 0x7f800000, v15
	v_cmp_ne_u32_e64 s7, 0x7f800000, v11
                                        ; implicit-def: $vgpr11
	s_and_saveexec_b32 s24, s7
	s_delay_alu instid0(SALU_CYCLE_1)
	s_xor_b32 s7, exec_lo, s24
; %bb.641:                              ;   in Loop: Header=BB10_532 Depth=2
	v_bfe_u32 v11, v15, 16, 1
	s_delay_alu instid0(VALU_DEP_1)
	v_add3_u32 v11, v15, v11, 0x7fff
                                        ; implicit-def: $vgpr15
; %bb.642:                              ;   in Loop: Header=BB10_532 Depth=2
	s_and_not1_saveexec_b32 s24, s7
; %bb.643:                              ;   in Loop: Header=BB10_532 Depth=2
	v_and_b32_e32 v11, 0xffff, v15
	v_or_b32_e32 v72, 0x10000, v15
	s_delay_alu instid0(VALU_DEP_2) | instskip(NEXT) | instid1(VALU_DEP_1)
	v_cmp_eq_u32_e64 s7, 0, v11
	v_cndmask_b32_e64 v11, v72, v15, s7
; %bb.644:                              ;   in Loop: Header=BB10_532 Depth=2
	s_or_b32 exec_lo, exec_lo, s24
	v_lshlrev_b32_e32 v15, 16, v16
	s_delay_alu instid0(VALU_DEP_1) | instskip(NEXT) | instid1(VALU_DEP_1)
	v_dual_max_num_f32 v15, v15, v15 :: v_dual_lshlrev_b32 v72, 16, v12
	v_max_num_f32_e32 v72, v72, v72
	s_delay_alu instid0(VALU_DEP_1) | instskip(NEXT) | instid1(VALU_DEP_1)
	v_dual_min_num_f32 v73, v72, v15 :: v_dual_max_num_f32 v15, v72, v15
	v_cndmask_b32_e32 v72, v15, v73, vcc_lo
	s_delay_alu instid0(VALU_DEP_1) | instskip(NEXT) | instid1(VALU_DEP_1)
	v_and_b32_e32 v15, 0x7f800000, v72
	v_cmp_ne_u32_e64 s7, 0x7f800000, v15
                                        ; implicit-def: $vgpr15
	s_and_saveexec_b32 s24, s7
	s_delay_alu instid0(SALU_CYCLE_1)
	s_xor_b32 s7, exec_lo, s24
; %bb.645:                              ;   in Loop: Header=BB10_532 Depth=2
	v_bfe_u32 v15, v72, 16, 1
	s_delay_alu instid0(VALU_DEP_1)
	v_add3_u32 v15, v72, v15, 0x7fff
                                        ; implicit-def: $vgpr72
; %bb.646:                              ;   in Loop: Header=BB10_532 Depth=2
	s_and_not1_saveexec_b32 s24, s7
; %bb.647:                              ;   in Loop: Header=BB10_532 Depth=2
	v_and_b32_e32 v15, 0xffff, v72
	v_or_b32_e32 v73, 0x10000, v72
	s_delay_alu instid0(VALU_DEP_2) | instskip(NEXT) | instid1(VALU_DEP_1)
	v_cmp_eq_u32_e64 s7, 0, v15
	v_cndmask_b32_e64 v15, v73, v72, s7
; %bb.648:                              ;   in Loop: Header=BB10_532 Depth=2
	s_or_b32 exec_lo, exec_lo, s24
	v_and_b32_e32 v16, 0xffff0000, v16
	v_and_b32_e32 v12, 0xffff0000, v12
	s_delay_alu instid0(VALU_DEP_2) | instskip(NEXT) | instid1(VALU_DEP_2)
	v_max_num_f32_e32 v16, v16, v16
	v_max_num_f32_e32 v12, v12, v12
	s_delay_alu instid0(VALU_DEP_1) | instskip(NEXT) | instid1(VALU_DEP_1)
	v_dual_min_num_f32 v72, v12, v16 :: v_dual_max_num_f32 v12, v12, v16
	v_cndmask_b32_e32 v16, v12, v72, vcc_lo
	s_delay_alu instid0(VALU_DEP_1) | instskip(NEXT) | instid1(VALU_DEP_1)
	v_and_b32_e32 v12, 0x7f800000, v16
	v_cmp_ne_u32_e64 s7, 0x7f800000, v12
                                        ; implicit-def: $vgpr12
	s_and_saveexec_b32 s24, s7
	s_delay_alu instid0(SALU_CYCLE_1)
	s_xor_b32 s7, exec_lo, s24
; %bb.649:                              ;   in Loop: Header=BB10_532 Depth=2
	v_bfe_u32 v12, v16, 16, 1
	s_delay_alu instid0(VALU_DEP_1)
	v_add3_u32 v12, v16, v12, 0x7fff
                                        ; implicit-def: $vgpr16
; %bb.650:                              ;   in Loop: Header=BB10_532 Depth=2
	s_and_not1_saveexec_b32 s24, s7
; %bb.651:                              ;   in Loop: Header=BB10_532 Depth=2
	v_and_b32_e32 v12, 0xffff, v16
	v_or_b32_e32 v72, 0x10000, v16
	s_delay_alu instid0(VALU_DEP_2) | instskip(NEXT) | instid1(VALU_DEP_1)
	v_cmp_eq_u32_e64 s7, 0, v12
	v_cndmask_b32_e64 v12, v72, v16, s7
; %bb.652:                              ;   in Loop: Header=BB10_532 Depth=2
	s_or_b32 exec_lo, exec_lo, s24
	v_lshlrev_b32_e32 v72, 16, v13
	s_delay_alu instid0(VALU_DEP_1) | instskip(NEXT) | instid1(VALU_DEP_1)
	v_dual_lshlrev_b32 v16, 16, v17 :: v_dual_max_num_f32 v72, v72, v72
	v_max_num_f32_e32 v16, v16, v16
	s_delay_alu instid0(VALU_DEP_1) | instskip(NEXT) | instid1(VALU_DEP_1)
	v_dual_min_num_f32 v73, v72, v16 :: v_dual_max_num_f32 v16, v72, v16
	v_cndmask_b32_e32 v72, v16, v73, vcc_lo
	s_delay_alu instid0(VALU_DEP_1) | instskip(NEXT) | instid1(VALU_DEP_1)
	v_and_b32_e32 v16, 0x7f800000, v72
	v_cmp_ne_u32_e64 s7, 0x7f800000, v16
                                        ; implicit-def: $vgpr16
	s_and_saveexec_b32 s24, s7
	s_delay_alu instid0(SALU_CYCLE_1)
	s_xor_b32 s7, exec_lo, s24
; %bb.653:                              ;   in Loop: Header=BB10_532 Depth=2
	v_bfe_u32 v16, v72, 16, 1
	s_delay_alu instid0(VALU_DEP_1)
	v_add3_u32 v16, v72, v16, 0x7fff
                                        ; implicit-def: $vgpr72
; %bb.654:                              ;   in Loop: Header=BB10_532 Depth=2
	s_and_not1_saveexec_b32 s24, s7
; %bb.655:                              ;   in Loop: Header=BB10_532 Depth=2
	v_and_b32_e32 v16, 0xffff, v72
	v_or_b32_e32 v73, 0x10000, v72
	s_delay_alu instid0(VALU_DEP_2) | instskip(NEXT) | instid1(VALU_DEP_1)
	v_cmp_eq_u32_e64 s7, 0, v16
	v_cndmask_b32_e64 v16, v73, v72, s7
; %bb.656:                              ;   in Loop: Header=BB10_532 Depth=2
	s_or_b32 exec_lo, exec_lo, s24
	v_and_b32_e32 v17, 0xffff0000, v17
	v_and_b32_e32 v13, 0xffff0000, v13
	s_delay_alu instid0(VALU_DEP_2) | instskip(NEXT) | instid1(VALU_DEP_2)
	v_max_num_f32_e32 v17, v17, v17
	v_max_num_f32_e32 v13, v13, v13
	s_delay_alu instid0(VALU_DEP_1) | instskip(NEXT) | instid1(VALU_DEP_1)
	v_dual_min_num_f32 v72, v13, v17 :: v_dual_max_num_f32 v13, v13, v17
	v_cndmask_b32_e32 v17, v13, v72, vcc_lo
	s_delay_alu instid0(VALU_DEP_1) | instskip(NEXT) | instid1(VALU_DEP_1)
	v_and_b32_e32 v13, 0x7f800000, v17
	v_cmp_ne_u32_e64 s7, 0x7f800000, v13
                                        ; implicit-def: $vgpr13
	s_and_saveexec_b32 s24, s7
	s_delay_alu instid0(SALU_CYCLE_1)
	s_xor_b32 s7, exec_lo, s24
; %bb.657:                              ;   in Loop: Header=BB10_532 Depth=2
	v_bfe_u32 v13, v17, 16, 1
	s_delay_alu instid0(VALU_DEP_1)
	v_add3_u32 v13, v17, v13, 0x7fff
                                        ; implicit-def: $vgpr17
; %bb.658:                              ;   in Loop: Header=BB10_532 Depth=2
	s_and_not1_saveexec_b32 s24, s7
	s_cbranch_execz .LBB10_531
; %bb.659:                              ;   in Loop: Header=BB10_532 Depth=2
	v_and_b32_e32 v13, 0xffff, v17
	v_or_b32_e32 v72, 0x10000, v17
	s_delay_alu instid0(VALU_DEP_2) | instskip(NEXT) | instid1(VALU_DEP_1)
	v_cmp_eq_u32_e64 s7, 0, v13
	v_cndmask_b32_e64 v13, v72, v17, s7
	s_branch .LBB10_531
.LBB10_660:                             ;   in Loop: Header=BB10_457 Depth=1
	s_or_b32 exec_lo, exec_lo, s23
.LBB10_661:                             ;   in Loop: Header=BB10_457 Depth=1
	s_delay_alu instid0(SALU_CYCLE_1) | instskip(SKIP_3) | instid1(VALU_DEP_1)
	s_or_b32 exec_lo, exec_lo, s10
	v_dual_lshlrev_b32 v24, 11, v62 :: v_dual_mov_b32 v16, 0
	s_mov_b32 s7, 0
	s_mov_b32 s23, exec_lo
                                        ; implicit-def: $vgpr17
	v_cmpx_ne_u32_e64 v59, v24
	s_cbranch_execz .LBB10_699
; %bb.662:                              ;   in Loop: Header=BB10_457 Depth=1
	v_dual_lshlrev_b32 v10, 5, v61 :: v_dual_sub_nc_u32 v12, v59, v24
	s_mov_b32 s24, exec_lo
	s_delay_alu instid0(VALU_DEP_1) | instskip(NEXT) | instid1(VALU_DEP_1)
	v_dual_sub_nc_u32 v10, v57, v10 :: v_dual_ashrrev_i32 v13, 31, v12
	v_dual_ashrrev_i32 v11, 31, v10 :: v_dual_lshrrev_b32 v13, 23, v13
	s_delay_alu instid0(VALU_DEP_1) | instskip(NEXT) | instid1(VALU_DEP_1)
	v_lshrrev_b32_e32 v11, 27, v11
	v_add_nc_u32_e32 v11, v10, v11
	s_delay_alu instid0(VALU_DEP_1) | instskip(NEXT) | instid1(VALU_DEP_1)
	v_and_b32_e32 v14, 0xffffffe0, v11
	v_dual_add_nc_u32 v13, v12, v13 :: v_dual_sub_nc_u32 v25, v10, v14
	s_delay_alu instid0(VALU_DEP_1) | instskip(SKIP_1) | instid1(VALU_DEP_2)
	v_and_b32_e32 v26, 0xfffffe00, v13
	v_dual_ashrrev_i32 v11, 5, v11 :: v_dual_ashrrev_i32 v13, 9, v13
	v_dual_lshlrev_b32 v10, 4, v25 :: v_dual_sub_nc_u32 v27, v12, v26
	s_delay_alu instid0(VALU_DEP_1) | instskip(NEXT) | instid1(VALU_DEP_2)
	v_lshl_add_u32 v10, v11, 9, v10
	v_cmp_lt_i32_e32 vcc_lo, 15, v27
	s_delay_alu instid0(VALU_DEP_4) | instskip(NEXT) | instid1(VALU_DEP_1)
	v_add_co_ci_u32_e64 v13, null, 0, v13, vcc_lo
	v_dual_sub_nc_u32 v29, v12, v10 :: v_dual_sub_nc_u32 v28, v13, v11
	s_delay_alu instid0(VALU_DEP_1)
	v_cmpx_lt_i32_e32 15, v29
	s_cbranch_execz .LBB10_698
; %bb.663:                              ;   in Loop: Header=BB10_457 Depth=1
	s_trap 2
	ds_load_b64 v[12:13], v0
	v_add_nc_u32_e32 v10, v10, v24
	s_bitcmp0_b64 s[12:13], 0
	s_mov_b32 s25, 0
	s_cselect_b32 s7, -1, 0
	s_delay_alu instid0(VALU_DEP_1) | instskip(NEXT) | instid1(VALU_DEP_1)
	v_ashrrev_i32_e32 v11, 31, v10
	v_add_nc_u64_e32 v[18:19], v[10:11], v[118:119]
	v_add_nc_u64_e32 v[22:23], v[10:11], v[40:41]
	s_wait_dscnt 0x0
	v_add_nc_u64_e32 v[20:21], v[12:13], v[10:11]
	s_branch .LBB10_665
.LBB10_664:                             ;   in Loop: Header=BB10_665 Depth=2
	s_or_b32 exec_lo, exec_lo, s26
	v_dual_lshrrev_b32 v14, 16, v14 :: v_dual_lshrrev_b32 v17, 16, v32
	v_dual_lshrrev_b32 v15, 16, v15 :: v_dual_lshrrev_b32 v16, 16, v16
	v_dual_sub_nc_u32 v29, v29, v100 :: v_dual_sub_nc_u32 v28, v28, v86
	s_delay_alu instid0(VALU_DEP_3) | instskip(NEXT) | instid1(VALU_DEP_4)
	v_and_or_b32 v11, 0xffff0000, v11, v14
	v_and_or_b32 v10, 0xffff0000, v10, v17
	s_delay_alu instid0(VALU_DEP_4)
	v_and_or_b32 v12, 0xffff0000, v12, v15
	v_and_or_b32 v13, 0xffff0000, v13, v16
	v_add_nc_u64_e32 v[18:19], v[18:19], v[100:101]
	v_add_nc_u64_e32 v[20:21], v[20:21], v[100:101]
	v_cmp_gt_i32_e64 s10, 16, v29
	global_store_b128 v[22:23], v[10:13], off th:TH_STORE_NT
	s_wait_xcnt 0x0
	v_add_nc_u64_e32 v[22:23], v[22:23], v[100:101]
	s_or_b32 s25, s10, s25
	s_delay_alu instid0(SALU_CYCLE_1)
	s_and_not1_b32 exec_lo, exec_lo, s25
	s_cbranch_execz .LBB10_697
.LBB10_665:                             ;   Parent Loop BB10_457 Depth=1
                                        ; =>  This Inner Loop Header: Depth=2
	global_load_b128 v[14:17], v[20:21], off th:TH_LOAD_NT
	global_load_b128 v[10:13], v[18:19], off th:TH_LOAD_NT
	s_wait_loadcnt 0x0
	v_lshlrev_b32_e32 v33, 16, v10
	s_delay_alu instid0(VALU_DEP_1) | instskip(NEXT) | instid1(VALU_DEP_1)
	v_dual_max_num_f32 v33, v33, v33 :: v_dual_lshlrev_b32 v32, 16, v14
	v_max_num_f32_e32 v32, v32, v32
	s_delay_alu instid0(VALU_DEP_1) | instskip(NEXT) | instid1(VALU_DEP_1)
	v_dual_min_num_f32 v34, v33, v32 :: v_dual_max_num_f32 v32, v33, v32
	v_cndmask_b32_e64 v33, v32, v34, s7
	s_delay_alu instid0(VALU_DEP_1) | instskip(NEXT) | instid1(VALU_DEP_1)
	v_and_b32_e32 v32, 0x7f800000, v33
	v_cmp_ne_u32_e64 s10, 0x7f800000, v32
                                        ; implicit-def: $vgpr32
	s_wait_xcnt 0x0
	s_and_saveexec_b32 s26, s10
	s_delay_alu instid0(SALU_CYCLE_1)
	s_xor_b32 s10, exec_lo, s26
; %bb.666:                              ;   in Loop: Header=BB10_665 Depth=2
	v_bfe_u32 v32, v33, 16, 1
	s_delay_alu instid0(VALU_DEP_1)
	v_add3_u32 v32, v33, v32, 0x7fff
                                        ; implicit-def: $vgpr33
; %bb.667:                              ;   in Loop: Header=BB10_665 Depth=2
	s_and_not1_saveexec_b32 s26, s10
; %bb.668:                              ;   in Loop: Header=BB10_665 Depth=2
	v_and_b32_e32 v32, 0xffff, v33
	v_or_b32_e32 v34, 0x10000, v33
	s_delay_alu instid0(VALU_DEP_2) | instskip(NEXT) | instid1(VALU_DEP_1)
	v_cmp_eq_u32_e64 s10, 0, v32
	v_cndmask_b32_e64 v32, v34, v33, s10
; %bb.669:                              ;   in Loop: Header=BB10_665 Depth=2
	s_or_b32 exec_lo, exec_lo, s26
	v_and_b32_e32 v14, 0xffff0000, v14
	v_and_b32_e32 v10, 0xffff0000, v10
	s_delay_alu instid0(VALU_DEP_2) | instskip(NEXT) | instid1(VALU_DEP_2)
	v_max_num_f32_e32 v14, v14, v14
	v_max_num_f32_e32 v10, v10, v10
	s_delay_alu instid0(VALU_DEP_1) | instskip(NEXT) | instid1(VALU_DEP_1)
	v_dual_min_num_f32 v33, v10, v14 :: v_dual_max_num_f32 v10, v10, v14
	v_cndmask_b32_e64 v14, v10, v33, s7
	s_delay_alu instid0(VALU_DEP_1) | instskip(NEXT) | instid1(VALU_DEP_1)
	v_and_b32_e32 v10, 0x7f800000, v14
	v_cmp_ne_u32_e64 s10, 0x7f800000, v10
                                        ; implicit-def: $vgpr10
	s_and_saveexec_b32 s26, s10
	s_delay_alu instid0(SALU_CYCLE_1)
	s_xor_b32 s10, exec_lo, s26
; %bb.670:                              ;   in Loop: Header=BB10_665 Depth=2
	v_bfe_u32 v10, v14, 16, 1
	s_delay_alu instid0(VALU_DEP_1)
	v_add3_u32 v10, v14, v10, 0x7fff
                                        ; implicit-def: $vgpr14
; %bb.671:                              ;   in Loop: Header=BB10_665 Depth=2
	s_and_not1_saveexec_b32 s26, s10
; %bb.672:                              ;   in Loop: Header=BB10_665 Depth=2
	v_and_b32_e32 v10, 0xffff, v14
	v_or_b32_e32 v33, 0x10000, v14
	s_delay_alu instid0(VALU_DEP_2) | instskip(NEXT) | instid1(VALU_DEP_1)
	v_cmp_eq_u32_e64 s10, 0, v10
	v_cndmask_b32_e64 v10, v33, v14, s10
; %bb.673:                              ;   in Loop: Header=BB10_665 Depth=2
	s_or_b32 exec_lo, exec_lo, s26
	v_lshlrev_b32_e32 v33, 16, v11
	s_delay_alu instid0(VALU_DEP_1) | instskip(NEXT) | instid1(VALU_DEP_1)
	v_dual_max_num_f32 v33, v33, v33 :: v_dual_lshlrev_b32 v14, 16, v15
	v_max_num_f32_e32 v14, v14, v14
	s_delay_alu instid0(VALU_DEP_1) | instskip(NEXT) | instid1(VALU_DEP_1)
	v_dual_min_num_f32 v34, v33, v14 :: v_dual_max_num_f32 v14, v33, v14
	v_cndmask_b32_e64 v33, v14, v34, s7
	s_delay_alu instid0(VALU_DEP_1) | instskip(NEXT) | instid1(VALU_DEP_1)
	v_and_b32_e32 v14, 0x7f800000, v33
	v_cmp_ne_u32_e64 s10, 0x7f800000, v14
                                        ; implicit-def: $vgpr14
	s_and_saveexec_b32 s26, s10
	s_delay_alu instid0(SALU_CYCLE_1)
	s_xor_b32 s10, exec_lo, s26
; %bb.674:                              ;   in Loop: Header=BB10_665 Depth=2
	v_bfe_u32 v14, v33, 16, 1
	s_delay_alu instid0(VALU_DEP_1)
	v_add3_u32 v14, v33, v14, 0x7fff
                                        ; implicit-def: $vgpr33
; %bb.675:                              ;   in Loop: Header=BB10_665 Depth=2
	s_and_not1_saveexec_b32 s26, s10
; %bb.676:                              ;   in Loop: Header=BB10_665 Depth=2
	v_and_b32_e32 v14, 0xffff, v33
	v_or_b32_e32 v34, 0x10000, v33
	s_delay_alu instid0(VALU_DEP_2) | instskip(NEXT) | instid1(VALU_DEP_1)
	v_cmp_eq_u32_e64 s10, 0, v14
	v_cndmask_b32_e64 v14, v34, v33, s10
; %bb.677:                              ;   in Loop: Header=BB10_665 Depth=2
	s_or_b32 exec_lo, exec_lo, s26
	v_and_b32_e32 v15, 0xffff0000, v15
	v_and_b32_e32 v11, 0xffff0000, v11
	s_delay_alu instid0(VALU_DEP_2) | instskip(NEXT) | instid1(VALU_DEP_2)
	v_max_num_f32_e32 v15, v15, v15
	v_max_num_f32_e32 v11, v11, v11
	s_delay_alu instid0(VALU_DEP_1) | instskip(NEXT) | instid1(VALU_DEP_1)
	v_dual_min_num_f32 v33, v11, v15 :: v_dual_max_num_f32 v11, v11, v15
	v_cndmask_b32_e64 v15, v11, v33, s7
	s_delay_alu instid0(VALU_DEP_1) | instskip(NEXT) | instid1(VALU_DEP_1)
	v_and_b32_e32 v11, 0x7f800000, v15
	v_cmp_ne_u32_e64 s10, 0x7f800000, v11
                                        ; implicit-def: $vgpr11
	s_and_saveexec_b32 s26, s10
	s_delay_alu instid0(SALU_CYCLE_1)
	s_xor_b32 s10, exec_lo, s26
; %bb.678:                              ;   in Loop: Header=BB10_665 Depth=2
	v_bfe_u32 v11, v15, 16, 1
	s_delay_alu instid0(VALU_DEP_1)
	v_add3_u32 v11, v15, v11, 0x7fff
                                        ; implicit-def: $vgpr15
; %bb.679:                              ;   in Loop: Header=BB10_665 Depth=2
	s_and_not1_saveexec_b32 s26, s10
; %bb.680:                              ;   in Loop: Header=BB10_665 Depth=2
	v_and_b32_e32 v11, 0xffff, v15
	v_or_b32_e32 v33, 0x10000, v15
	s_delay_alu instid0(VALU_DEP_2) | instskip(NEXT) | instid1(VALU_DEP_1)
	v_cmp_eq_u32_e64 s10, 0, v11
	v_cndmask_b32_e64 v11, v33, v15, s10
; %bb.681:                              ;   in Loop: Header=BB10_665 Depth=2
	s_or_b32 exec_lo, exec_lo, s26
	v_lshlrev_b32_e32 v33, 16, v12
	s_delay_alu instid0(VALU_DEP_1) | instskip(NEXT) | instid1(VALU_DEP_1)
	v_dual_lshlrev_b32 v15, 16, v16 :: v_dual_max_num_f32 v33, v33, v33
	v_max_num_f32_e32 v15, v15, v15
	s_delay_alu instid0(VALU_DEP_1) | instskip(NEXT) | instid1(VALU_DEP_1)
	v_dual_min_num_f32 v34, v33, v15 :: v_dual_max_num_f32 v15, v33, v15
	v_cndmask_b32_e64 v33, v15, v34, s7
	s_delay_alu instid0(VALU_DEP_1) | instskip(NEXT) | instid1(VALU_DEP_1)
	v_and_b32_e32 v15, 0x7f800000, v33
	v_cmp_ne_u32_e64 s10, 0x7f800000, v15
                                        ; implicit-def: $vgpr15
	s_and_saveexec_b32 s26, s10
	s_delay_alu instid0(SALU_CYCLE_1)
	s_xor_b32 s10, exec_lo, s26
; %bb.682:                              ;   in Loop: Header=BB10_665 Depth=2
	v_bfe_u32 v15, v33, 16, 1
	s_delay_alu instid0(VALU_DEP_1)
	v_add3_u32 v15, v33, v15, 0x7fff
                                        ; implicit-def: $vgpr33
; %bb.683:                              ;   in Loop: Header=BB10_665 Depth=2
	s_and_not1_saveexec_b32 s26, s10
; %bb.684:                              ;   in Loop: Header=BB10_665 Depth=2
	v_and_b32_e32 v15, 0xffff, v33
	v_or_b32_e32 v34, 0x10000, v33
	s_delay_alu instid0(VALU_DEP_2) | instskip(NEXT) | instid1(VALU_DEP_1)
	v_cmp_eq_u32_e64 s10, 0, v15
	v_cndmask_b32_e64 v15, v34, v33, s10
; %bb.685:                              ;   in Loop: Header=BB10_665 Depth=2
	s_or_b32 exec_lo, exec_lo, s26
	v_and_b32_e32 v16, 0xffff0000, v16
	v_and_b32_e32 v12, 0xffff0000, v12
	s_delay_alu instid0(VALU_DEP_2) | instskip(NEXT) | instid1(VALU_DEP_2)
	v_max_num_f32_e32 v16, v16, v16
	v_max_num_f32_e32 v12, v12, v12
	s_delay_alu instid0(VALU_DEP_1) | instskip(NEXT) | instid1(VALU_DEP_1)
	v_dual_min_num_f32 v33, v12, v16 :: v_dual_max_num_f32 v12, v12, v16
	v_cndmask_b32_e64 v16, v12, v33, s7
	s_delay_alu instid0(VALU_DEP_1) | instskip(NEXT) | instid1(VALU_DEP_1)
	v_and_b32_e32 v12, 0x7f800000, v16
	v_cmp_ne_u32_e64 s10, 0x7f800000, v12
                                        ; implicit-def: $vgpr12
	s_and_saveexec_b32 s26, s10
	s_delay_alu instid0(SALU_CYCLE_1)
	s_xor_b32 s10, exec_lo, s26
; %bb.686:                              ;   in Loop: Header=BB10_665 Depth=2
	v_bfe_u32 v12, v16, 16, 1
	s_delay_alu instid0(VALU_DEP_1)
	v_add3_u32 v12, v16, v12, 0x7fff
                                        ; implicit-def: $vgpr16
; %bb.687:                              ;   in Loop: Header=BB10_665 Depth=2
	s_and_not1_saveexec_b32 s26, s10
; %bb.688:                              ;   in Loop: Header=BB10_665 Depth=2
	v_and_b32_e32 v12, 0xffff, v16
	v_or_b32_e32 v33, 0x10000, v16
	s_delay_alu instid0(VALU_DEP_2) | instskip(NEXT) | instid1(VALU_DEP_1)
	v_cmp_eq_u32_e64 s10, 0, v12
	v_cndmask_b32_e64 v12, v33, v16, s10
; %bb.689:                              ;   in Loop: Header=BB10_665 Depth=2
	s_or_b32 exec_lo, exec_lo, s26
	v_lshlrev_b32_e32 v16, 16, v17
	s_delay_alu instid0(VALU_DEP_1) | instskip(NEXT) | instid1(VALU_DEP_1)
	v_dual_max_num_f32 v16, v16, v16 :: v_dual_lshlrev_b32 v33, 16, v13
	v_max_num_f32_e32 v33, v33, v33
	s_delay_alu instid0(VALU_DEP_1) | instskip(NEXT) | instid1(VALU_DEP_1)
	v_dual_min_num_f32 v34, v33, v16 :: v_dual_max_num_f32 v16, v33, v16
	v_cndmask_b32_e64 v33, v16, v34, s7
	s_delay_alu instid0(VALU_DEP_1) | instskip(NEXT) | instid1(VALU_DEP_1)
	v_and_b32_e32 v16, 0x7f800000, v33
	v_cmp_ne_u32_e64 s10, 0x7f800000, v16
                                        ; implicit-def: $vgpr16
	s_and_saveexec_b32 s26, s10
	s_delay_alu instid0(SALU_CYCLE_1)
	s_xor_b32 s10, exec_lo, s26
; %bb.690:                              ;   in Loop: Header=BB10_665 Depth=2
	v_bfe_u32 v16, v33, 16, 1
	s_delay_alu instid0(VALU_DEP_1)
	v_add3_u32 v16, v33, v16, 0x7fff
                                        ; implicit-def: $vgpr33
; %bb.691:                              ;   in Loop: Header=BB10_665 Depth=2
	s_and_not1_saveexec_b32 s26, s10
; %bb.692:                              ;   in Loop: Header=BB10_665 Depth=2
	v_and_b32_e32 v16, 0xffff, v33
	v_or_b32_e32 v34, 0x10000, v33
	s_delay_alu instid0(VALU_DEP_2) | instskip(NEXT) | instid1(VALU_DEP_1)
	v_cmp_eq_u32_e64 s10, 0, v16
	v_cndmask_b32_e64 v16, v34, v33, s10
; %bb.693:                              ;   in Loop: Header=BB10_665 Depth=2
	s_or_b32 exec_lo, exec_lo, s26
	v_and_b32_e32 v17, 0xffff0000, v17
	v_and_b32_e32 v13, 0xffff0000, v13
	s_delay_alu instid0(VALU_DEP_2) | instskip(NEXT) | instid1(VALU_DEP_2)
	v_max_num_f32_e32 v17, v17, v17
	v_max_num_f32_e32 v13, v13, v13
	s_delay_alu instid0(VALU_DEP_1) | instskip(NEXT) | instid1(VALU_DEP_1)
	v_dual_min_num_f32 v33, v13, v17 :: v_dual_max_num_f32 v13, v13, v17
	v_cndmask_b32_e64 v17, v13, v33, s7
	s_delay_alu instid0(VALU_DEP_1) | instskip(NEXT) | instid1(VALU_DEP_1)
	v_and_b32_e32 v13, 0x7f800000, v17
	v_cmp_ne_u32_e64 s10, 0x7f800000, v13
                                        ; implicit-def: $vgpr13
	s_and_saveexec_b32 s26, s10
	s_delay_alu instid0(SALU_CYCLE_1)
	s_xor_b32 s10, exec_lo, s26
; %bb.694:                              ;   in Loop: Header=BB10_665 Depth=2
	v_bfe_u32 v13, v17, 16, 1
	s_delay_alu instid0(VALU_DEP_1)
	v_add3_u32 v13, v17, v13, 0x7fff
                                        ; implicit-def: $vgpr17
; %bb.695:                              ;   in Loop: Header=BB10_665 Depth=2
	s_and_not1_saveexec_b32 s26, s10
	s_cbranch_execz .LBB10_664
; %bb.696:                              ;   in Loop: Header=BB10_665 Depth=2
	v_and_b32_e32 v13, 0xffff, v17
	v_or_b32_e32 v33, 0x10000, v17
	s_delay_alu instid0(VALU_DEP_2) | instskip(NEXT) | instid1(VALU_DEP_1)
	v_cmp_eq_u32_e64 s10, 0, v13
	v_cndmask_b32_e64 v13, v33, v17, s10
	s_branch .LBB10_664
.LBB10_697:                             ;   in Loop: Header=BB10_457 Depth=1
	s_or_b32 exec_lo, exec_lo, s25
.LBB10_698:                             ;   in Loop: Header=BB10_457 Depth=1
	s_delay_alu instid0(SALU_CYCLE_1) | instskip(NEXT) | instid1(VALU_DEP_2)
	s_or_b32 exec_lo, exec_lo, s24
	v_cmp_lt_i32_e64 s7, 0, v28
	s_delay_alu instid0(VALU_DEP_1) | instskip(NEXT) | instid1(VALU_DEP_1)
	v_dual_cndmask_b32 v12, 0, v86, s7 :: v_dual_bitop2_b32 v10, 14, v59 bitop3:0x40
	v_dual_sub_nc_u32 v11, v27, v10 :: v_dual_cndmask_b32 v59, v27, v10, vcc_lo
	s_delay_alu instid0(VALU_DEP_1) | instskip(NEXT) | instid1(VALU_DEP_2)
	v_dual_cndmask_b32 v10, 0, v11 :: v_dual_sub_nc_u32 v11, v12, v28
	v_cmp_ne_u32_e32 vcc_lo, 0, v59
	s_delay_alu instid0(VALU_DEP_2) | instskip(NEXT) | instid1(VALU_DEP_3)
	v_add3_u32 v16, v26, v24, v10
	v_lshl_add_u32 v17, v11, 5, v25
	s_and_b32 s7, vcc_lo, exec_lo
.LBB10_699:                             ;   in Loop: Header=BB10_457 Depth=1
	s_or_b32 exec_lo, exec_lo, s23
	s_and_saveexec_b32 s10, s7
	s_cbranch_execz .LBB10_776
.LBB10_700:                             ;   in Loop: Header=BB10_457 Depth=1
	s_delay_alu instid0(VALU_DEP_1) | instskip(SKIP_1) | instid1(VALU_DEP_1)
	v_dual_ashrrev_i32 v10, 31, v17 :: v_dual_ashrrev_i32 v11, 31, v59
	s_mov_b32 s23, exec_lo
	v_dual_lshrrev_b32 v10, 27, v10 :: v_dual_lshrrev_b32 v11, 22, v11
	s_delay_alu instid0(VALU_DEP_1) | instskip(NEXT) | instid1(VALU_DEP_1)
	v_dual_add_nc_u32 v10, v17, v10 :: v_dual_add_nc_u32 v11, v59, v11
	v_dual_ashrrev_i32 v18, 5, v10 :: v_dual_ashrrev_i32 v20, 10, v11
	s_delay_alu instid0(VALU_DEP_1) | instskip(NEXT) | instid1(VALU_DEP_1)
	v_sub_nc_u32_e32 v19, v20, v18
	v_cmpx_lt_i32_e32 0, v19
	s_cbranch_execz .LBB10_768
; %bb.701:                              ;   in Loop: Header=BB10_457 Depth=1
	v_and_b32_e32 v10, 0x7fffffe0, v10
	s_trap 2
	ds_load_b64 v[12:13], v0
	v_lshlrev_b32_e32 v11, 10, v18
	v_add_nc_u64_e32 v[22:23], 0x3c0, v[40:41]
	v_sub_nc_u32_e32 v10, v17, v10
	s_bitcmp0_b64 s[12:13], 0
	s_mov_b32 s24, 0
	s_cselect_b32 vcc_lo, -1, 0
	s_delay_alu instid0(VALU_DEP_1) | instskip(NEXT) | instid1(VALU_DEP_1)
	v_lshlrev_b32_e32 v10, 1, v10
	v_add3_u32 v14, v10, v16, v11
	s_delay_alu instid0(VALU_DEP_1) | instskip(NEXT) | instid1(VALU_DEP_1)
	v_ashrrev_i32_e32 v15, 31, v14
	v_add_nc_u64_e32 v[10:11], v[14:15], v[118:119]
	s_wait_dscnt 0x0
	v_add_nc_u64_e32 v[12:13], v[12:13], v[14:15]
	v_add_nc_u64_e32 v[14:15], v[22:23], v[14:15]
	s_branch .LBB10_703
.LBB10_702:                             ;   in Loop: Header=BB10_703 Depth=2
	s_or_b32 exec_lo, exec_lo, s25
	v_sub_nc_u32_e32 v19, v19, v86
	s_clause 0xf
	flat_store_d16_hi_b16 v[14:15], v21 offset:-960 th:TH_STORE_NT
	flat_store_d16_hi_b16 v[14:15], v24 offset:-896 th:TH_STORE_NT
	;; [unrolled: 1-line block ×15, first 2 shown]
	flat_store_d16_hi_b16 v[14:15], v22 th:TH_STORE_NT
	v_add_nc_u64_e32 v[10:11], v[10:11], v[102:103]
	v_add_nc_u64_e32 v[12:13], v[12:13], v[102:103]
	v_cmp_gt_i32_e64 s7, 1, v19
	s_wait_xcnt 0x0
	v_add_nc_u64_e32 v[14:15], v[14:15], v[102:103]
	s_or_b32 s24, s7, s24
	s_delay_alu instid0(SALU_CYCLE_1)
	s_and_not1_b32 exec_lo, exec_lo, s24
	s_cbranch_execz .LBB10_767
.LBB10_703:                             ;   Parent Loop BB10_457 Depth=1
                                        ; =>  This Inner Loop Header: Depth=2
	s_clause 0x6
	flat_load_u16 v27, v[12:13] offset:128 th:TH_LOAD_NT
	flat_load_u16 v32, v[12:13] offset:192 th:TH_LOAD_NT
	;; [unrolled: 1-line block ×6, first 2 shown]
	flat_load_u16 v21, v[12:13] th:TH_LOAD_NT
	s_clause 0x7
	flat_load_u16 v63, v[10:11] offset:128 th:TH_LOAD_NT
	flat_load_u16 v62, v[10:11] offset:192 th:TH_LOAD_NT
	;; [unrolled: 1-line block ×6, first 2 shown]
	flat_load_u16 v73, v[10:11] th:TH_LOAD_NT
	flat_load_u16 v24, v[10:11] offset:64 th:TH_LOAD_NT
	flat_load_u16 v72, v[12:13] offset:64 th:TH_LOAD_NT
	s_clause 0x7
	flat_load_u16 v43, v[10:11] offset:512 th:TH_LOAD_NT
	flat_load_u16 v50, v[10:11] offset:576 th:TH_LOAD_NT
	flat_load_u16 v39, v[10:11] offset:640 th:TH_LOAD_NT
	flat_load_u16 v36, v[10:11] offset:704 th:TH_LOAD_NT
	flat_load_u16 v33, v[10:11] offset:768 th:TH_LOAD_NT
	flat_load_u16 v28, v[10:11] offset:832 th:TH_LOAD_NT
	flat_load_u16 v25, v[10:11] offset:896 th:TH_LOAD_NT
	flat_load_u16 v22, v[10:11] offset:960 th:TH_LOAD_NT
	s_clause 0x7
	flat_load_u16 v44, v[12:13] offset:512 th:TH_LOAD_NT
	flat_load_u16 v51, v[12:13] offset:576 th:TH_LOAD_NT
	;; [unrolled: 1-line block ×8, first 2 shown]
	s_wait_loadcnt_dscnt 0x1919
	v_lshlrev_b32_e32 v21, 16, v21
	s_delay_alu instid0(VALU_DEP_1) | instskip(SKIP_2) | instid1(VALU_DEP_1)
	v_max_num_f32_e32 v21, v21, v21
	s_wait_loadcnt_dscnt 0x1212
	v_lshlrev_b32_e32 v73, 16, v73
	v_max_num_f32_e32 v73, v73, v73
	s_delay_alu instid0(VALU_DEP_1) | instskip(NEXT) | instid1(VALU_DEP_1)
	v_dual_min_num_f32 v74, v73, v21 :: v_dual_max_num_f32 v21, v73, v21
	v_cndmask_b32_e32 v73, v21, v74, vcc_lo
	s_delay_alu instid0(VALU_DEP_1) | instskip(NEXT) | instid1(VALU_DEP_1)
	v_and_b32_e32 v21, 0x7f800000, v73
	v_cmp_ne_u32_e64 s7, 0x7f800000, v21
                                        ; implicit-def: $vgpr21
	s_wait_xcnt 0x0
	s_and_saveexec_b32 s25, s7
	s_delay_alu instid0(SALU_CYCLE_1)
	s_xor_b32 s7, exec_lo, s25
; %bb.704:                              ;   in Loop: Header=BB10_703 Depth=2
	v_bfe_u32 v21, v73, 16, 1
	s_delay_alu instid0(VALU_DEP_1)
	v_add3_u32 v21, v73, v21, 0x7fff
                                        ; implicit-def: $vgpr73
; %bb.705:                              ;   in Loop: Header=BB10_703 Depth=2
	s_and_not1_saveexec_b32 s25, s7
; %bb.706:                              ;   in Loop: Header=BB10_703 Depth=2
	v_and_b32_e32 v21, 0xffff, v73
	v_or_b32_e32 v74, 0x10000, v73
	s_delay_alu instid0(VALU_DEP_2) | instskip(NEXT) | instid1(VALU_DEP_1)
	v_cmp_eq_u32_e64 s7, 0, v21
	v_cndmask_b32_e64 v21, v74, v73, s7
; %bb.707:                              ;   in Loop: Header=BB10_703 Depth=2
	s_or_b32 exec_lo, exec_lo, s25
	s_wait_loadcnt_dscnt 0x1010
	v_lshlrev_b32_e32 v72, 16, v72
	v_lshlrev_b32_e32 v24, 16, v24
	s_delay_alu instid0(VALU_DEP_2) | instskip(NEXT) | instid1(VALU_DEP_2)
	v_max_num_f32_e32 v72, v72, v72
	v_max_num_f32_e32 v24, v24, v24
	s_delay_alu instid0(VALU_DEP_1) | instskip(NEXT) | instid1(VALU_DEP_1)
	v_dual_min_num_f32 v73, v24, v72 :: v_dual_max_num_f32 v24, v24, v72
	v_cndmask_b32_e32 v72, v24, v73, vcc_lo
	s_delay_alu instid0(VALU_DEP_1) | instskip(NEXT) | instid1(VALU_DEP_1)
	v_and_b32_e32 v24, 0x7f800000, v72
	v_cmp_ne_u32_e64 s7, 0x7f800000, v24
                                        ; implicit-def: $vgpr24
	s_and_saveexec_b32 s25, s7
	s_delay_alu instid0(SALU_CYCLE_1)
	s_xor_b32 s7, exec_lo, s25
; %bb.708:                              ;   in Loop: Header=BB10_703 Depth=2
	v_bfe_u32 v24, v72, 16, 1
	s_delay_alu instid0(VALU_DEP_1)
	v_add3_u32 v24, v72, v24, 0x7fff
                                        ; implicit-def: $vgpr72
; %bb.709:                              ;   in Loop: Header=BB10_703 Depth=2
	s_and_not1_saveexec_b32 s25, s7
; %bb.710:                              ;   in Loop: Header=BB10_703 Depth=2
	v_and_b32_e32 v24, 0xffff, v72
	v_or_b32_e32 v73, 0x10000, v72
	s_delay_alu instid0(VALU_DEP_2) | instskip(NEXT) | instid1(VALU_DEP_1)
	v_cmp_eq_u32_e64 s7, 0, v24
	v_cndmask_b32_e64 v24, v73, v72, s7
; %bb.711:                              ;   in Loop: Header=BB10_703 Depth=2
	s_or_b32 exec_lo, exec_lo, s25
	v_lshlrev_b32_e32 v27, 16, v27
	v_lshlrev_b32_e32 v63, 16, v63
	s_delay_alu instid0(VALU_DEP_2) | instskip(NEXT) | instid1(VALU_DEP_2)
	v_max_num_f32_e32 v27, v27, v27
	v_max_num_f32_e32 v63, v63, v63
	s_delay_alu instid0(VALU_DEP_1) | instskip(NEXT) | instid1(VALU_DEP_1)
	v_dual_min_num_f32 v72, v63, v27 :: v_dual_max_num_f32 v27, v63, v27
	v_cndmask_b32_e32 v63, v27, v72, vcc_lo
	s_delay_alu instid0(VALU_DEP_1) | instskip(NEXT) | instid1(VALU_DEP_1)
	v_and_b32_e32 v27, 0x7f800000, v63
	v_cmp_ne_u32_e64 s7, 0x7f800000, v27
                                        ; implicit-def: $vgpr27
	s_and_saveexec_b32 s25, s7
	s_delay_alu instid0(SALU_CYCLE_1)
	s_xor_b32 s7, exec_lo, s25
; %bb.712:                              ;   in Loop: Header=BB10_703 Depth=2
	v_bfe_u32 v27, v63, 16, 1
	s_delay_alu instid0(VALU_DEP_1)
	v_add3_u32 v27, v63, v27, 0x7fff
                                        ; implicit-def: $vgpr63
; %bb.713:                              ;   in Loop: Header=BB10_703 Depth=2
	s_and_not1_saveexec_b32 s25, s7
; %bb.714:                              ;   in Loop: Header=BB10_703 Depth=2
	v_and_b32_e32 v27, 0xffff, v63
	v_or_b32_e32 v72, 0x10000, v63
	s_delay_alu instid0(VALU_DEP_2) | instskip(NEXT) | instid1(VALU_DEP_1)
	v_cmp_eq_u32_e64 s7, 0, v27
	v_cndmask_b32_e64 v27, v72, v63, s7
; %bb.715:                              ;   in Loop: Header=BB10_703 Depth=2
	s_or_b32 exec_lo, exec_lo, s25
	v_dual_lshlrev_b32 v32, 16, v32 :: v_dual_lshlrev_b32 v62, 16, v62
	s_delay_alu instid0(VALU_DEP_1) | instskip(NEXT) | instid1(VALU_DEP_1)
	v_dual_max_num_f32 v32, v32, v32 :: v_dual_max_num_f32 v62, v62, v62
	v_dual_min_num_f32 v63, v62, v32 :: v_dual_max_num_f32 v32, v62, v32
	s_delay_alu instid0(VALU_DEP_1) | instskip(NEXT) | instid1(VALU_DEP_1)
	v_cndmask_b32_e32 v62, v32, v63, vcc_lo
	v_and_b32_e32 v32, 0x7f800000, v62
	s_delay_alu instid0(VALU_DEP_1) | instskip(SKIP_1) | instid1(SALU_CYCLE_1)
	v_cmp_ne_u32_e64 s7, 0x7f800000, v32
                                        ; implicit-def: $vgpr32
	s_and_saveexec_b32 s25, s7
	s_xor_b32 s7, exec_lo, s25
; %bb.716:                              ;   in Loop: Header=BB10_703 Depth=2
	v_bfe_u32 v32, v62, 16, 1
	s_delay_alu instid0(VALU_DEP_1)
	v_add3_u32 v32, v62, v32, 0x7fff
                                        ; implicit-def: $vgpr62
; %bb.717:                              ;   in Loop: Header=BB10_703 Depth=2
	s_and_not1_saveexec_b32 s25, s7
; %bb.718:                              ;   in Loop: Header=BB10_703 Depth=2
	v_and_b32_e32 v32, 0xffff, v62
	v_or_b32_e32 v63, 0x10000, v62
	s_delay_alu instid0(VALU_DEP_2) | instskip(NEXT) | instid1(VALU_DEP_1)
	v_cmp_eq_u32_e64 s7, 0, v32
	v_cndmask_b32_e64 v32, v63, v62, s7
; %bb.719:                              ;   in Loop: Header=BB10_703 Depth=2
	s_or_b32 exec_lo, exec_lo, s25
	v_dual_lshlrev_b32 v35, 16, v35 :: v_dual_lshlrev_b32 v61, 16, v61
	s_delay_alu instid0(VALU_DEP_1) | instskip(NEXT) | instid1(VALU_DEP_1)
	v_dual_max_num_f32 v35, v35, v35 :: v_dual_max_num_f32 v61, v61, v61
	v_dual_min_num_f32 v62, v61, v35 :: v_dual_max_num_f32 v35, v61, v35
	s_delay_alu instid0(VALU_DEP_1) | instskip(NEXT) | instid1(VALU_DEP_1)
	v_cndmask_b32_e32 v61, v35, v62, vcc_lo
	v_and_b32_e32 v35, 0x7f800000, v61
	s_delay_alu instid0(VALU_DEP_1) | instskip(SKIP_1) | instid1(SALU_CYCLE_1)
	v_cmp_ne_u32_e64 s7, 0x7f800000, v35
                                        ; implicit-def: $vgpr35
	s_and_saveexec_b32 s25, s7
	s_xor_b32 s7, exec_lo, s25
; %bb.720:                              ;   in Loop: Header=BB10_703 Depth=2
	v_bfe_u32 v35, v61, 16, 1
	s_delay_alu instid0(VALU_DEP_1)
	v_add3_u32 v35, v61, v35, 0x7fff
                                        ; implicit-def: $vgpr61
; %bb.721:                              ;   in Loop: Header=BB10_703 Depth=2
	s_and_not1_saveexec_b32 s25, s7
; %bb.722:                              ;   in Loop: Header=BB10_703 Depth=2
	v_and_b32_e32 v35, 0xffff, v61
	v_or_b32_e32 v62, 0x10000, v61
	s_delay_alu instid0(VALU_DEP_2) | instskip(NEXT) | instid1(VALU_DEP_1)
	v_cmp_eq_u32_e64 s7, 0, v35
	v_cndmask_b32_e64 v35, v62, v61, s7
; %bb.723:                              ;   in Loop: Header=BB10_703 Depth=2
	s_or_b32 exec_lo, exec_lo, s25
	v_dual_lshlrev_b32 v38, 16, v38 :: v_dual_lshlrev_b32 v47, 16, v47
	s_delay_alu instid0(VALU_DEP_1) | instskip(NEXT) | instid1(VALU_DEP_1)
	v_dual_max_num_f32 v38, v38, v38 :: v_dual_max_num_f32 v47, v47, v47
	v_dual_min_num_f32 v61, v47, v38 :: v_dual_max_num_f32 v38, v47, v38
	s_delay_alu instid0(VALU_DEP_1) | instskip(NEXT) | instid1(VALU_DEP_1)
	v_cndmask_b32_e32 v47, v38, v61, vcc_lo
	v_and_b32_e32 v38, 0x7f800000, v47
	s_delay_alu instid0(VALU_DEP_1) | instskip(SKIP_1) | instid1(SALU_CYCLE_1)
	v_cmp_ne_u32_e64 s7, 0x7f800000, v38
                                        ; implicit-def: $vgpr38
	s_and_saveexec_b32 s25, s7
	s_xor_b32 s7, exec_lo, s25
; %bb.724:                              ;   in Loop: Header=BB10_703 Depth=2
	v_bfe_u32 v38, v47, 16, 1
	s_delay_alu instid0(VALU_DEP_1)
	v_add3_u32 v38, v47, v38, 0x7fff
                                        ; implicit-def: $vgpr47
; %bb.725:                              ;   in Loop: Header=BB10_703 Depth=2
	s_and_not1_saveexec_b32 s25, s7
; %bb.726:                              ;   in Loop: Header=BB10_703 Depth=2
	v_and_b32_e32 v38, 0xffff, v47
	v_or_b32_e32 v61, 0x10000, v47
	s_delay_alu instid0(VALU_DEP_2) | instskip(NEXT) | instid1(VALU_DEP_1)
	v_cmp_eq_u32_e64 s7, 0, v38
	v_cndmask_b32_e64 v38, v61, v47, s7
; %bb.727:                              ;   in Loop: Header=BB10_703 Depth=2
	s_or_b32 exec_lo, exec_lo, s25
	v_dual_lshlrev_b32 v49, 16, v49 :: v_dual_lshlrev_b32 v46, 16, v46
	s_delay_alu instid0(VALU_DEP_1) | instskip(NEXT) | instid1(VALU_DEP_1)
	v_dual_max_num_f32 v49, v49, v49 :: v_dual_max_num_f32 v46, v46, v46
	v_dual_min_num_f32 v47, v46, v49 :: v_dual_max_num_f32 v49, v46, v49
	s_delay_alu instid0(VALU_DEP_1) | instskip(NEXT) | instid1(VALU_DEP_1)
	v_cndmask_b32_e32 v46, v49, v47, vcc_lo
	v_and_b32_e32 v49, 0x7f800000, v46
	s_delay_alu instid0(VALU_DEP_1) | instskip(SKIP_1) | instid1(SALU_CYCLE_1)
	v_cmp_ne_u32_e64 s7, 0x7f800000, v49
                                        ; implicit-def: $vgpr49
	s_and_saveexec_b32 s25, s7
	s_xor_b32 s7, exec_lo, s25
; %bb.728:                              ;   in Loop: Header=BB10_703 Depth=2
	v_bfe_u32 v49, v46, 16, 1
	s_delay_alu instid0(VALU_DEP_1)
	v_add3_u32 v49, v46, v49, 0x7fff
                                        ; implicit-def: $vgpr46
; %bb.729:                              ;   in Loop: Header=BB10_703 Depth=2
	s_and_not1_saveexec_b32 s25, s7
; %bb.730:                              ;   in Loop: Header=BB10_703 Depth=2
	v_and_b32_e32 v49, 0xffff, v46
	v_or_b32_e32 v47, 0x10000, v46
	s_delay_alu instid0(VALU_DEP_2) | instskip(NEXT) | instid1(VALU_DEP_1)
	v_cmp_eq_u32_e64 s7, 0, v49
	v_cndmask_b32_e64 v49, v47, v46, s7
; %bb.731:                              ;   in Loop: Header=BB10_703 Depth=2
	s_or_b32 exec_lo, exec_lo, s25
	v_dual_lshlrev_b32 v42, 16, v42 :: v_dual_lshlrev_b32 v45, 16, v45
	s_delay_alu instid0(VALU_DEP_1) | instskip(NEXT) | instid1(VALU_DEP_1)
	v_dual_max_num_f32 v42, v42, v42 :: v_dual_max_num_f32 v45, v45, v45
	v_dual_min_num_f32 v46, v45, v42 :: v_dual_max_num_f32 v42, v45, v42
	s_delay_alu instid0(VALU_DEP_1) | instskip(NEXT) | instid1(VALU_DEP_1)
	v_cndmask_b32_e32 v45, v42, v46, vcc_lo
	v_and_b32_e32 v42, 0x7f800000, v45
	s_delay_alu instid0(VALU_DEP_1) | instskip(SKIP_1) | instid1(SALU_CYCLE_1)
	v_cmp_ne_u32_e64 s7, 0x7f800000, v42
                                        ; implicit-def: $vgpr42
	s_and_saveexec_b32 s25, s7
	s_xor_b32 s7, exec_lo, s25
; %bb.732:                              ;   in Loop: Header=BB10_703 Depth=2
	v_bfe_u32 v42, v45, 16, 1
	s_delay_alu instid0(VALU_DEP_1)
	v_add3_u32 v42, v45, v42, 0x7fff
                                        ; implicit-def: $vgpr45
; %bb.733:                              ;   in Loop: Header=BB10_703 Depth=2
	s_and_not1_saveexec_b32 s25, s7
; %bb.734:                              ;   in Loop: Header=BB10_703 Depth=2
	v_and_b32_e32 v42, 0xffff, v45
	v_or_b32_e32 v46, 0x10000, v45
	s_delay_alu instid0(VALU_DEP_2) | instskip(NEXT) | instid1(VALU_DEP_1)
	v_cmp_eq_u32_e64 s7, 0, v42
	v_cndmask_b32_e64 v42, v46, v45, s7
; %bb.735:                              ;   in Loop: Header=BB10_703 Depth=2
	s_or_b32 exec_lo, exec_lo, s25
	s_wait_loadcnt_dscnt 0x707
	v_dual_lshlrev_b32 v44, 16, v44 :: v_dual_lshlrev_b32 v43, 16, v43
	s_delay_alu instid0(VALU_DEP_1) | instskip(NEXT) | instid1(VALU_DEP_1)
	v_dual_max_num_f32 v44, v44, v44 :: v_dual_max_num_f32 v43, v43, v43
	v_dual_min_num_f32 v45, v43, v44 :: v_dual_max_num_f32 v43, v43, v44
	s_delay_alu instid0(VALU_DEP_1) | instskip(NEXT) | instid1(VALU_DEP_1)
	v_cndmask_b32_e32 v44, v43, v45, vcc_lo
	v_and_b32_e32 v43, 0x7f800000, v44
	s_delay_alu instid0(VALU_DEP_1) | instskip(SKIP_1) | instid1(SALU_CYCLE_1)
	v_cmp_ne_u32_e64 s7, 0x7f800000, v43
                                        ; implicit-def: $vgpr43
	s_and_saveexec_b32 s25, s7
	s_xor_b32 s7, exec_lo, s25
; %bb.736:                              ;   in Loop: Header=BB10_703 Depth=2
	v_bfe_u32 v43, v44, 16, 1
	s_delay_alu instid0(VALU_DEP_1)
	v_add3_u32 v43, v44, v43, 0x7fff
                                        ; implicit-def: $vgpr44
; %bb.737:                              ;   in Loop: Header=BB10_703 Depth=2
	s_and_not1_saveexec_b32 s25, s7
; %bb.738:                              ;   in Loop: Header=BB10_703 Depth=2
	v_and_b32_e32 v43, 0xffff, v44
	v_or_b32_e32 v45, 0x10000, v44
	s_delay_alu instid0(VALU_DEP_2) | instskip(NEXT) | instid1(VALU_DEP_1)
	v_cmp_eq_u32_e64 s7, 0, v43
	v_cndmask_b32_e64 v43, v45, v44, s7
; %bb.739:                              ;   in Loop: Header=BB10_703 Depth=2
	s_or_b32 exec_lo, exec_lo, s25
	s_wait_loadcnt_dscnt 0x606
	v_dual_lshlrev_b32 v51, 16, v51 :: v_dual_lshlrev_b32 v50, 16, v50
	s_delay_alu instid0(VALU_DEP_1) | instskip(NEXT) | instid1(VALU_DEP_1)
	v_dual_max_num_f32 v51, v51, v51 :: v_dual_max_num_f32 v50, v50, v50
	v_dual_min_num_f32 v44, v50, v51 :: v_dual_max_num_f32 v50, v50, v51
	s_delay_alu instid0(VALU_DEP_1) | instskip(NEXT) | instid1(VALU_DEP_1)
	v_cndmask_b32_e32 v51, v50, v44, vcc_lo
	v_and_b32_e32 v50, 0x7f800000, v51
	s_delay_alu instid0(VALU_DEP_1) | instskip(SKIP_1) | instid1(SALU_CYCLE_1)
	v_cmp_ne_u32_e64 s7, 0x7f800000, v50
                                        ; implicit-def: $vgpr50
	s_and_saveexec_b32 s25, s7
	s_xor_b32 s7, exec_lo, s25
; %bb.740:                              ;   in Loop: Header=BB10_703 Depth=2
	v_bfe_u32 v50, v51, 16, 1
	s_delay_alu instid0(VALU_DEP_1)
	v_add3_u32 v50, v51, v50, 0x7fff
                                        ; implicit-def: $vgpr51
; %bb.741:                              ;   in Loop: Header=BB10_703 Depth=2
	s_and_not1_saveexec_b32 s25, s7
; %bb.742:                              ;   in Loop: Header=BB10_703 Depth=2
	v_and_b32_e32 v50, 0xffff, v51
	v_or_b32_e32 v44, 0x10000, v51
	s_delay_alu instid0(VALU_DEP_2) | instskip(NEXT) | instid1(VALU_DEP_1)
	v_cmp_eq_u32_e64 s7, 0, v50
	v_cndmask_b32_e64 v50, v44, v51, s7
; %bb.743:                              ;   in Loop: Header=BB10_703 Depth=2
	s_or_b32 exec_lo, exec_lo, s25
	s_wait_loadcnt_dscnt 0x505
	v_dual_lshlrev_b32 v48, 16, v48 :: v_dual_lshlrev_b32 v39, 16, v39
	s_delay_alu instid0(VALU_DEP_1) | instskip(NEXT) | instid1(VALU_DEP_1)
	v_dual_max_num_f32 v48, v48, v48 :: v_dual_max_num_f32 v39, v39, v39
	v_dual_min_num_f32 v51, v39, v48 :: v_dual_max_num_f32 v39, v39, v48
	s_delay_alu instid0(VALU_DEP_1) | instskip(NEXT) | instid1(VALU_DEP_1)
	v_cndmask_b32_e32 v48, v39, v51, vcc_lo
	v_and_b32_e32 v39, 0x7f800000, v48
	s_delay_alu instid0(VALU_DEP_1) | instskip(SKIP_1) | instid1(SALU_CYCLE_1)
	v_cmp_ne_u32_e64 s7, 0x7f800000, v39
                                        ; implicit-def: $vgpr39
	s_and_saveexec_b32 s25, s7
	s_xor_b32 s7, exec_lo, s25
; %bb.744:                              ;   in Loop: Header=BB10_703 Depth=2
	v_bfe_u32 v39, v48, 16, 1
	s_delay_alu instid0(VALU_DEP_1)
	v_add3_u32 v39, v48, v39, 0x7fff
                                        ; implicit-def: $vgpr48
; %bb.745:                              ;   in Loop: Header=BB10_703 Depth=2
	s_and_not1_saveexec_b32 s25, s7
; %bb.746:                              ;   in Loop: Header=BB10_703 Depth=2
	v_and_b32_e32 v39, 0xffff, v48
	v_or_b32_e32 v51, 0x10000, v48
	s_delay_alu instid0(VALU_DEP_2) | instskip(NEXT) | instid1(VALU_DEP_1)
	v_cmp_eq_u32_e64 s7, 0, v39
	v_cndmask_b32_e64 v39, v51, v48, s7
; %bb.747:                              ;   in Loop: Header=BB10_703 Depth=2
	s_or_b32 exec_lo, exec_lo, s25
	s_wait_loadcnt_dscnt 0x404
	v_dual_lshlrev_b32 v37, 16, v37 :: v_dual_lshlrev_b32 v36, 16, v36
	s_delay_alu instid0(VALU_DEP_1) | instskip(NEXT) | instid1(VALU_DEP_1)
	v_dual_max_num_f32 v37, v37, v37 :: v_dual_max_num_f32 v36, v36, v36
	v_dual_min_num_f32 v48, v36, v37 :: v_dual_max_num_f32 v36, v36, v37
	s_delay_alu instid0(VALU_DEP_1) | instskip(NEXT) | instid1(VALU_DEP_1)
	v_cndmask_b32_e32 v37, v36, v48, vcc_lo
	v_and_b32_e32 v36, 0x7f800000, v37
	s_delay_alu instid0(VALU_DEP_1) | instskip(SKIP_1) | instid1(SALU_CYCLE_1)
	v_cmp_ne_u32_e64 s7, 0x7f800000, v36
                                        ; implicit-def: $vgpr36
	s_and_saveexec_b32 s25, s7
	s_xor_b32 s7, exec_lo, s25
; %bb.748:                              ;   in Loop: Header=BB10_703 Depth=2
	v_bfe_u32 v36, v37, 16, 1
	s_delay_alu instid0(VALU_DEP_1)
	v_add3_u32 v36, v37, v36, 0x7fff
                                        ; implicit-def: $vgpr37
; %bb.749:                              ;   in Loop: Header=BB10_703 Depth=2
	s_and_not1_saveexec_b32 s25, s7
; %bb.750:                              ;   in Loop: Header=BB10_703 Depth=2
	v_and_b32_e32 v36, 0xffff, v37
	v_or_b32_e32 v48, 0x10000, v37
	s_delay_alu instid0(VALU_DEP_2) | instskip(NEXT) | instid1(VALU_DEP_1)
	v_cmp_eq_u32_e64 s7, 0, v36
	v_cndmask_b32_e64 v36, v48, v37, s7
; %bb.751:                              ;   in Loop: Header=BB10_703 Depth=2
	s_or_b32 exec_lo, exec_lo, s25
	s_wait_loadcnt_dscnt 0x303
	v_dual_lshlrev_b32 v34, 16, v34 :: v_dual_lshlrev_b32 v33, 16, v33
	s_delay_alu instid0(VALU_DEP_1) | instskip(NEXT) | instid1(VALU_DEP_1)
	v_dual_max_num_f32 v34, v34, v34 :: v_dual_max_num_f32 v33, v33, v33
	v_dual_min_num_f32 v37, v33, v34 :: v_dual_max_num_f32 v33, v33, v34
	s_delay_alu instid0(VALU_DEP_1) | instskip(NEXT) | instid1(VALU_DEP_1)
	v_cndmask_b32_e32 v34, v33, v37, vcc_lo
	v_and_b32_e32 v33, 0x7f800000, v34
	s_delay_alu instid0(VALU_DEP_1) | instskip(SKIP_1) | instid1(SALU_CYCLE_1)
	v_cmp_ne_u32_e64 s7, 0x7f800000, v33
                                        ; implicit-def: $vgpr33
	s_and_saveexec_b32 s25, s7
	s_xor_b32 s7, exec_lo, s25
; %bb.752:                              ;   in Loop: Header=BB10_703 Depth=2
	v_bfe_u32 v33, v34, 16, 1
	s_delay_alu instid0(VALU_DEP_1)
	v_add3_u32 v33, v34, v33, 0x7fff
                                        ; implicit-def: $vgpr34
; %bb.753:                              ;   in Loop: Header=BB10_703 Depth=2
	s_and_not1_saveexec_b32 s25, s7
; %bb.754:                              ;   in Loop: Header=BB10_703 Depth=2
	v_and_b32_e32 v33, 0xffff, v34
	v_or_b32_e32 v37, 0x10000, v34
	s_delay_alu instid0(VALU_DEP_2) | instskip(NEXT) | instid1(VALU_DEP_1)
	v_cmp_eq_u32_e64 s7, 0, v33
	v_cndmask_b32_e64 v33, v37, v34, s7
; %bb.755:                              ;   in Loop: Header=BB10_703 Depth=2
	s_or_b32 exec_lo, exec_lo, s25
	s_wait_loadcnt_dscnt 0x202
	v_dual_lshlrev_b32 v29, 16, v29 :: v_dual_lshlrev_b32 v28, 16, v28
	s_delay_alu instid0(VALU_DEP_1) | instskip(NEXT) | instid1(VALU_DEP_1)
	v_dual_max_num_f32 v29, v29, v29 :: v_dual_max_num_f32 v28, v28, v28
	v_dual_min_num_f32 v34, v28, v29 :: v_dual_max_num_f32 v28, v28, v29
	s_delay_alu instid0(VALU_DEP_1) | instskip(NEXT) | instid1(VALU_DEP_1)
	v_cndmask_b32_e32 v29, v28, v34, vcc_lo
	v_and_b32_e32 v28, 0x7f800000, v29
	s_delay_alu instid0(VALU_DEP_1) | instskip(SKIP_1) | instid1(SALU_CYCLE_1)
	v_cmp_ne_u32_e64 s7, 0x7f800000, v28
                                        ; implicit-def: $vgpr28
	s_and_saveexec_b32 s25, s7
	s_xor_b32 s7, exec_lo, s25
; %bb.756:                              ;   in Loop: Header=BB10_703 Depth=2
	v_bfe_u32 v28, v29, 16, 1
	s_delay_alu instid0(VALU_DEP_1)
	v_add3_u32 v28, v29, v28, 0x7fff
                                        ; implicit-def: $vgpr29
; %bb.757:                              ;   in Loop: Header=BB10_703 Depth=2
	s_and_not1_saveexec_b32 s25, s7
; %bb.758:                              ;   in Loop: Header=BB10_703 Depth=2
	v_and_b32_e32 v28, 0xffff, v29
	v_or_b32_e32 v34, 0x10000, v29
	s_delay_alu instid0(VALU_DEP_2) | instskip(NEXT) | instid1(VALU_DEP_1)
	v_cmp_eq_u32_e64 s7, 0, v28
	v_cndmask_b32_e64 v28, v34, v29, s7
; %bb.759:                              ;   in Loop: Header=BB10_703 Depth=2
	s_or_b32 exec_lo, exec_lo, s25
	s_wait_loadcnt_dscnt 0x101
	v_dual_lshlrev_b32 v26, 16, v26 :: v_dual_lshlrev_b32 v25, 16, v25
	s_delay_alu instid0(VALU_DEP_1) | instskip(NEXT) | instid1(VALU_DEP_1)
	v_dual_max_num_f32 v26, v26, v26 :: v_dual_max_num_f32 v25, v25, v25
	v_dual_min_num_f32 v29, v25, v26 :: v_dual_max_num_f32 v25, v25, v26
	s_delay_alu instid0(VALU_DEP_1) | instskip(NEXT) | instid1(VALU_DEP_1)
	v_cndmask_b32_e32 v26, v25, v29, vcc_lo
	v_and_b32_e32 v25, 0x7f800000, v26
	s_delay_alu instid0(VALU_DEP_1) | instskip(SKIP_1) | instid1(SALU_CYCLE_1)
	v_cmp_ne_u32_e64 s7, 0x7f800000, v25
                                        ; implicit-def: $vgpr25
	s_and_saveexec_b32 s25, s7
	s_xor_b32 s7, exec_lo, s25
; %bb.760:                              ;   in Loop: Header=BB10_703 Depth=2
	v_bfe_u32 v25, v26, 16, 1
	s_delay_alu instid0(VALU_DEP_1)
	v_add3_u32 v25, v26, v25, 0x7fff
                                        ; implicit-def: $vgpr26
; %bb.761:                              ;   in Loop: Header=BB10_703 Depth=2
	s_and_not1_saveexec_b32 s25, s7
; %bb.762:                              ;   in Loop: Header=BB10_703 Depth=2
	v_and_b32_e32 v25, 0xffff, v26
	v_or_b32_e32 v29, 0x10000, v26
	s_delay_alu instid0(VALU_DEP_2) | instskip(NEXT) | instid1(VALU_DEP_1)
	v_cmp_eq_u32_e64 s7, 0, v25
	v_cndmask_b32_e64 v25, v29, v26, s7
; %bb.763:                              ;   in Loop: Header=BB10_703 Depth=2
	s_or_b32 exec_lo, exec_lo, s25
	s_wait_loadcnt_dscnt 0x0
	v_dual_lshlrev_b32 v23, 16, v23 :: v_dual_lshlrev_b32 v22, 16, v22
	s_delay_alu instid0(VALU_DEP_1) | instskip(NEXT) | instid1(VALU_DEP_1)
	v_dual_max_num_f32 v23, v23, v23 :: v_dual_max_num_f32 v22, v22, v22
	v_dual_min_num_f32 v26, v22, v23 :: v_dual_max_num_f32 v22, v22, v23
	s_delay_alu instid0(VALU_DEP_1) | instskip(NEXT) | instid1(VALU_DEP_1)
	v_cndmask_b32_e32 v23, v22, v26, vcc_lo
	v_and_b32_e32 v22, 0x7f800000, v23
	s_delay_alu instid0(VALU_DEP_1) | instskip(SKIP_1) | instid1(SALU_CYCLE_1)
	v_cmp_ne_u32_e64 s7, 0x7f800000, v22
                                        ; implicit-def: $vgpr22
	s_and_saveexec_b32 s25, s7
	s_xor_b32 s7, exec_lo, s25
; %bb.764:                              ;   in Loop: Header=BB10_703 Depth=2
	v_bfe_u32 v22, v23, 16, 1
	s_delay_alu instid0(VALU_DEP_1)
	v_add3_u32 v22, v23, v22, 0x7fff
                                        ; implicit-def: $vgpr23
; %bb.765:                              ;   in Loop: Header=BB10_703 Depth=2
	s_and_not1_saveexec_b32 s25, s7
	s_cbranch_execz .LBB10_702
; %bb.766:                              ;   in Loop: Header=BB10_703 Depth=2
	v_and_b32_e32 v22, 0xffff, v23
	v_or_b32_e32 v26, 0x10000, v23
	s_delay_alu instid0(VALU_DEP_2) | instskip(NEXT) | instid1(VALU_DEP_1)
	v_cmp_eq_u32_e64 s7, 0, v22
	v_cndmask_b32_e64 v22, v26, v23, s7
	s_branch .LBB10_702
.LBB10_767:                             ;   in Loop: Header=BB10_457 Depth=1
	s_or_b32 exec_lo, exec_lo, s24
.LBB10_768:                             ;   in Loop: Header=BB10_457 Depth=1
	s_delay_alu instid0(SALU_CYCLE_1) | instskip(SKIP_1) | instid1(VALU_DEP_1)
	s_or_b32 exec_lo, exec_lo, s23
	v_lshlrev_b32_e32 v10, 10, v20
	v_cmp_ne_u32_e32 vcc_lo, v59, v10
	s_and_b32 exec_lo, exec_lo, vcc_lo
	s_cbranch_execz .LBB10_776
; %bb.769:                              ;   in Loop: Header=BB10_457 Depth=1
	v_dual_lshlrev_b32 v11, 5, v18 :: v_dual_lshlrev_b32 v12, 5, v19
	s_delay_alu instid0(VALU_DEP_1) | instskip(NEXT) | instid1(VALU_DEP_1)
	v_sub_nc_u32_e32 v11, v17, v11
	v_sub_nc_u32_e32 v11, v11, v12
	s_delay_alu instid0(VALU_DEP_1) | instskip(NEXT) | instid1(VALU_DEP_1)
	v_ashrrev_i32_e32 v12, 31, v11
	v_lshrrev_b32_e32 v12, 27, v12
	s_delay_alu instid0(VALU_DEP_1) | instskip(NEXT) | instid1(VALU_DEP_1)
	v_add_nc_u32_e32 v12, v11, v12
	v_and_b32_e32 v13, 0x7fffffe0, v12
	s_delay_alu instid0(VALU_DEP_1) | instskip(NEXT) | instid1(VALU_DEP_1)
	v_dual_lshlrev_b32 v12, 1, v12 :: v_dual_sub_nc_u32 v11, v11, v13
	v_and_b32_e32 v12, 0xffffffc0, v12
	s_delay_alu instid0(VALU_DEP_2) | instskip(NEXT) | instid1(VALU_DEP_1)
	v_lshlrev_b32_e32 v11, 1, v11
	v_add3_u32 v10, v12, v11, v10
	s_delay_alu instid0(VALU_DEP_1) | instskip(NEXT) | instid1(VALU_DEP_1)
	v_sub_nc_u32_e32 v17, v59, v10
	v_cmp_lt_i32_e32 vcc_lo, 1, v17
	s_and_b32 exec_lo, exec_lo, vcc_lo
	s_cbranch_execz .LBB10_776
; %bb.770:                              ;   in Loop: Header=BB10_457 Depth=1
	s_trap 2
	ds_load_b64 v[12:13], v0
	v_add_nc_u32_e32 v14, v10, v16
	s_bitcmp0_b64 s[12:13], 0
	s_mov_b32 s12, 0
	s_cselect_b32 vcc_lo, -1, 0
	s_delay_alu instid0(VALU_DEP_1) | instskip(NEXT) | instid1(VALU_DEP_1)
	v_ashrrev_i32_e32 v15, 31, v14
	v_add_nc_u64_e32 v[10:11], v[14:15], v[118:119]
	s_wait_dscnt 0x0
	v_add_nc_u64_e32 v[12:13], v[12:13], v[14:15]
	v_add_nc_u64_e32 v[14:15], v[14:15], v[40:41]
	s_branch .LBB10_772
.LBB10_771:                             ;   in Loop: Header=BB10_772 Depth=2
	s_or_b32 exec_lo, exec_lo, s13
	v_sub_nc_u32_e32 v17, v17, v112
	flat_store_d16_hi_b16 v[14:15], v16 th:TH_STORE_NT
	v_add_nc_u64_e32 v[10:11], v[10:11], v[112:113]
	v_add_nc_u64_e32 v[12:13], v[12:13], v[112:113]
	s_wait_xcnt 0x0
	v_add_nc_u64_e32 v[14:15], v[14:15], v[112:113]
	v_cmp_gt_i32_e64 s7, 2, v17
	s_or_b32 s12, s7, s12
	s_delay_alu instid0(SALU_CYCLE_1)
	s_and_not1_b32 exec_lo, exec_lo, s12
	s_cbranch_execz .LBB10_776
.LBB10_772:                             ;   Parent Loop BB10_457 Depth=1
                                        ; =>  This Inner Loop Header: Depth=2
	flat_load_u16 v16, v[12:13] th:TH_LOAD_NT
	flat_load_u16 v18, v[10:11] th:TH_LOAD_NT
	s_wait_loadcnt_dscnt 0x0
	v_dual_lshlrev_b32 v16, 16, v16 :: v_dual_lshlrev_b32 v18, 16, v18
	s_delay_alu instid0(VALU_DEP_1) | instskip(NEXT) | instid1(VALU_DEP_1)
	v_dual_max_num_f32 v16, v16, v16 :: v_dual_max_num_f32 v18, v18, v18
	v_dual_min_num_f32 v19, v18, v16 :: v_dual_max_num_f32 v16, v18, v16
	s_delay_alu instid0(VALU_DEP_1) | instskip(NEXT) | instid1(VALU_DEP_1)
	v_cndmask_b32_e32 v18, v16, v19, vcc_lo
	v_and_b32_e32 v16, 0x7f800000, v18
	s_delay_alu instid0(VALU_DEP_1) | instskip(SKIP_2) | instid1(SALU_CYCLE_1)
	v_cmp_ne_u32_e64 s7, 0x7f800000, v16
                                        ; implicit-def: $vgpr16
	s_wait_xcnt 0x0
	s_and_saveexec_b32 s13, s7
	s_xor_b32 s7, exec_lo, s13
; %bb.773:                              ;   in Loop: Header=BB10_772 Depth=2
	v_bfe_u32 v16, v18, 16, 1
	s_delay_alu instid0(VALU_DEP_1)
	v_add3_u32 v16, v18, v16, 0x7fff
                                        ; implicit-def: $vgpr18
; %bb.774:                              ;   in Loop: Header=BB10_772 Depth=2
	s_and_not1_saveexec_b32 s13, s7
	s_cbranch_execz .LBB10_771
; %bb.775:                              ;   in Loop: Header=BB10_772 Depth=2
	v_and_b32_e32 v16, 0xffff, v18
	v_or_b32_e32 v19, 0x10000, v18
	s_delay_alu instid0(VALU_DEP_2) | instskip(NEXT) | instid1(VALU_DEP_1)
	v_cmp_eq_u32_e64 s7, 0, v16
	v_cndmask_b32_e64 v16, v19, v18, s7
	s_branch .LBB10_771
.LBB10_776:                             ;   in Loop: Header=BB10_457 Depth=1
	s_or_b32 exec_lo, exec_lo, s10
	v_cmp_ne_u32_e64 s7, 0, v84
	s_and_saveexec_b32 s10, s2
	s_cbranch_execz .LBB10_795
.LBB10_777:                             ;   in Loop: Header=BB10_457 Depth=1
	s_and_saveexec_b32 s12, s3
	s_delay_alu instid0(SALU_CYCLE_1)
	s_xor_b32 s12, exec_lo, s12
	s_cbranch_execz .LBB10_792
; %bb.778:                              ;   in Loop: Header=BB10_457 Depth=1
	s_and_saveexec_b32 s13, s4
	s_cbranch_execz .LBB10_791
; %bb.779:                              ;   in Loop: Header=BB10_457 Depth=1
	s_mov_b32 s24, exec_lo
	s_mov_b32 s23, exec_lo
	v_mbcnt_lo_u32_b32 v10, s24, 0
	global_wb scope:SCOPE_DEV
	s_wait_storecnt 0x0
	s_wait_loadcnt_dscnt 0x0
	global_inv scope:SCOPE_DEV
	v_cmpx_eq_u32_e32 0, v10
	s_cbranch_execz .LBB10_781
; %bb.780:                              ;   in Loop: Header=BB10_457 Depth=1
	s_bcnt1_i32_b32 s24, s24
	s_delay_alu instid0(SALU_CYCLE_1)
	v_mov_b32_e32 v84, s24
	s_wait_loadcnt 0x0
	ds_add_u64 v0, v[84:85]
	s_trap 2
.LBB10_781:                             ;   in Loop: Header=BB10_457 Depth=1
	s_or_b32 exec_lo, exec_lo, s23
	s_trap 2
	ds_load_b64 v[10:11], v0
	s_wait_dscnt 0x0
	v_add_nc_u64_e32 v[70:71], v[70:71], v[86:87]
	s_mov_b32 s23, exec_lo
	s_delay_alu instid0(VALU_DEP_1)
	v_cmpx_lt_u64_e64 v[10:11], v[70:71]
	s_cbranch_execz .LBB10_790
; %bb.782:                              ;   in Loop: Header=BB10_457 Depth=1
	s_mov_b32 s24, 0
	s_mov_b32 s27, 0
                                        ; implicit-def: $sgpr25
                                        ; implicit-def: $sgpr26
	s_branch .LBB10_784
.LBB10_783:                             ;   in Loop: Header=BB10_784 Depth=2
	s_or_b32 exec_lo, exec_lo, s29
	s_delay_alu instid0(SALU_CYCLE_1) | instskip(NEXT) | instid1(SALU_CYCLE_1)
	s_and_b32 s28, exec_lo, s40
	s_or_b32 s24, s28, s24
	s_and_not1_b32 s25, s25, exec_lo
	s_and_b32 s28, s26, exec_lo
	s_delay_alu instid0(SALU_CYCLE_1)
	s_or_b32 s25, s25, s28
	s_and_not1_b32 exec_lo, exec_lo, s24
	s_cbranch_execz .LBB10_788
.LBB10_784:                             ;   Parent Loop BB10_457 Depth=1
                                        ; =>  This Inner Loop Header: Depth=2
	s_add_co_i32 s27, s27, 1
	s_delay_alu instid0(SALU_CYCLE_1) | instskip(SKIP_1) | instid1(SALU_CYCLE_1)
	s_cmp_lg_u32 s27, 0x2710
	s_cselect_b32 s28, -1, 0
	s_and_b32 vcc_lo, exec_lo, s28
	s_cbranch_vccz .LBB10_786
; %bb.785:                              ;   in Loop: Header=BB10_784 Depth=2
	s_mov_b32 s40, -1
	s_or_b32 s26, s26, exec_lo
	s_and_saveexec_b32 s29, s28
	s_cbranch_execz .LBB10_783
	s_branch .LBB10_787
.LBB10_786:                             ;   in Loop: Header=BB10_784 Depth=2
	s_trap 2
	ds_load_b64 v[10:11], v0
	s_and_not1_b32 s28, s28, exec_lo
	s_mov_b32 s27, 0
	s_wait_loadcnt_dscnt 0x0
	flat_load_b32 v10, v[10:11] scope:SCOPE_SYS
	s_wait_loadcnt_dscnt 0x0
	global_inv scope:SCOPE_SYS
	v_cmp_eq_u32_e32 vcc_lo, 0, v10
	s_and_b32 s29, vcc_lo, exec_lo
	s_delay_alu instid0(SALU_CYCLE_1)
	s_or_b32 s28, s28, s29
	s_mov_b32 s40, -1
	s_or_b32 s26, s26, exec_lo
	s_and_saveexec_b32 s29, s28
	s_cbranch_execz .LBB10_783
.LBB10_787:                             ;   in Loop: Header=BB10_784 Depth=2
	s_sleep 1
	s_trap 2
	ds_load_b64 v[10:11], v0
	s_wait_dscnt 0x0
	s_and_not1_b32 s26, s26, exec_lo
	v_cmp_ge_u64_e32 vcc_lo, v[10:11], v[70:71]
	s_or_not1_b32 s40, vcc_lo, exec_lo
	s_branch .LBB10_783
.LBB10_788:                             ;   in Loop: Header=BB10_457 Depth=1
	s_or_b32 exec_lo, exec_lo, s24
	s_and_saveexec_b32 s24, s25
	s_delay_alu instid0(SALU_CYCLE_1)
	s_xor_b32 s24, exec_lo, s24
	s_cbranch_execz .LBB10_790
; %bb.789:                              ;   in Loop: Header=BB10_457 Depth=1
	ds_store_b32 v0, v58
	s_trap 2
.LBB10_790:                             ;   in Loop: Header=BB10_457 Depth=1
	s_or_b32 exec_lo, exec_lo, s23
	;;#ASMSTART
	s_wakeup
	;;#ASMEND
.LBB10_791:                             ;   in Loop: Header=BB10_457 Depth=1
	s_or_b32 exec_lo, exec_lo, s13
.LBB10_792:                             ;   in Loop: Header=BB10_457 Depth=1
	s_and_not1_saveexec_b32 s12, s12
	s_cbranch_execz .LBB10_794
; %bb.793:                              ;   in Loop: Header=BB10_457 Depth=1
	global_wb scope:SCOPE_DEV
	s_wait_storecnt 0x0
	s_wait_loadcnt_dscnt 0x0
	global_inv scope:SCOPE_DEV
	s_barrier_signal -1
	s_barrier_wait -1
.LBB10_794:                             ;   in Loop: Header=BB10_457 Depth=1
	s_or_b32 exec_lo, exec_lo, s12
.LBB10_795:                             ;   in Loop: Header=BB10_457 Depth=1
	s_delay_alu instid0(SALU_CYCLE_1) | instskip(SKIP_1) | instid1(VALU_DEP_1)
	s_or_b32 exec_lo, exec_lo, s10
	v_and_b32_e32 v10, 16, v30
	v_cmp_ne_u32_e32 vcc_lo, 0, v10
	s_and_b32 s10, vcc_lo, s7
	s_delay_alu instid0(SALU_CYCLE_1)
	s_and_saveexec_b32 s7, s10
	s_cbranch_execz .LBB10_797
; %bb.796:                              ;   in Loop: Header=BB10_457 Depth=1
	global_wb scope:SCOPE_SYS
	s_wait_storecnt 0x0
	s_wait_loadcnt_dscnt 0x0
	global_inv scope:SCOPE_SYS
.LBB10_797:                             ;   in Loop: Header=BB10_457 Depth=1
	s_or_b32 exec_lo, exec_lo, s7
	v_and_b32_e32 v10, 32, v30
	s_mov_b32 s7, exec_lo
	s_delay_alu instid0(VALU_DEP_1)
	v_cmpx_ne_u32_e32 0, v10
	s_cbranch_execz .LBB10_799
; %bb.798:                              ;   in Loop: Header=BB10_457 Depth=1
	v_add_nc_u64_e32 v[8:9], 1, v[8:9]
	global_wb scope:SCOPE_SYS
	s_wait_storecnt 0x0
	s_wait_loadcnt_dscnt 0x0
	flat_store_b64 v[64:65], v[8:9] scope:SCOPE_SYS
.LBB10_799:                             ;   in Loop: Header=BB10_457 Depth=1
	s_wait_xcnt 0x0
	s_or_b32 exec_lo, exec_lo, s7
	v_mov_b32_e32 v14, v117
.LBB10_800:                             ;   in Loop: Header=BB10_457 Depth=1
	s_or_b32 exec_lo, exec_lo, s22
	s_and_saveexec_b32 s10, s21
	s_cbranch_execz .LBB10_456
; %bb.801:                              ;   in Loop: Header=BB10_457 Depth=1
	v_and_b32_e32 v10, 4, v30
	s_mov_b32 s12, exec_lo
	s_delay_alu instid0(VALU_DEP_1)
	v_cmpx_ne_u32_e32 0, v10
	s_cbranch_execz .LBB10_823
; %bb.802:                              ;   in Loop: Header=BB10_457 Depth=1
	s_wait_dscnt 0x0
	v_add_nc_u64_e32 v[10:11], 1, v[8:9]
	s_mov_b32 s13, exec_lo
	s_wait_loadcnt 0x0
	s_delay_alu instid0(VALU_DEP_1)
	v_cmpx_lt_u64_e64 v[80:81], v[10:11]
	s_cbranch_execz .LBB10_814
; %bb.803:                              ;   in Loop: Header=BB10_457 Depth=1
	v_and_b32_e32 v9, 64, v30
	s_mov_b32 s21, 0
	s_mov_b32 s25, 0
                                        ; implicit-def: $sgpr22
                                        ; implicit-def: $sgpr23
                                        ; implicit-def: $sgpr24
	s_delay_alu instid0(VALU_DEP_1)
	v_cmp_eq_u32_e32 vcc_lo, 0, v9
	s_branch .LBB10_807
.LBB10_804:                             ;   in Loop: Header=BB10_807 Depth=2
	s_wait_loadcnt_dscnt 0x0
	v_cmp_ge_u64_e64 s7, v[80:81], v[10:11]
	s_or_b32 s28, s28, exec_lo
	s_or_not1_b32 s27, s7, exec_lo
.LBB10_805:                             ;   in Loop: Header=BB10_807 Depth=2
	s_or_b32 exec_lo, exec_lo, s40
	s_delay_alu instid0(SALU_CYCLE_1)
	s_and_not1_b32 s7, s24, exec_lo
	s_and_b32 s24, s28, exec_lo
	s_and_not1_b32 s23, s23, exec_lo
	s_and_b32 s27, s27, exec_lo
	s_or_b32 s24, s7, s24
	s_or_b32 s23, s23, s27
.LBB10_806:                             ;   in Loop: Header=BB10_807 Depth=2
	s_or_b32 exec_lo, exec_lo, s26
	s_delay_alu instid0(SALU_CYCLE_1) | instskip(NEXT) | instid1(SALU_CYCLE_1)
	s_and_b32 s7, exec_lo, s23
	s_or_b32 s21, s7, s21
	s_and_not1_b32 s7, s22, exec_lo
	s_and_b32 s22, s24, exec_lo
	s_delay_alu instid0(SALU_CYCLE_1)
	s_or_b32 s22, s7, s22
	s_and_not1_b32 exec_lo, exec_lo, s21
	s_cbranch_execz .LBB10_811
.LBB10_807:                             ;   Parent Loop BB10_457 Depth=1
                                        ; =>  This Inner Loop Header: Depth=2
	s_sleep 1
	s_wait_loadcnt_dscnt 0x0
	flat_load_b64 v[80:81], v[64:65] scope:SCOPE_SYS
	s_or_b32 s24, s24, exec_lo
	s_or_b32 s23, s23, exec_lo
                                        ; implicit-def: $vgpr9
	s_wait_xcnt 0x0
	s_and_saveexec_b32 s26, vcc_lo
	s_cbranch_execz .LBB10_806
; %bb.808:                              ;   in Loop: Header=BB10_807 Depth=2
	s_cmp_lt_i32 s25, 0x270f
	s_mov_b32 s27, -1
	s_cselect_b32 s29, -1, 0
	s_cmp_gt_i32 s25, 0x270e
	s_cbranch_scc0 .LBB10_810
; %bb.809:                              ;   in Loop: Header=BB10_807 Depth=2
	s_trap 2
	ds_load_b64 v[12:13], v0
	s_and_not1_b32 s25, s29, exec_lo
	s_mov_b32 s28, 0
	s_wait_storecnt 0x0
	s_wait_loadcnt_dscnt 0x0
	flat_load_b32 v9, v[12:13] scope:SCOPE_SYS
	s_wait_loadcnt_dscnt 0x0
	global_inv scope:SCOPE_SYS
	v_cmp_eq_u32_e64 s7, 0, v9
	s_and_b32 s7, s7, exec_lo
	s_delay_alu instid0(SALU_CYCLE_1)
	s_or_b32 s29, s25, s7
	s_mov_b32 s25, 0
	s_and_saveexec_b32 s40, s29
	s_cbranch_execz .LBB10_805
	s_branch .LBB10_804
.LBB10_810:                             ;   in Loop: Header=BB10_807 Depth=2
	s_add_co_i32 s25, s25, 1
	s_mov_b32 s28, -1
                                        ; implicit-def: $vgpr9
	s_and_saveexec_b32 s40, s29
	s_cbranch_execz .LBB10_805
	s_branch .LBB10_804
.LBB10_811:                             ;   in Loop: Header=BB10_457 Depth=1
	s_or_b32 exec_lo, exec_lo, s21
	s_xor_b32 s7, s22, -1
	s_delay_alu instid0(SALU_CYCLE_1) | instskip(NEXT) | instid1(SALU_CYCLE_1)
	s_and_saveexec_b32 s21, s7
	s_xor_b32 s7, exec_lo, s21
	s_cbranch_execz .LBB10_813
; %bb.812:                              ;   in Loop: Header=BB10_457 Depth=1
	v_or_b32_e32 v30, 64, v30
	s_wait_storecnt 0x0
	s_wait_loadcnt_dscnt 0x0
	ds_store_b32 v0, v9
	s_trap 2
.LBB10_813:                             ;   in Loop: Header=BB10_457 Depth=1
	s_or_b32 exec_lo, exec_lo, s7
.LBB10_814:                             ;   in Loop: Header=BB10_457 Depth=1
	s_delay_alu instid0(SALU_CYCLE_1) | instskip(SKIP_4) | instid1(VALU_DEP_2)
	s_or_b32 exec_lo, exec_lo, s13
	v_and_b32_e32 v9, 0x100, v30
	v_and_b32_e32 v84, 7, v8
	s_mov_b32 s7, -1
	;;#ASMSTART
	s_wakeup
	;;#ASMEND
	v_cmp_ne_u32_e32 vcc_lo, 0, v9
                                        ; implicit-def: $vgpr8_vgpr9
	s_and_saveexec_b32 s13, vcc_lo
	s_cbranch_execz .LBB10_818
; %bb.815:                              ;   in Loop: Header=BB10_457 Depth=1
	v_mad_nc_u64_u32 v[12:13], v84, 24, v[6:7]
	flat_load_b32 v8, v[12:13]
	s_wait_loadcnt_dscnt 0x0
	v_cmp_eq_u32_e64 s7, 1, v8
	v_cmp_ne_u32_e32 vcc_lo, 1, v8
                                        ; implicit-def: $vgpr8_vgpr9
	s_wait_xcnt 0x0
	s_and_saveexec_b32 s21, s7
	s_cbranch_execz .LBB10_817
; %bb.816:                              ;   in Loop: Header=BB10_457 Depth=1
	flat_load_b32 v8, v[12:13] offset:4 scope:SCOPE_SYS
	s_wait_loadcnt_dscnt 0x0
	v_ashrrev_i32_e32 v9, 31, v8
	s_delay_alu instid0(VALU_DEP_1)
	v_lshrrev_b64 v[8:9], 1, v[8:9]
.LBB10_817:                             ;   in Loop: Header=BB10_457 Depth=1
	s_wait_xcnt 0x0
	s_or_b32 exec_lo, exec_lo, s21
	s_delay_alu instid0(SALU_CYCLE_1)
	s_or_not1_b32 s7, vcc_lo, exec_lo
.LBB10_818:                             ;   in Loop: Header=BB10_457 Depth=1
	s_or_b32 exec_lo, exec_lo, s13
	s_and_saveexec_b32 s13, s7
; %bb.819:                              ;   in Loop: Header=BB10_457 Depth=1
	v_mul_u64_e32 v[8:9], v[84:85], v[66:67]
; %bb.820:                              ;   in Loop: Header=BB10_457 Depth=1
	s_or_b32 exec_lo, exec_lo, s13
	v_and_b32_e32 v12, 0x2000, v30
	s_delay_alu instid0(VALU_DEP_2)
	v_lshl_add_u64 v[8:9], v[8:9], 1, v[68:69]
	s_mov_b32 s7, exec_lo
	ds_store_b64 v0, v[8:9] offset:728
	v_cmpx_ne_u32_e32 0, v12
	s_cbranch_execz .LBB10_822
; %bb.821:                              ;   in Loop: Header=BB10_457 Depth=1
	ds_load_b64 v[8:9], v0 offset:872
	s_wait_dscnt 0x0
	v_add_nc_u64_e32 v[8:9], 1, v[8:9]
	ds_store_b64 v0, v[8:9] offset:872
.LBB10_822:                             ;   in Loop: Header=BB10_457 Depth=1
	s_or_b32 exec_lo, exec_lo, s7
	v_mov_b64_e32 v[8:9], v[10:11]
.LBB10_823:                             ;   in Loop: Header=BB10_457 Depth=1
	s_or_b32 exec_lo, exec_lo, s12
	s_and_saveexec_b32 s7, s2
	s_cbranch_execz .LBB10_842
; %bb.824:                              ;   in Loop: Header=BB10_457 Depth=1
	s_and_saveexec_b32 s12, s3
	s_delay_alu instid0(SALU_CYCLE_1)
	s_xor_b32 s12, exec_lo, s12
	s_cbranch_execz .LBB10_839
; %bb.825:                              ;   in Loop: Header=BB10_457 Depth=1
	s_and_saveexec_b32 s13, s4
	s_cbranch_execz .LBB10_838
; %bb.826:                              ;   in Loop: Header=BB10_457 Depth=1
	s_mov_b32 s22, exec_lo
	s_mov_b32 s21, exec_lo
	v_mbcnt_lo_u32_b32 v10, s22, 0
	global_wb scope:SCOPE_DEV
	s_wait_storecnt 0x0
	s_wait_loadcnt_dscnt 0x0
	global_inv scope:SCOPE_DEV
	v_cmpx_eq_u32_e32 0, v10
	s_cbranch_execz .LBB10_828
; %bb.827:                              ;   in Loop: Header=BB10_457 Depth=1
	s_bcnt1_i32_b32 s22, s22
	s_delay_alu instid0(SALU_CYCLE_1)
	v_mov_b32_e32 v84, s22
	s_wait_loadcnt 0x0
	ds_add_u64 v0, v[84:85]
	s_trap 2
.LBB10_828:                             ;   in Loop: Header=BB10_457 Depth=1
	s_or_b32 exec_lo, exec_lo, s21
	s_trap 2
	ds_load_b64 v[10:11], v0
	s_wait_dscnt 0x0
	v_add_nc_u64_e32 v[70:71], v[70:71], v[86:87]
	s_mov_b32 s21, exec_lo
	s_delay_alu instid0(VALU_DEP_1)
	v_cmpx_lt_u64_e64 v[10:11], v[70:71]
	s_cbranch_execz .LBB10_837
; %bb.829:                              ;   in Loop: Header=BB10_457 Depth=1
	s_mov_b32 s22, 0
	s_mov_b32 s25, 0
                                        ; implicit-def: $sgpr23
                                        ; implicit-def: $sgpr24
	s_branch .LBB10_831
.LBB10_830:                             ;   in Loop: Header=BB10_831 Depth=2
	s_or_b32 exec_lo, exec_lo, s27
	s_delay_alu instid0(SALU_CYCLE_1) | instskip(NEXT) | instid1(SALU_CYCLE_1)
	s_and_b32 s26, exec_lo, s28
	s_or_b32 s22, s26, s22
	s_and_not1_b32 s23, s23, exec_lo
	s_and_b32 s26, s24, exec_lo
	s_delay_alu instid0(SALU_CYCLE_1)
	s_or_b32 s23, s23, s26
	s_and_not1_b32 exec_lo, exec_lo, s22
	s_cbranch_execz .LBB10_835
.LBB10_831:                             ;   Parent Loop BB10_457 Depth=1
                                        ; =>  This Inner Loop Header: Depth=2
	s_add_co_i32 s25, s25, 1
	s_delay_alu instid0(SALU_CYCLE_1) | instskip(SKIP_1) | instid1(SALU_CYCLE_1)
	s_cmp_lg_u32 s25, 0x2710
	s_cselect_b32 s26, -1, 0
	s_and_b32 vcc_lo, exec_lo, s26
	s_cbranch_vccz .LBB10_833
; %bb.832:                              ;   in Loop: Header=BB10_831 Depth=2
	s_mov_b32 s28, -1
	s_or_b32 s24, s24, exec_lo
	s_and_saveexec_b32 s27, s26
	s_cbranch_execz .LBB10_830
	s_branch .LBB10_834
.LBB10_833:                             ;   in Loop: Header=BB10_831 Depth=2
	s_trap 2
	ds_load_b64 v[10:11], v0
	s_and_not1_b32 s26, s26, exec_lo
	s_mov_b32 s25, 0
	s_wait_loadcnt_dscnt 0x0
	flat_load_b32 v10, v[10:11] scope:SCOPE_SYS
	s_wait_loadcnt_dscnt 0x0
	global_inv scope:SCOPE_SYS
	v_cmp_eq_u32_e32 vcc_lo, 0, v10
	s_and_b32 s27, vcc_lo, exec_lo
	s_delay_alu instid0(SALU_CYCLE_1)
	s_or_b32 s26, s26, s27
	s_mov_b32 s28, -1
	s_or_b32 s24, s24, exec_lo
	s_and_saveexec_b32 s27, s26
	s_cbranch_execz .LBB10_830
.LBB10_834:                             ;   in Loop: Header=BB10_831 Depth=2
	s_sleep 1
	s_trap 2
	ds_load_b64 v[10:11], v0
	s_wait_dscnt 0x0
	s_and_not1_b32 s24, s24, exec_lo
	v_cmp_ge_u64_e32 vcc_lo, v[10:11], v[70:71]
	s_or_not1_b32 s28, vcc_lo, exec_lo
	s_branch .LBB10_830
.LBB10_835:                             ;   in Loop: Header=BB10_457 Depth=1
	s_or_b32 exec_lo, exec_lo, s22
	s_and_saveexec_b32 s22, s23
	s_delay_alu instid0(SALU_CYCLE_1)
	s_xor_b32 s22, exec_lo, s22
	s_cbranch_execz .LBB10_837
; %bb.836:                              ;   in Loop: Header=BB10_457 Depth=1
	ds_store_b32 v0, v58
	s_trap 2
.LBB10_837:                             ;   in Loop: Header=BB10_457 Depth=1
	s_or_b32 exec_lo, exec_lo, s21
	;;#ASMSTART
	s_wakeup
	;;#ASMEND
.LBB10_838:                             ;   in Loop: Header=BB10_457 Depth=1
	s_or_b32 exec_lo, exec_lo, s13
.LBB10_839:                             ;   in Loop: Header=BB10_457 Depth=1
	s_and_not1_saveexec_b32 s12, s12
	s_cbranch_execz .LBB10_841
; %bb.840:                              ;   in Loop: Header=BB10_457 Depth=1
	global_wb scope:SCOPE_DEV
	s_wait_storecnt 0x0
	s_wait_loadcnt_dscnt 0x0
	global_inv scope:SCOPE_DEV
	s_barrier_signal -1
	s_barrier_wait -1
.LBB10_841:                             ;   in Loop: Header=BB10_457 Depth=1
	s_or_b32 exec_lo, exec_lo, s12
.LBB10_842:                             ;   in Loop: Header=BB10_457 Depth=1
	s_delay_alu instid0(SALU_CYCLE_1) | instskip(SKIP_3) | instid1(VALU_DEP_1)
	s_or_b32 exec_lo, exec_lo, s7
	s_trap 2
	ds_load_b32 v10, v0
	v_sub_nc_u32_e32 v11, v116, v14
	v_min_i32_e32 v11, v117, v11
	s_delay_alu instid0(VALU_DEP_1) | instskip(SKIP_4) | instid1(VALU_DEP_1)
	v_cmp_lt_i32_e32 vcc_lo, 0, v11
	s_wait_dscnt 0x0
	v_readfirstlane_b32 s7, v10
	v_and_b32_e32 v10, 16, v30
	s_cmp_eq_u32 s7, 0
	v_cmp_ne_u32_e64 s7, 0, v10
	s_cselect_b32 s12, -1, 0
	s_delay_alu instid0(SALU_CYCLE_1) | instskip(NEXT) | instid1(SALU_CYCLE_1)
	s_and_b32 s12, vcc_lo, s12
	s_and_b32 s12, s7, s12
	s_delay_alu instid0(SALU_CYCLE_1)
	s_and_saveexec_b32 s7, s12
	s_cbranch_execz .LBB10_844
; %bb.843:                              ;   in Loop: Header=BB10_457 Depth=1
	global_wb scope:SCOPE_SYS
	s_wait_loadcnt 0x0
	s_wait_storecnt 0x0
	global_inv scope:SCOPE_SYS
.LBB10_844:                             ;   in Loop: Header=BB10_457 Depth=1
	s_or_b32 exec_lo, exec_lo, s7
	v_and_b32_e32 v10, 32, v30
	s_mov_b32 s7, exec_lo
	s_delay_alu instid0(VALU_DEP_1)
	v_cmpx_ne_u32_e32 0, v10
	s_cbranch_execz .LBB10_455
; %bb.845:                              ;   in Loop: Header=BB10_457 Depth=1
	v_add_nc_u64_e32 v[8:9], 1, v[8:9]
	global_wb scope:SCOPE_SYS
	s_wait_loadcnt 0x0
	s_wait_storecnt 0x0
	flat_store_b64 v[64:65], v[8:9] scope:SCOPE_SYS
	s_branch .LBB10_455
.LBB10_846:
	s_or_b32 exec_lo, exec_lo, s18
.LBB10_847:
	s_delay_alu instid0(SALU_CYCLE_1)
	s_or_b32 exec_lo, exec_lo, s17
.LBB10_848:
	s_delay_alu instid0(SALU_CYCLE_1)
	s_or_b32 exec_lo, exec_lo, s11
                                        ; implicit-def: $vgpr52_vgpr53
                                        ; implicit-def: $vgpr4_vgpr5
                                        ; implicit-def: $vgpr84_vgpr85
                                        ; implicit-def: $vgpr66
                                        ; implicit-def: $vgpr80_vgpr81
                                        ; implicit-def: $vgpr68_vgpr69
                                        ; implicit-def: $vgpr64_vgpr65
                                        ; implicit-def: $vgpr0
                                        ; implicit-def: $vgpr15
                                        ; implicit-def: $vgpr82_vgpr83
.LBB10_849:
	s_and_not1_saveexec_b32 s11, s16
	s_cbranch_execz .LBB10_1023
; %bb.850:
	v_mov_b64_e32 v[70:71], 0
	s_mov_b32 s12, exec_lo
	v_cmpx_ne_u64_e32 0, v[4:5]
	s_cbranch_execz .LBB10_1022
; %bb.851:
	v_dual_ashrrev_i32 v67, 31, v66 :: v_dual_bitop2_b32 v10, 31, v31 bitop3:0x40
	v_dual_mov_b32 v11, 0 :: v_dual_bitop2_b32 v50, 31, v0 bitop3:0x40
	v_dual_lshrrev_b32 v12, 5, v1 :: v_dual_lshrrev_b32 v51, 5, v0
	s_delay_alu instid0(VALU_DEP_3) | instskip(NEXT) | instid1(VALU_DEP_3)
	v_cmp_eq_u32_e64 s4, 0, v10
	v_dual_mov_b32 v13, v11 :: v_dual_lshlrev_b32 v10, 4, v50
	s_delay_alu instid0(VALU_DEP_3)
	v_dual_lshlrev_b32 v20, 1, v1 :: v_dual_lshlrev_b32 v16, 9, v12
	s_lshr_b32 s2, s15, 27
	v_cmp_eq_u32_e32 vcc_lo, 32, v1
	v_mov_b64_e32 v[22:23], 0
	s_wait_dscnt 0x1
	v_cmp_ne_u64_e64 s7, 0, v[84:85]
	v_mov_b64_e32 v[26:27], 0
	v_mov_b64_e32 v[70:71], 0
	v_cmp_ge_u32_e64 s1, v0, v1
	s_add_co_i32 s15, s15, s2
	v_cmp_ne_u32_e64 s2, 32, v1
	v_cmp_ne_u32_e64 s3, v1, v60
	v_cmp_eq_u32_e64 s5, 0, v50
	v_cmp_lt_u32_e64 s6, v50, v15
	v_dual_mov_b32 v15, v11 :: v_dual_lshlrev_b32 v14, 12, v12
	v_dual_mov_b32 v17, v11 :: v_dual_lshlrev_b32 v18, 10, v12
	v_dual_mov_b32 v19, v11 :: v_dual_mov_b32 v21, v11
	v_and_b32_e32 v20, 0x3fc0, v20
	v_lshl_or_b32 v24, v51, 12, v10
	s_wait_dscnt 0x0
	v_dual_mov_b32 v25, v11 :: v_dual_mov_b32 v86, 1
	s_ashr_i32 s15, s15, 5
	s_mov_b32 s13, 0
	s_xor_b32 s16, vcc_lo, -1
	s_trap 2
	s_branch .LBB10_855
.LBB10_852:                             ;   in Loop: Header=BB10_855 Depth=1
	s_wait_xcnt 0x0
	s_or_b32 exec_lo, exec_lo, s17
	v_add_nc_u64_e32 v[8:9], 1, v[8:9]
	global_wb scope:SCOPE_SYS
	s_wait_storecnt 0x0
	s_wait_loadcnt_dscnt 0x0
	flat_store_b64 v[64:65], v[8:9] scope:SCOPE_SYS
.LBB10_853:                             ;   in Loop: Header=BB10_855 Depth=1
	s_wait_xcnt 0x0
	s_or_b32 exec_lo, exec_lo, s10
.LBB10_854:                             ;   in Loop: Header=BB10_855 Depth=1
	s_delay_alu instid0(SALU_CYCLE_1) | instskip(SKIP_1) | instid1(VALU_DEP_1)
	s_or_b32 exec_lo, exec_lo, s18
	v_add_nc_u64_e32 v[26:27], v[26:27], v[82:83]
	v_cmp_ge_u64_e32 vcc_lo, v[26:27], v[4:5]
	s_or_b32 s13, vcc_lo, s13
	s_delay_alu instid0(SALU_CYCLE_1)
	s_and_not1_b32 exec_lo, exec_lo, s13
	s_cbranch_execz .LBB10_1021
.LBB10_855:                             ; =>This Loop Header: Depth=1
                                        ;     Child Loop BB10_864 Depth 2
                                        ;     Child Loop BB10_888 Depth 2
	;; [unrolled: 1-line block ×10, first 2 shown]
	v_sub_nc_u64_e32 v[28:29], v[4:5], v[26:27]
	s_delay_alu instid0(VALU_DEP_1) | instskip(NEXT) | instid1(VALU_DEP_1)
	v_min_u64 v[28:29], v[82:83], v[28:29]
	v_add_nc_u32_e32 v10, 15, v28
	s_delay_alu instid0(VALU_DEP_2) | instskip(NEXT) | instid1(VALU_DEP_2)
	v_cmp_eq_u64_e32 vcc_lo, 0, v[28:29]
	v_and_b32_e32 v10, 0x3ffffff0, v10
	s_or_b32 s17, s1, vcc_lo
	s_delay_alu instid0(SALU_CYCLE_1) | instskip(NEXT) | instid1(VALU_DEP_1)
	s_xor_b32 s10, s17, -1
	v_dual_mov_b32 v10, 0 :: v_dual_max_i32 v29, s15, v10
	s_and_saveexec_b32 s18, s10
	s_cbranch_execz .LBB10_972
; %bb.856:                              ;   in Loop: Header=BB10_855 Depth=1
	s_and_saveexec_b32 s10, s0
	s_cbranch_execz .LBB10_858
; %bb.857:                              ;   in Loop: Header=BB10_855 Depth=1
	s_trap 2
	ds_load_b64 v[32:33], v0
	s_wait_dscnt 0x0
	v_lshl_add_u64 v[32:33], v[52:53], 1, v[32:33]
	s_delay_alu instid0(VALU_DEP_1)
	v_lshl_add_u64 v[32:33], v[26:27], 1, v[32:33]
	ds_store_b64 v0, v[32:33]
	ds_store_b64 v0, v[22:23]
.LBB10_858:                             ;   in Loop: Header=BB10_855 Depth=1
	s_or_b32 exec_lo, exec_lo, s10
	v_and_b32_e32 v10, 8, v30
	v_min_u32_e32 v29, v29, v28
	s_mov_b32 s19, exec_lo
	s_delay_alu instid0(VALU_DEP_2)
	v_cmpx_ne_u32_e32 0, v10
	s_cbranch_execz .LBB10_880
; %bb.859:                              ;   in Loop: Header=BB10_855 Depth=1
	s_wait_loadcnt 0x0
	v_add_nc_u64_e32 v[34:35], 8, v[80:81]
	v_add_nc_u64_e32 v[32:33], 1, v[8:9]
	s_mov_b32 s20, exec_lo
	s_delay_alu instid0(VALU_DEP_1)
	v_cmpx_lt_u64_e64 v[34:35], v[32:33]
	s_cbranch_execz .LBB10_871
; %bb.860:                              ;   in Loop: Header=BB10_855 Depth=1
	v_and_b32_e32 v9, 64, v30
	s_mov_b32 s21, 0
	s_mov_b32 s25, 0
                                        ; implicit-def: $sgpr22
                                        ; implicit-def: $sgpr23
                                        ; implicit-def: $sgpr24
	s_delay_alu instid0(VALU_DEP_1)
	v_cmp_eq_u32_e32 vcc_lo, 0, v9
	s_branch .LBB10_864
.LBB10_861:                             ;   in Loop: Header=BB10_864 Depth=2
	s_wait_loadcnt_dscnt 0x0
	v_add_nc_u64_e32 v[34:35], 8, v[80:81]
	s_or_b32 s28, s28, exec_lo
	s_delay_alu instid0(VALU_DEP_1)
	v_cmp_ge_u64_e64 s10, v[34:35], v[32:33]
	s_or_not1_b32 s27, s10, exec_lo
.LBB10_862:                             ;   in Loop: Header=BB10_864 Depth=2
	s_or_b32 exec_lo, exec_lo, s40
	s_delay_alu instid0(SALU_CYCLE_1)
	s_and_not1_b32 s10, s24, exec_lo
	s_and_b32 s24, s28, exec_lo
	s_and_not1_b32 s23, s23, exec_lo
	s_and_b32 s27, s27, exec_lo
	s_or_b32 s24, s10, s24
	s_or_b32 s23, s23, s27
.LBB10_863:                             ;   in Loop: Header=BB10_864 Depth=2
	s_or_b32 exec_lo, exec_lo, s26
	s_delay_alu instid0(SALU_CYCLE_1) | instskip(NEXT) | instid1(SALU_CYCLE_1)
	s_and_b32 s10, exec_lo, s23
	s_or_b32 s21, s10, s21
	s_and_not1_b32 s10, s22, exec_lo
	s_and_b32 s22, s24, exec_lo
	s_delay_alu instid0(SALU_CYCLE_1)
	s_or_b32 s22, s10, s22
	s_and_not1_b32 exec_lo, exec_lo, s21
	s_cbranch_execz .LBB10_868
.LBB10_864:                             ;   Parent Loop BB10_855 Depth=1
                                        ; =>  This Inner Loop Header: Depth=2
	s_sleep 1
	s_wait_loadcnt_dscnt 0x0
	flat_load_b64 v[80:81], v[64:65] scope:SCOPE_SYS
	s_or_b32 s24, s24, exec_lo
	s_or_b32 s23, s23, exec_lo
                                        ; implicit-def: $vgpr9
	s_wait_xcnt 0x0
	s_and_saveexec_b32 s26, vcc_lo
	s_cbranch_execz .LBB10_863
; %bb.865:                              ;   in Loop: Header=BB10_864 Depth=2
	s_cmp_lt_i32 s25, 0x270f
	s_mov_b32 s27, -1
	s_cselect_b32 s29, -1, 0
	s_cmp_gt_i32 s25, 0x270e
	s_cbranch_scc0 .LBB10_867
; %bb.866:                              ;   in Loop: Header=BB10_864 Depth=2
	s_trap 2
	ds_load_b64 v[34:35], v0
	s_and_not1_b32 s25, s29, exec_lo
	s_mov_b32 s28, 0
	s_wait_storecnt 0x0
	s_wait_loadcnt_dscnt 0x0
	flat_load_b32 v9, v[34:35] scope:SCOPE_SYS
	s_wait_loadcnt_dscnt 0x0
	global_inv scope:SCOPE_SYS
	v_cmp_eq_u32_e64 s10, 0, v9
	s_and_b32 s10, s10, exec_lo
	s_delay_alu instid0(SALU_CYCLE_1)
	s_or_b32 s29, s25, s10
	s_mov_b32 s25, 0
	s_and_saveexec_b32 s40, s29
	s_cbranch_execz .LBB10_862
	s_branch .LBB10_861
.LBB10_867:                             ;   in Loop: Header=BB10_864 Depth=2
	s_add_co_i32 s25, s25, 1
	s_mov_b32 s28, -1
                                        ; implicit-def: $vgpr9
	s_and_saveexec_b32 s40, s29
	s_cbranch_execz .LBB10_862
	s_branch .LBB10_861
.LBB10_868:                             ;   in Loop: Header=BB10_855 Depth=1
	s_or_b32 exec_lo, exec_lo, s21
	s_xor_b32 s10, s22, -1
	s_delay_alu instid0(SALU_CYCLE_1) | instskip(NEXT) | instid1(SALU_CYCLE_1)
	s_and_saveexec_b32 s21, s10
	s_xor_b32 s10, exec_lo, s21
	s_cbranch_execz .LBB10_870
; %bb.869:                              ;   in Loop: Header=BB10_855 Depth=1
	v_or_b32_e32 v30, 64, v30
	s_wait_storecnt 0x0
	s_wait_loadcnt_dscnt 0x0
	ds_store_b32 v0, v9
	s_trap 2
.LBB10_870:                             ;   in Loop: Header=BB10_855 Depth=1
	s_or_b32 exec_lo, exec_lo, s10
.LBB10_871:                             ;   in Loop: Header=BB10_855 Depth=1
	s_delay_alu instid0(SALU_CYCLE_1) | instskip(SKIP_4) | instid1(VALU_DEP_2)
	s_or_b32 exec_lo, exec_lo, s20
	v_and_b32_e32 v9, 0x100, v30
	v_and_b32_e32 v10, 7, v8
	s_mov_b32 s10, -1
	;;#ASMSTART
	s_wakeup
	;;#ASMEND
	v_cmp_ne_u32_e32 vcc_lo, 0, v9
                                        ; implicit-def: $vgpr8_vgpr9
	s_and_saveexec_b32 s20, vcc_lo
	s_cbranch_execz .LBB10_875
; %bb.872:                              ;   in Loop: Header=BB10_855 Depth=1
	v_mad_nc_u64_u32 v[34:35], v10, 24, v[6:7]
	v_dual_mov_b32 v9, v11 :: v_dual_lshlrev_b32 v8, 1, v29
	s_mov_b32 s21, exec_lo
	s_clause 0x1
	flat_load_b32 v36, v[34:35]
	flat_store_b64 v[34:35], v[8:9] offset:8
                                        ; implicit-def: $vgpr8_vgpr9
	s_wait_loadcnt_dscnt 0x1
	v_cmp_ne_u32_e32 vcc_lo, 1, v36
	s_wait_xcnt 0x0
	v_cmpx_eq_u32_e32 1, v36
	s_cbranch_execz .LBB10_874
; %bb.873:                              ;   in Loop: Header=BB10_855 Depth=1
	flat_load_b32 v8, v[34:35] offset:4 scope:SCOPE_SYS
	s_wait_loadcnt_dscnt 0x0
	v_ashrrev_i32_e32 v9, 31, v8
	s_delay_alu instid0(VALU_DEP_1)
	v_lshrrev_b64 v[8:9], 1, v[8:9]
.LBB10_874:                             ;   in Loop: Header=BB10_855 Depth=1
	s_wait_xcnt 0x0
	s_or_b32 exec_lo, exec_lo, s21
	s_delay_alu instid0(SALU_CYCLE_1)
	s_or_not1_b32 s10, vcc_lo, exec_lo
.LBB10_875:                             ;   in Loop: Header=BB10_855 Depth=1
	s_or_b32 exec_lo, exec_lo, s20
	s_and_saveexec_b32 s20, s10
; %bb.876:                              ;   in Loop: Header=BB10_855 Depth=1
	v_mul_u64_e32 v[8:9], v[10:11], v[66:67]
; %bb.877:                              ;   in Loop: Header=BB10_855 Depth=1
	s_or_b32 exec_lo, exec_lo, s20
	v_and_b32_e32 v10, 0x2000, v30
	s_delay_alu instid0(VALU_DEP_2)
	v_lshl_add_u64 v[8:9], v[8:9], 1, v[68:69]
	s_mov_b32 s10, exec_lo
	ds_store_b64 v0, v[8:9] offset:784
	v_cmpx_ne_u32_e32 0, v10
	s_cbranch_execz .LBB10_879
; %bb.878:                              ;   in Loop: Header=BB10_855 Depth=1
	ds_load_b64 v[8:9], v0 offset:872
	s_wait_dscnt 0x0
	v_add_nc_u64_e32 v[8:9], 1, v[8:9]
	ds_store_b64 v0, v[8:9] offset:872
.LBB10_879:                             ;   in Loop: Header=BB10_855 Depth=1
	s_or_b32 exec_lo, exec_lo, s10
	v_mov_b64_e32 v[8:9], v[32:33]
.LBB10_880:                             ;   in Loop: Header=BB10_855 Depth=1
	s_or_b32 exec_lo, exec_lo, s19
	s_and_saveexec_b32 s10, s2
	s_cbranch_execz .LBB10_899
; %bb.881:                              ;   in Loop: Header=BB10_855 Depth=1
	s_and_saveexec_b32 s19, s3
	s_delay_alu instid0(SALU_CYCLE_1)
	s_xor_b32 s19, exec_lo, s19
	s_cbranch_execz .LBB10_896
; %bb.882:                              ;   in Loop: Header=BB10_855 Depth=1
	s_and_saveexec_b32 s20, s4
	s_cbranch_execz .LBB10_895
; %bb.883:                              ;   in Loop: Header=BB10_855 Depth=1
	s_mov_b32 s22, exec_lo
	s_mov_b32 s21, exec_lo
	v_mbcnt_lo_u32_b32 v10, s22, 0
	global_wb scope:SCOPE_DEV
	s_wait_storecnt 0x0
	s_wait_loadcnt_dscnt 0x0
	global_inv scope:SCOPE_DEV
	v_cmpx_eq_u32_e32 0, v10
	s_cbranch_execz .LBB10_885
; %bb.884:                              ;   in Loop: Header=BB10_855 Depth=1
	s_bcnt1_i32_b32 s22, s22
	s_delay_alu instid0(SALU_CYCLE_1)
	v_mov_b32_e32 v10, s22
	s_wait_loadcnt 0x0
	ds_add_u64 v0, v[10:11]
	s_trap 2
.LBB10_885:                             ;   in Loop: Header=BB10_855 Depth=1
	s_or_b32 exec_lo, exec_lo, s21
	s_trap 2
	ds_load_b64 v[32:33], v0
	s_wait_dscnt 0x0
	v_add_nc_u64_e32 v[70:71], v[70:71], v[12:13]
	s_mov_b32 s21, exec_lo
	s_delay_alu instid0(VALU_DEP_1)
	v_cmpx_lt_u64_e64 v[32:33], v[70:71]
	s_cbranch_execz .LBB10_894
; %bb.886:                              ;   in Loop: Header=BB10_855 Depth=1
	s_mov_b32 s22, 0
	s_mov_b32 s25, 0
                                        ; implicit-def: $sgpr23
                                        ; implicit-def: $sgpr24
	s_branch .LBB10_888
.LBB10_887:                             ;   in Loop: Header=BB10_888 Depth=2
	s_or_b32 exec_lo, exec_lo, s27
	s_delay_alu instid0(SALU_CYCLE_1) | instskip(NEXT) | instid1(SALU_CYCLE_1)
	s_and_b32 s26, exec_lo, s28
	s_or_b32 s22, s26, s22
	s_and_not1_b32 s23, s23, exec_lo
	s_and_b32 s26, s24, exec_lo
	s_delay_alu instid0(SALU_CYCLE_1)
	s_or_b32 s23, s23, s26
	s_and_not1_b32 exec_lo, exec_lo, s22
	s_cbranch_execz .LBB10_892
.LBB10_888:                             ;   Parent Loop BB10_855 Depth=1
                                        ; =>  This Inner Loop Header: Depth=2
	s_add_co_i32 s25, s25, 1
	s_delay_alu instid0(SALU_CYCLE_1) | instskip(SKIP_1) | instid1(SALU_CYCLE_1)
	s_cmp_lg_u32 s25, 0x2710
	s_cselect_b32 s26, -1, 0
	s_and_b32 vcc_lo, exec_lo, s26
	s_cbranch_vccz .LBB10_890
; %bb.889:                              ;   in Loop: Header=BB10_888 Depth=2
	s_mov_b32 s28, -1
	s_or_b32 s24, s24, exec_lo
	s_and_saveexec_b32 s27, s26
	s_cbranch_execz .LBB10_887
	s_branch .LBB10_891
.LBB10_890:                             ;   in Loop: Header=BB10_888 Depth=2
	s_trap 2
	ds_load_b64 v[32:33], v0
	s_and_not1_b32 s26, s26, exec_lo
	s_mov_b32 s25, 0
	s_wait_loadcnt_dscnt 0x0
	flat_load_b32 v10, v[32:33] scope:SCOPE_SYS
	s_wait_loadcnt_dscnt 0x0
	global_inv scope:SCOPE_SYS
	v_cmp_eq_u32_e32 vcc_lo, 0, v10
	s_and_b32 s27, vcc_lo, exec_lo
	s_delay_alu instid0(SALU_CYCLE_1)
	s_or_b32 s26, s26, s27
	s_mov_b32 s28, -1
	s_or_b32 s24, s24, exec_lo
	s_and_saveexec_b32 s27, s26
	s_cbranch_execz .LBB10_887
.LBB10_891:                             ;   in Loop: Header=BB10_888 Depth=2
	s_sleep 1
	s_trap 2
	ds_load_b64 v[32:33], v0
	s_wait_dscnt 0x0
	s_and_not1_b32 s24, s24, exec_lo
	v_cmp_ge_u64_e32 vcc_lo, v[32:33], v[70:71]
	s_or_not1_b32 s28, vcc_lo, exec_lo
	s_branch .LBB10_887
.LBB10_892:                             ;   in Loop: Header=BB10_855 Depth=1
	s_or_b32 exec_lo, exec_lo, s22
	s_and_saveexec_b32 s22, s23
	s_delay_alu instid0(SALU_CYCLE_1)
	s_xor_b32 s22, exec_lo, s22
	s_cbranch_execz .LBB10_894
; %bb.893:                              ;   in Loop: Header=BB10_855 Depth=1
	ds_store_b32 v0, v86
	s_trap 2
.LBB10_894:                             ;   in Loop: Header=BB10_855 Depth=1
	s_or_b32 exec_lo, exec_lo, s21
	;;#ASMSTART
	s_wakeup
	;;#ASMEND
.LBB10_895:                             ;   in Loop: Header=BB10_855 Depth=1
	s_or_b32 exec_lo, exec_lo, s20
.LBB10_896:                             ;   in Loop: Header=BB10_855 Depth=1
	s_and_not1_saveexec_b32 s19, s19
	s_cbranch_execz .LBB10_898
; %bb.897:                              ;   in Loop: Header=BB10_855 Depth=1
	global_wb scope:SCOPE_DEV
	s_wait_storecnt 0x0
	s_wait_loadcnt_dscnt 0x0
	global_inv scope:SCOPE_DEV
	s_barrier_signal -1
	s_barrier_wait -1
.LBB10_898:                             ;   in Loop: Header=BB10_855 Depth=1
	s_or_b32 exec_lo, exec_lo, s19
.LBB10_899:                             ;   in Loop: Header=BB10_855 Depth=1
	s_delay_alu instid0(SALU_CYCLE_1) | instskip(SKIP_3) | instid1(VALU_DEP_1)
	s_or_b32 exec_lo, exec_lo, s10
	s_trap 2
	ds_load_b32 v36, v0
	v_and_b32_e32 v10, 0x4000, v30
	v_cmp_ne_u32_e32 vcc_lo, 0, v10
	s_and_b32 s19, s16, vcc_lo
	s_delay_alu instid0(SALU_CYCLE_1)
	s_and_saveexec_b32 s10, s19
	s_cbranch_execz .LBB10_918
; %bb.900:                              ;   in Loop: Header=BB10_855 Depth=1
	s_and_saveexec_b32 s19, s3
	s_delay_alu instid0(SALU_CYCLE_1)
	s_xor_b32 s19, exec_lo, s19
	s_cbranch_execz .LBB10_915
; %bb.901:                              ;   in Loop: Header=BB10_855 Depth=1
	s_and_saveexec_b32 s20, s4
	s_cbranch_execz .LBB10_914
; %bb.902:                              ;   in Loop: Header=BB10_855 Depth=1
	s_mov_b32 s22, exec_lo
	s_mov_b32 s21, exec_lo
	v_mbcnt_lo_u32_b32 v10, s22, 0
	global_wb scope:SCOPE_DEV
	s_wait_storecnt 0x0
	s_wait_loadcnt_dscnt 0x0
	global_inv scope:SCOPE_DEV
	v_cmpx_eq_u32_e32 0, v10
	s_cbranch_execz .LBB10_904
; %bb.903:                              ;   in Loop: Header=BB10_855 Depth=1
	s_bcnt1_i32_b32 s22, s22
	s_delay_alu instid0(SALU_CYCLE_1)
	v_mov_b32_e32 v10, s22
	s_wait_loadcnt 0x0
	ds_add_u64 v0, v[10:11]
	s_trap 2
.LBB10_904:                             ;   in Loop: Header=BB10_855 Depth=1
	s_or_b32 exec_lo, exec_lo, s21
	s_trap 2
	ds_load_b64 v[32:33], v0
	s_wait_dscnt 0x0
	v_add_nc_u64_e32 v[70:71], v[70:71], v[12:13]
	s_mov_b32 s21, exec_lo
	s_delay_alu instid0(VALU_DEP_1)
	v_cmpx_lt_u64_e64 v[32:33], v[70:71]
	s_cbranch_execz .LBB10_913
; %bb.905:                              ;   in Loop: Header=BB10_855 Depth=1
	s_mov_b32 s22, 0
	s_mov_b32 s25, 0
                                        ; implicit-def: $sgpr23
                                        ; implicit-def: $sgpr24
	s_branch .LBB10_907
.LBB10_906:                             ;   in Loop: Header=BB10_907 Depth=2
	s_or_b32 exec_lo, exec_lo, s27
	s_delay_alu instid0(SALU_CYCLE_1) | instskip(NEXT) | instid1(SALU_CYCLE_1)
	s_and_b32 s26, exec_lo, s28
	s_or_b32 s22, s26, s22
	s_and_not1_b32 s23, s23, exec_lo
	s_and_b32 s26, s24, exec_lo
	s_delay_alu instid0(SALU_CYCLE_1)
	s_or_b32 s23, s23, s26
	s_and_not1_b32 exec_lo, exec_lo, s22
	s_cbranch_execz .LBB10_911
.LBB10_907:                             ;   Parent Loop BB10_855 Depth=1
                                        ; =>  This Inner Loop Header: Depth=2
	s_add_co_i32 s25, s25, 1
	s_delay_alu instid0(SALU_CYCLE_1) | instskip(SKIP_1) | instid1(SALU_CYCLE_1)
	s_cmp_lg_u32 s25, 0x2710
	s_cselect_b32 s26, -1, 0
	s_and_b32 vcc_lo, exec_lo, s26
	s_cbranch_vccz .LBB10_909
; %bb.908:                              ;   in Loop: Header=BB10_907 Depth=2
	s_mov_b32 s28, -1
	s_or_b32 s24, s24, exec_lo
	s_and_saveexec_b32 s27, s26
	s_cbranch_execz .LBB10_906
	s_branch .LBB10_910
.LBB10_909:                             ;   in Loop: Header=BB10_907 Depth=2
	s_trap 2
	ds_load_b64 v[32:33], v0
	s_and_not1_b32 s26, s26, exec_lo
	s_mov_b32 s25, 0
	s_wait_loadcnt_dscnt 0x0
	flat_load_b32 v10, v[32:33] scope:SCOPE_SYS
	s_wait_loadcnt_dscnt 0x0
	global_inv scope:SCOPE_SYS
	v_cmp_eq_u32_e32 vcc_lo, 0, v10
	s_and_b32 s27, vcc_lo, exec_lo
	s_delay_alu instid0(SALU_CYCLE_1)
	s_or_b32 s26, s26, s27
	s_mov_b32 s28, -1
	s_or_b32 s24, s24, exec_lo
	s_and_saveexec_b32 s27, s26
	s_cbranch_execz .LBB10_906
.LBB10_910:                             ;   in Loop: Header=BB10_907 Depth=2
	s_sleep 1
	s_trap 2
	ds_load_b64 v[32:33], v0
	s_wait_dscnt 0x0
	s_and_not1_b32 s24, s24, exec_lo
	v_cmp_ge_u64_e32 vcc_lo, v[32:33], v[70:71]
	s_or_not1_b32 s28, vcc_lo, exec_lo
	s_branch .LBB10_906
.LBB10_911:                             ;   in Loop: Header=BB10_855 Depth=1
	s_or_b32 exec_lo, exec_lo, s22
	s_and_saveexec_b32 s22, s23
	s_delay_alu instid0(SALU_CYCLE_1)
	s_xor_b32 s22, exec_lo, s22
	s_cbranch_execz .LBB10_913
; %bb.912:                              ;   in Loop: Header=BB10_855 Depth=1
	ds_store_b32 v0, v86
	s_trap 2
.LBB10_913:                             ;   in Loop: Header=BB10_855 Depth=1
	s_or_b32 exec_lo, exec_lo, s21
	;;#ASMSTART
	s_wakeup
	;;#ASMEND
.LBB10_914:                             ;   in Loop: Header=BB10_855 Depth=1
	s_or_b32 exec_lo, exec_lo, s20
.LBB10_915:                             ;   in Loop: Header=BB10_855 Depth=1
	s_and_not1_saveexec_b32 s19, s19
	s_cbranch_execz .LBB10_917
; %bb.916:                              ;   in Loop: Header=BB10_855 Depth=1
	global_wb scope:SCOPE_DEV
	s_wait_storecnt 0x0
	s_wait_loadcnt_dscnt 0x0
	global_inv scope:SCOPE_DEV
	s_barrier_signal -1
	s_barrier_wait -1
.LBB10_917:                             ;   in Loop: Header=BB10_855 Depth=1
	s_or_b32 exec_lo, exec_lo, s19
.LBB10_918:                             ;   in Loop: Header=BB10_855 Depth=1
	s_delay_alu instid0(SALU_CYCLE_1)
	s_or_b32 exec_lo, exec_lo, s10
	s_trap 2
	ds_load_b64 v[32:33], v0
	s_wait_dscnt 0x0
	v_cmp_eq_u64_e32 vcc_lo, 0, v[32:33]
	s_cbranch_vccnz .LBB10_926
; %bb.919:                              ;   in Loop: Header=BB10_855 Depth=1
	s_trap 2
	ds_load_b64 v[34:35], v0
	s_wait_dscnt 0x0
	v_cmp_eq_u64_e32 vcc_lo, 0, v[34:35]
	s_cbranch_vccnz .LBB10_926
; %bb.920:                              ;   in Loop: Header=BB10_855 Depth=1
	s_mov_b32 s10, -1
	s_and_saveexec_b32 s19, s5
	s_cbranch_execz .LBB10_922
; %bb.921:                              ;   in Loop: Header=BB10_855 Depth=1
	ds_load_b32 v10, v0 offset:720
	s_wait_dscnt 0x0
	v_and_b32_e32 v10, 15, v10
	s_delay_alu instid0(VALU_DEP_1)
	v_cmp_eq_u32_e32 vcc_lo, 0, v10
	s_or_not1_b32 s10, vcc_lo, exec_lo
.LBB10_922:                             ;   in Loop: Header=BB10_855 Depth=1
	s_or_b32 exec_lo, exec_lo, s19
	s_and_saveexec_b32 s19, s6
	s_cbranch_execz .LBB10_924
; %bb.923:                              ;   in Loop: Header=BB10_855 Depth=1
	ds_load_b32 v10, v0 offset:784
	s_wait_dscnt 0x0
	v_and_b32_e32 v10, 15, v10
	s_delay_alu instid0(VALU_DEP_1) | instskip(SKIP_3) | instid1(SALU_CYCLE_1)
	v_cmp_eq_u32_e32 vcc_lo, 0, v10
	s_and_b32 s20, s10, vcc_lo
	s_and_not1_b32 s10, s10, exec_lo
	s_and_b32 s20, s20, exec_lo
	s_or_b32 s10, s10, s20
.LBB10_924:                             ;   in Loop: Header=BB10_855 Depth=1
	s_or_b32 exec_lo, exec_lo, s19
	v_cmp_eq_u32_e32 vcc_lo, 0, v36
	s_xor_b32 s10, s10, -1
	s_mov_b32 s20, -1
	v_cndmask_b32_e64 v37, 0, 1, s10
	v_dual_mov_b32 v96, 0 :: v_dual_cndmask_b32 v10, 0, v29, vcc_lo
	s_delay_alu instid0(VALU_DEP_2) | instskip(NEXT) | instid1(VALU_DEP_2)
	v_cmp_ne_u32_e32 vcc_lo, 0, v37
	v_lshlrev_b32_e32 v87, 1, v10
	s_cbranch_vccz .LBB10_927
; %bb.925:                              ;   in Loop: Header=BB10_855 Depth=1
	v_mov_b32_e32 v97, v0
	s_and_saveexec_b32 s10, s20
	s_cbranch_execnz .LBB10_938
	s_branch .LBB10_946
.LBB10_926:                             ;   in Loop: Header=BB10_855 Depth=1
	s_mov_b32 s10, 0
	s_and_saveexec_b32 s19, s2
	s_cbranch_execnz .LBB10_947
	s_branch .LBB10_965
.LBB10_927:                             ;   in Loop: Header=BB10_855 Depth=1
	v_lshrrev_b32_e32 v49, 11, v10
	s_mov_b32 s10, exec_lo
	s_delay_alu instid0(VALU_DEP_1) | instskip(NEXT) | instid1(VALU_DEP_1)
	v_sub_nc_u32_e32 v48, v49, v51
	v_cmpx_lt_i32_e32 0, v48
	s_cbranch_execz .LBB10_931
; %bb.928:                              ;   in Loop: Header=BB10_855 Depth=1
	v_mov_b64_e32 v[36:37], v[34:35]
	v_mov_b64_e32 v[38:39], v[32:33]
	s_mov_b32 s19, 0
.LBB10_929:                             ;   Parent Loop BB10_855 Depth=1
                                        ; =>  This Inner Loop Header: Depth=2
	s_delay_alu instid0(VALU_DEP_1)
	v_add_nc_u64_e32 v[62:63], v[24:25], v[38:39]
	v_sub_nc_u32_e32 v48, v48, v12
	v_add_nc_u64_e32 v[38:39], v[38:39], v[14:15]
	s_clause 0x7
	global_load_b128 v[96:99], v[62:63], off th:TH_LOAD_NT
	global_load_b128 v[100:103], v[62:63], off offset:512 th:TH_LOAD_NT
	global_load_b128 v[112:115], v[62:63], off offset:1024 th:TH_LOAD_NT
	;; [unrolled: 1-line block ×7, first 2 shown]
	s_wait_xcnt 0x0
	v_add_nc_u64_e32 v[62:63], v[24:25], v[36:37]
	v_add_nc_u64_e32 v[36:37], v[36:37], v[14:15]
	v_cmp_gt_i32_e32 vcc_lo, 1, v48
	s_wait_loadcnt 0x7
	global_store_b128 v[62:63], v[96:99], off th:TH_STORE_NT
	s_wait_loadcnt 0x6
	global_store_b128 v[62:63], v[100:103], off offset:512 th:TH_STORE_NT
	s_wait_loadcnt 0x5
	global_store_b128 v[62:63], v[112:115], off offset:1024 th:TH_STORE_NT
	s_wait_loadcnt 0x4
	global_store_b128 v[62:63], v[116:119], off offset:1536 th:TH_STORE_NT
	s_wait_loadcnt 0x3
	global_store_b128 v[62:63], v[40:43], off offset:2048 th:TH_STORE_NT
	s_wait_loadcnt 0x2
	global_store_b128 v[62:63], v[44:47], off offset:2560 th:TH_STORE_NT
	s_wait_loadcnt 0x1
	global_store_b128 v[62:63], v[56:59], off offset:3072 th:TH_STORE_NT
	s_wait_loadcnt 0x0
	global_store_b128 v[62:63], v[72:75], off offset:3584 th:TH_STORE_NT
	s_or_b32 s19, vcc_lo, s19
	s_wait_xcnt 0x0
	s_and_not1_b32 exec_lo, exec_lo, s19
	s_cbranch_execnz .LBB10_929
; %bb.930:                              ;   in Loop: Header=BB10_855 Depth=1
	s_or_b32 exec_lo, exec_lo, s19
.LBB10_931:                             ;   in Loop: Header=BB10_855 Depth=1
	s_delay_alu instid0(SALU_CYCLE_1) | instskip(SKIP_3) | instid1(VALU_DEP_1)
	s_or_b32 exec_lo, exec_lo, s10
	v_dual_lshlrev_b32 v38, 12, v49 :: v_dual_mov_b32 v96, 0
	s_mov_b32 s20, 0
	s_mov_b32 s19, exec_lo
                                        ; implicit-def: $vgpr97
	v_cmpx_ne_u32_e64 v87, v38
	s_cbranch_execz .LBB10_937
; %bb.932:                              ;   in Loop: Header=BB10_855 Depth=1
	v_dual_lshlrev_b32 v36, 5, v48 :: v_dual_sub_nc_u32 v96, v87, v38
	s_mov_b32 s20, exec_lo
	s_delay_alu instid0(VALU_DEP_1) | instskip(NEXT) | instid1(VALU_DEP_2)
	v_sub_nc_u32_e32 v36, v50, v36
	v_ashrrev_i32_e32 v39, 31, v96
	s_delay_alu instid0(VALU_DEP_1) | instskip(NEXT) | instid1(VALU_DEP_1)
	v_dual_ashrrev_i32 v37, 31, v36 :: v_dual_lshrrev_b32 v39, 23, v39
	v_lshrrev_b32_e32 v37, 27, v37
	s_delay_alu instid0(VALU_DEP_1) | instskip(NEXT) | instid1(VALU_DEP_3)
	v_add_nc_u32_e32 v37, v36, v37
	v_add_nc_u32_e32 v97, v96, v39
	s_delay_alu instid0(VALU_DEP_2) | instskip(NEXT) | instid1(VALU_DEP_1)
	v_and_b32_e32 v48, 0xffffffe0, v37
	v_dual_ashrrev_i32 v37, 5, v37 :: v_dual_sub_nc_u32 v39, v36, v48
	s_delay_alu instid0(VALU_DEP_3) | instskip(NEXT) | instid1(VALU_DEP_2)
	v_and_b32_e32 v48, 0xfffffe00, v97
	v_dual_ashrrev_i32 v97, 9, v97 :: v_dual_lshlrev_b32 v36, 4, v39
	s_delay_alu instid0(VALU_DEP_2) | instskip(NEXT) | instid1(VALU_DEP_2)
	v_sub_nc_u32_e32 v49, v96, v48
	v_lshl_add_u32 v36, v37, 9, v36
	s_delay_alu instid0(VALU_DEP_2) | instskip(NEXT) | instid1(VALU_DEP_4)
	v_cmp_lt_i32_e32 vcc_lo, 15, v49
	v_add_co_ci_u32_e64 v98, null, 0, v97, vcc_lo
	s_delay_alu instid0(VALU_DEP_1) | instskip(NEXT) | instid1(VALU_DEP_1)
	v_dual_sub_nc_u32 v97, v96, v36 :: v_dual_sub_nc_u32 v96, v98, v37
	v_cmpx_lt_i32_e32 15, v97
	s_cbranch_execz .LBB10_936
; %bb.933:                              ;   in Loop: Header=BB10_855 Depth=1
	v_add_nc_u32_e32 v36, v36, v38
	s_mov_b32 s21, 0
	s_delay_alu instid0(VALU_DEP_1)
	v_ashrrev_i32_e32 v37, 31, v36
.LBB10_934:                             ;   Parent Loop BB10_855 Depth=1
                                        ; =>  This Inner Loop Header: Depth=2
	s_delay_alu instid0(VALU_DEP_1) | instskip(SKIP_4) | instid1(VALU_DEP_4)
	v_add_nc_u64_e32 v[98:99], v[32:33], v[36:37]
	v_sub_nc_u32_e32 v97, v97, v16
	v_add_nc_u64_e32 v[102:103], v[34:35], v[36:37]
	v_add_nc_u64_e32 v[36:37], v[36:37], v[16:17]
	v_sub_nc_u32_e32 v96, v96, v12
	v_cmp_gt_i32_e64 s10, 16, v97
	global_load_b128 v[98:101], v[98:99], off th:TH_LOAD_NT
	s_or_b32 s21, s10, s21
	s_wait_loadcnt 0x0
	global_store_b128 v[102:103], v[98:101], off th:TH_STORE_NT
	s_wait_xcnt 0x0
	s_and_not1_b32 exec_lo, exec_lo, s21
	s_cbranch_execnz .LBB10_934
; %bb.935:                              ;   in Loop: Header=BB10_855 Depth=1
	s_or_b32 exec_lo, exec_lo, s21
.LBB10_936:                             ;   in Loop: Header=BB10_855 Depth=1
	s_delay_alu instid0(SALU_CYCLE_1) | instskip(NEXT) | instid1(VALU_DEP_2)
	s_or_b32 exec_lo, exec_lo, s20
	v_cmp_lt_i32_e64 s10, 0, v96
	s_delay_alu instid0(VALU_DEP_1) | instskip(NEXT) | instid1(VALU_DEP_1)
	v_dual_cndmask_b32 v97, 0, v12, s10 :: v_dual_bitop2_b32 v36, 14, v87 bitop3:0x40
	v_dual_sub_nc_u32 v37, v49, v36 :: v_dual_cndmask_b32 v87, v49, v36, vcc_lo
	s_delay_alu instid0(VALU_DEP_1) | instskip(NEXT) | instid1(VALU_DEP_2)
	v_dual_cndmask_b32 v36, 0, v37 :: v_dual_sub_nc_u32 v37, v97, v96
	v_cmp_ne_u32_e32 vcc_lo, 0, v87
	s_delay_alu instid0(VALU_DEP_2) | instskip(NEXT) | instid1(VALU_DEP_3)
	v_add3_u32 v96, v48, v38, v36
	v_lshl_add_u32 v97, v37, 5, v39
	s_and_b32 s20, vcc_lo, exec_lo
.LBB10_937:                             ;   in Loop: Header=BB10_855 Depth=1
	s_or_b32 exec_lo, exec_lo, s19
	s_and_saveexec_b32 s10, s20
	s_cbranch_execz .LBB10_946
.LBB10_938:                             ;   in Loop: Header=BB10_855 Depth=1
	s_delay_alu instid0(VALU_DEP_1) | instskip(SKIP_1) | instid1(VALU_DEP_1)
	v_dual_ashrrev_i32 v36, 31, v97 :: v_dual_ashrrev_i32 v37, 31, v87
	s_mov_b32 s19, exec_lo
	v_dual_lshrrev_b32 v36, 27, v36 :: v_dual_lshrrev_b32 v37, 22, v37
	s_delay_alu instid0(VALU_DEP_1) | instskip(NEXT) | instid1(VALU_DEP_1)
	v_dual_add_nc_u32 v36, v97, v36 :: v_dual_add_nc_u32 v37, v87, v37
	v_dual_ashrrev_i32 v98, 5, v36 :: v_dual_ashrrev_i32 v100, 10, v37
	s_delay_alu instid0(VALU_DEP_1) | instskip(NEXT) | instid1(VALU_DEP_1)
	v_sub_nc_u32_e32 v99, v100, v98
	v_cmpx_lt_i32_e32 0, v99
	s_cbranch_execz .LBB10_942
; %bb.939:                              ;   in Loop: Header=BB10_855 Depth=1
	v_and_b32_e32 v36, 0x7fffffe0, v36
	v_mov_b64_e32 v[38:39], v[34:35]
	v_mov_b64_e32 v[48:49], v[32:33]
	s_mov_b32 s20, 0
	s_delay_alu instid0(VALU_DEP_3) | instskip(NEXT) | instid1(VALU_DEP_1)
	v_dual_lshlrev_b32 v37, 10, v98 :: v_dual_sub_nc_u32 v36, v97, v36
	v_lshlrev_b32_e32 v36, 1, v36
	s_delay_alu instid0(VALU_DEP_1) | instskip(NEXT) | instid1(VALU_DEP_1)
	v_add3_u32 v36, v36, v96, v37
	v_ashrrev_i32_e32 v37, 31, v36
.LBB10_940:                             ;   Parent Loop BB10_855 Depth=1
                                        ; =>  This Inner Loop Header: Depth=2
	s_delay_alu instid0(VALU_DEP_1)
	v_add_nc_u64_e32 v[102:103], v[36:37], v[48:49]
	v_sub_nc_u32_e32 v99, v99, v12
	v_add_nc_u64_e32 v[48:49], v[48:49], v[18:19]
	s_clause 0xf
	flat_load_u16 v101, v[102:103] th:TH_LOAD_NT
	flat_load_u16 v112, v[102:103] offset:64 th:TH_LOAD_NT
	flat_load_u16 v113, v[102:103] offset:128 th:TH_LOAD_NT
	;; [unrolled: 1-line block ×15, first 2 shown]
	s_wait_xcnt 0x0
	v_add_nc_u64_e32 v[102:103], v[36:37], v[38:39]
	v_add_nc_u64_e32 v[38:39], v[38:39], v[18:19]
	v_cmp_gt_i32_e32 vcc_lo, 1, v99
	s_wait_loadcnt_dscnt 0xf0f
	flat_store_b16 v[102:103], v101 th:TH_STORE_NT
	s_wait_loadcnt_dscnt 0xe0f
	flat_store_b16 v[102:103], v112 offset:64 th:TH_STORE_NT
	s_wait_loadcnt_dscnt 0xd0f
	flat_store_b16 v[102:103], v113 offset:128 th:TH_STORE_NT
	;; [unrolled: 2-line block ×15, first 2 shown]
	s_or_b32 s20, vcc_lo, s20
	s_wait_xcnt 0x0
	s_and_not1_b32 exec_lo, exec_lo, s20
	s_cbranch_execnz .LBB10_940
; %bb.941:                              ;   in Loop: Header=BB10_855 Depth=1
	s_or_b32 exec_lo, exec_lo, s20
.LBB10_942:                             ;   in Loop: Header=BB10_855 Depth=1
	s_delay_alu instid0(SALU_CYCLE_1) | instskip(SKIP_1) | instid1(VALU_DEP_1)
	s_or_b32 exec_lo, exec_lo, s19
	v_lshlrev_b32_e32 v36, 10, v100
	v_cmp_ne_u32_e32 vcc_lo, v87, v36
	s_and_b32 exec_lo, exec_lo, vcc_lo
	s_cbranch_execz .LBB10_946
; %bb.943:                              ;   in Loop: Header=BB10_855 Depth=1
	v_dual_lshlrev_b32 v37, 5, v98 :: v_dual_lshlrev_b32 v38, 5, v99
	s_delay_alu instid0(VALU_DEP_1) | instskip(NEXT) | instid1(VALU_DEP_1)
	v_sub_nc_u32_e32 v37, v97, v37
	v_sub_nc_u32_e32 v37, v37, v38
	s_delay_alu instid0(VALU_DEP_1) | instskip(NEXT) | instid1(VALU_DEP_1)
	v_ashrrev_i32_e32 v38, 31, v37
	v_lshrrev_b32_e32 v38, 27, v38
	s_delay_alu instid0(VALU_DEP_1) | instskip(NEXT) | instid1(VALU_DEP_1)
	v_add_nc_u32_e32 v38, v37, v38
	v_and_b32_e32 v39, 0x7fffffe0, v38
	s_delay_alu instid0(VALU_DEP_1) | instskip(NEXT) | instid1(VALU_DEP_1)
	v_dual_lshlrev_b32 v38, 1, v38 :: v_dual_sub_nc_u32 v37, v37, v39
	v_and_b32_e32 v38, 0xffffffc0, v38
	s_delay_alu instid0(VALU_DEP_2) | instskip(NEXT) | instid1(VALU_DEP_1)
	v_lshlrev_b32_e32 v37, 1, v37
	v_add3_u32 v36, v38, v37, v36
	s_delay_alu instid0(VALU_DEP_1) | instskip(NEXT) | instid1(VALU_DEP_1)
	v_sub_nc_u32_e32 v38, v87, v36
	v_cmp_lt_i32_e32 vcc_lo, 1, v38
	s_and_b32 exec_lo, exec_lo, vcc_lo
	s_cbranch_execz .LBB10_946
; %bb.944:                              ;   in Loop: Header=BB10_855 Depth=1
	v_add_nc_u32_e32 v36, v36, v96
	s_mov_b32 s19, 0
	s_delay_alu instid0(VALU_DEP_1)
	v_ashrrev_i32_e32 v37, 31, v36
.LBB10_945:                             ;   Parent Loop BB10_855 Depth=1
                                        ; =>  This Inner Loop Header: Depth=2
	s_delay_alu instid0(VALU_DEP_1) | instskip(SKIP_1) | instid1(VALU_DEP_1)
	v_add_nc_u64_e32 v[48:49], v[32:33], v[36:37]
	v_sub_nc_u32_e32 v38, v38, v20
	v_cmp_gt_i32_e32 vcc_lo, 2, v38
	flat_load_u16 v39, v[48:49] th:TH_LOAD_NT
	s_wait_xcnt 0x0
	v_add_nc_u64_e32 v[48:49], v[34:35], v[36:37]
	v_add_nc_u64_e32 v[36:37], v[36:37], v[20:21]
	s_or_b32 s19, vcc_lo, s19
	s_wait_loadcnt_dscnt 0x0
	flat_store_b16 v[48:49], v39 th:TH_STORE_NT
	s_wait_xcnt 0x0
	s_and_not1_b32 exec_lo, exec_lo, s19
	s_cbranch_execnz .LBB10_945
.LBB10_946:                             ;   in Loop: Header=BB10_855 Depth=1
	s_or_b32 exec_lo, exec_lo, s10
	v_cmp_ne_u32_e64 s10, 0, v10
	s_and_saveexec_b32 s19, s2
	s_cbranch_execz .LBB10_965
.LBB10_947:                             ;   in Loop: Header=BB10_855 Depth=1
	s_and_saveexec_b32 s20, s3
	s_delay_alu instid0(SALU_CYCLE_1)
	s_xor_b32 s20, exec_lo, s20
	s_cbranch_execz .LBB10_962
; %bb.948:                              ;   in Loop: Header=BB10_855 Depth=1
	s_and_saveexec_b32 s21, s4
	s_cbranch_execz .LBB10_961
; %bb.949:                              ;   in Loop: Header=BB10_855 Depth=1
	s_mov_b32 s23, exec_lo
	s_mov_b32 s22, exec_lo
	v_mbcnt_lo_u32_b32 v10, s23, 0
	global_wb scope:SCOPE_DEV
	s_wait_storecnt 0x0
	s_wait_loadcnt_dscnt 0x0
	global_inv scope:SCOPE_DEV
	v_cmpx_eq_u32_e32 0, v10
	s_cbranch_execz .LBB10_951
; %bb.950:                              ;   in Loop: Header=BB10_855 Depth=1
	s_bcnt1_i32_b32 s23, s23
	s_delay_alu instid0(SALU_CYCLE_1)
	v_mov_b32_e32 v10, s23
	s_wait_loadcnt 0x0
	ds_add_u64 v0, v[10:11]
	s_trap 2
.LBB10_951:                             ;   in Loop: Header=BB10_855 Depth=1
	s_or_b32 exec_lo, exec_lo, s22
	s_trap 2
	ds_load_b64 v[32:33], v0
	s_wait_dscnt 0x0
	v_add_nc_u64_e32 v[70:71], v[70:71], v[12:13]
	s_mov_b32 s22, exec_lo
	s_delay_alu instid0(VALU_DEP_1)
	v_cmpx_lt_u64_e64 v[32:33], v[70:71]
	s_cbranch_execz .LBB10_960
; %bb.952:                              ;   in Loop: Header=BB10_855 Depth=1
	s_mov_b32 s23, 0
	s_mov_b32 s26, 0
                                        ; implicit-def: $sgpr24
                                        ; implicit-def: $sgpr25
	s_branch .LBB10_954
.LBB10_953:                             ;   in Loop: Header=BB10_954 Depth=2
	s_or_b32 exec_lo, exec_lo, s28
	s_delay_alu instid0(SALU_CYCLE_1) | instskip(NEXT) | instid1(SALU_CYCLE_1)
	s_and_b32 s27, exec_lo, s29
	s_or_b32 s23, s27, s23
	s_and_not1_b32 s24, s24, exec_lo
	s_and_b32 s27, s25, exec_lo
	s_delay_alu instid0(SALU_CYCLE_1)
	s_or_b32 s24, s24, s27
	s_and_not1_b32 exec_lo, exec_lo, s23
	s_cbranch_execz .LBB10_958
.LBB10_954:                             ;   Parent Loop BB10_855 Depth=1
                                        ; =>  This Inner Loop Header: Depth=2
	s_add_co_i32 s26, s26, 1
	s_delay_alu instid0(SALU_CYCLE_1) | instskip(SKIP_1) | instid1(SALU_CYCLE_1)
	s_cmp_lg_u32 s26, 0x2710
	s_cselect_b32 s27, -1, 0
	s_and_b32 vcc_lo, exec_lo, s27
	s_cbranch_vccz .LBB10_956
; %bb.955:                              ;   in Loop: Header=BB10_954 Depth=2
	s_mov_b32 s29, -1
	s_or_b32 s25, s25, exec_lo
	s_and_saveexec_b32 s28, s27
	s_cbranch_execz .LBB10_953
	s_branch .LBB10_957
.LBB10_956:                             ;   in Loop: Header=BB10_954 Depth=2
	s_trap 2
	ds_load_b64 v[32:33], v0
	s_and_not1_b32 s27, s27, exec_lo
	s_mov_b32 s26, 0
	s_wait_loadcnt_dscnt 0x0
	flat_load_b32 v10, v[32:33] scope:SCOPE_SYS
	s_wait_loadcnt_dscnt 0x0
	global_inv scope:SCOPE_SYS
	v_cmp_eq_u32_e32 vcc_lo, 0, v10
	s_and_b32 s28, vcc_lo, exec_lo
	s_delay_alu instid0(SALU_CYCLE_1)
	s_or_b32 s27, s27, s28
	s_mov_b32 s29, -1
	s_or_b32 s25, s25, exec_lo
	s_and_saveexec_b32 s28, s27
	s_cbranch_execz .LBB10_953
.LBB10_957:                             ;   in Loop: Header=BB10_954 Depth=2
	s_sleep 1
	s_trap 2
	ds_load_b64 v[32:33], v0
	s_wait_dscnt 0x0
	s_and_not1_b32 s25, s25, exec_lo
	v_cmp_ge_u64_e32 vcc_lo, v[32:33], v[70:71]
	s_or_not1_b32 s29, vcc_lo, exec_lo
	s_branch .LBB10_953
.LBB10_958:                             ;   in Loop: Header=BB10_855 Depth=1
	s_or_b32 exec_lo, exec_lo, s23
	s_and_saveexec_b32 s23, s24
	s_delay_alu instid0(SALU_CYCLE_1)
	s_xor_b32 s23, exec_lo, s23
	s_cbranch_execz .LBB10_960
; %bb.959:                              ;   in Loop: Header=BB10_855 Depth=1
	ds_store_b32 v0, v86
	s_trap 2
.LBB10_960:                             ;   in Loop: Header=BB10_855 Depth=1
	s_or_b32 exec_lo, exec_lo, s22
	;;#ASMSTART
	s_wakeup
	;;#ASMEND
.LBB10_961:                             ;   in Loop: Header=BB10_855 Depth=1
	s_or_b32 exec_lo, exec_lo, s21
.LBB10_962:                             ;   in Loop: Header=BB10_855 Depth=1
	s_and_not1_saveexec_b32 s20, s20
	s_cbranch_execz .LBB10_964
; %bb.963:                              ;   in Loop: Header=BB10_855 Depth=1
	global_wb scope:SCOPE_DEV
	s_wait_storecnt 0x0
	s_wait_loadcnt_dscnt 0x0
	global_inv scope:SCOPE_DEV
	s_barrier_signal -1
	s_barrier_wait -1
.LBB10_964:                             ;   in Loop: Header=BB10_855 Depth=1
	s_or_b32 exec_lo, exec_lo, s20
.LBB10_965:                             ;   in Loop: Header=BB10_855 Depth=1
	s_delay_alu instid0(SALU_CYCLE_1) | instskip(SKIP_1) | instid1(VALU_DEP_1)
	s_or_b32 exec_lo, exec_lo, s19
	v_and_b32_e32 v10, 16, v30
	v_cmp_ne_u32_e32 vcc_lo, 0, v10
	s_and_b32 s19, vcc_lo, s10
	s_delay_alu instid0(SALU_CYCLE_1)
	s_and_saveexec_b32 s10, s19
	s_cbranch_execz .LBB10_967
; %bb.966:                              ;   in Loop: Header=BB10_855 Depth=1
	global_wb scope:SCOPE_SYS
	s_wait_storecnt 0x0
	s_wait_loadcnt_dscnt 0x0
	global_inv scope:SCOPE_SYS
.LBB10_967:                             ;   in Loop: Header=BB10_855 Depth=1
	s_or_b32 exec_lo, exec_lo, s10
	s_delay_alu instid0(SALU_CYCLE_1)
	s_mov_b32 s10, exec_lo
	v_cmpx_ne_u32_e32 0, v10
	s_cbranch_execz .LBB10_971
; %bb.968:                              ;   in Loop: Header=BB10_855 Depth=1
	s_and_saveexec_b32 s19, s7
	s_cbranch_execz .LBB10_970
; %bb.969:                              ;   in Loop: Header=BB10_855 Depth=1
	global_wb scope:SCOPE_SYS
	s_wait_storecnt 0x0
	s_wait_loadcnt_dscnt 0x0
	flat_store_b32 v[84:85], v86 scope:SCOPE_SYS
.LBB10_970:                             ;   in Loop: Header=BB10_855 Depth=1
	s_wait_xcnt 0x0
	s_or_b32 exec_lo, exec_lo, s19
	v_add_nc_u64_e32 v[8:9], 1, v[8:9]
	global_wb scope:SCOPE_SYS
	s_wait_storecnt 0x0
	s_wait_loadcnt_dscnt 0x0
	flat_store_b64 v[64:65], v[8:9] scope:SCOPE_SYS
.LBB10_971:                             ;   in Loop: Header=BB10_855 Depth=1
	s_wait_xcnt 0x0
	s_or_b32 exec_lo, exec_lo, s10
	v_mov_b32_e32 v10, v29
.LBB10_972:                             ;   in Loop: Header=BB10_855 Depth=1
	s_or_b32 exec_lo, exec_lo, s18
	s_and_saveexec_b32 s18, s17
	s_cbranch_execz .LBB10_854
; %bb.973:                              ;   in Loop: Header=BB10_855 Depth=1
	s_delay_alu instid0(VALU_DEP_1) | instskip(SKIP_2) | instid1(VALU_DEP_2)
	v_sub_nc_u32_e32 v10, v28, v10
	v_and_b32_e32 v32, 8, v30
	s_mov_b32 s17, exec_lo
	v_min_i32_e32 v28, v29, v10
	s_delay_alu instid0(VALU_DEP_2)
	v_cmpx_ne_u32_e32 0, v32
	s_cbranch_execz .LBB10_995
; %bb.974:                              ;   in Loop: Header=BB10_855 Depth=1
	s_wait_loadcnt 0x0
	v_add_nc_u64_e32 v[34:35], 8, v[80:81]
	v_add_nc_u64_e32 v[32:33], 1, v[8:9]
	s_mov_b32 s19, exec_lo
	s_delay_alu instid0(VALU_DEP_1)
	v_cmpx_lt_u64_e64 v[34:35], v[32:33]
	s_cbranch_execz .LBB10_986
; %bb.975:                              ;   in Loop: Header=BB10_855 Depth=1
	v_and_b32_e32 v9, 64, v30
	s_mov_b32 s20, 0
	s_mov_b32 s24, 0
                                        ; implicit-def: $sgpr21
                                        ; implicit-def: $sgpr22
                                        ; implicit-def: $sgpr23
	s_delay_alu instid0(VALU_DEP_1)
	v_cmp_eq_u32_e32 vcc_lo, 0, v9
	s_branch .LBB10_979
.LBB10_976:                             ;   in Loop: Header=BB10_979 Depth=2
	s_wait_loadcnt_dscnt 0x0
	v_add_nc_u64_e32 v[34:35], 8, v[80:81]
	s_or_b32 s27, s27, exec_lo
	s_delay_alu instid0(VALU_DEP_1)
	v_cmp_ge_u64_e64 s10, v[34:35], v[32:33]
	s_or_not1_b32 s26, s10, exec_lo
.LBB10_977:                             ;   in Loop: Header=BB10_979 Depth=2
	s_or_b32 exec_lo, exec_lo, s29
	s_delay_alu instid0(SALU_CYCLE_1)
	s_and_not1_b32 s10, s23, exec_lo
	s_and_b32 s23, s27, exec_lo
	s_and_not1_b32 s22, s22, exec_lo
	s_and_b32 s26, s26, exec_lo
	s_or_b32 s23, s10, s23
	s_or_b32 s22, s22, s26
.LBB10_978:                             ;   in Loop: Header=BB10_979 Depth=2
	s_or_b32 exec_lo, exec_lo, s25
	s_delay_alu instid0(SALU_CYCLE_1) | instskip(NEXT) | instid1(SALU_CYCLE_1)
	s_and_b32 s10, exec_lo, s22
	s_or_b32 s20, s10, s20
	s_and_not1_b32 s10, s21, exec_lo
	s_and_b32 s21, s23, exec_lo
	s_delay_alu instid0(SALU_CYCLE_1)
	s_or_b32 s21, s10, s21
	s_and_not1_b32 exec_lo, exec_lo, s20
	s_cbranch_execz .LBB10_983
.LBB10_979:                             ;   Parent Loop BB10_855 Depth=1
                                        ; =>  This Inner Loop Header: Depth=2
	s_sleep 1
	s_wait_loadcnt_dscnt 0x0
	flat_load_b64 v[80:81], v[64:65] scope:SCOPE_SYS
	s_or_b32 s23, s23, exec_lo
	s_or_b32 s22, s22, exec_lo
                                        ; implicit-def: $vgpr9
	s_wait_xcnt 0x0
	s_and_saveexec_b32 s25, vcc_lo
	s_cbranch_execz .LBB10_978
; %bb.980:                              ;   in Loop: Header=BB10_979 Depth=2
	s_cmp_lt_i32 s24, 0x270f
	s_mov_b32 s26, -1
	s_cselect_b32 s28, -1, 0
	s_cmp_gt_i32 s24, 0x270e
	s_cbranch_scc0 .LBB10_982
; %bb.981:                              ;   in Loop: Header=BB10_979 Depth=2
	s_trap 2
	ds_load_b64 v[34:35], v0
	s_and_not1_b32 s24, s28, exec_lo
	s_mov_b32 s27, 0
	s_wait_storecnt 0x0
	s_wait_loadcnt_dscnt 0x0
	flat_load_b32 v9, v[34:35] scope:SCOPE_SYS
	s_wait_loadcnt_dscnt 0x0
	global_inv scope:SCOPE_SYS
	v_cmp_eq_u32_e64 s10, 0, v9
	s_and_b32 s10, s10, exec_lo
	s_delay_alu instid0(SALU_CYCLE_1)
	s_or_b32 s28, s24, s10
	s_mov_b32 s24, 0
	s_and_saveexec_b32 s29, s28
	s_cbranch_execz .LBB10_977
	s_branch .LBB10_976
.LBB10_982:                             ;   in Loop: Header=BB10_979 Depth=2
	s_add_co_i32 s24, s24, 1
	s_mov_b32 s27, -1
                                        ; implicit-def: $vgpr9
	s_and_saveexec_b32 s29, s28
	s_cbranch_execz .LBB10_977
	s_branch .LBB10_976
.LBB10_983:                             ;   in Loop: Header=BB10_855 Depth=1
	s_or_b32 exec_lo, exec_lo, s20
	s_xor_b32 s10, s21, -1
	s_delay_alu instid0(SALU_CYCLE_1) | instskip(NEXT) | instid1(SALU_CYCLE_1)
	s_and_saveexec_b32 s20, s10
	s_xor_b32 s10, exec_lo, s20
	s_cbranch_execz .LBB10_985
; %bb.984:                              ;   in Loop: Header=BB10_855 Depth=1
	v_or_b32_e32 v30, 64, v30
	s_wait_storecnt 0x0
	s_wait_loadcnt_dscnt 0x0
	ds_store_b32 v0, v9
	s_trap 2
.LBB10_985:                             ;   in Loop: Header=BB10_855 Depth=1
	s_or_b32 exec_lo, exec_lo, s10
.LBB10_986:                             ;   in Loop: Header=BB10_855 Depth=1
	s_delay_alu instid0(SALU_CYCLE_1) | instskip(SKIP_4) | instid1(VALU_DEP_2)
	s_or_b32 exec_lo, exec_lo, s19
	v_and_b32_e32 v9, 0x100, v30
	v_and_b32_e32 v10, 7, v8
	s_mov_b32 s19, 0
	;;#ASMSTART
	s_wakeup
	;;#ASMEND
	v_cmp_ne_u32_e32 vcc_lo, 0, v9
                                        ; implicit-def: $vgpr8_vgpr9
	s_and_saveexec_b32 s10, vcc_lo
	s_delay_alu instid0(SALU_CYCLE_1)
	s_xor_b32 s10, exec_lo, s10
	s_cbranch_execz .LBB10_1007
; %bb.987:                              ;   in Loop: Header=BB10_855 Depth=1
	v_mad_nc_u64_u32 v[34:35], v10, 24, v[6:7]
	v_ashrrev_i32_e32 v29, 31, v28
	s_mov_b32 s19, -1
	s_mov_b32 s20, exec_lo
	s_delay_alu instid0(VALU_DEP_1)
	v_lshlrev_b64_e32 v[8:9], 1, v[28:29]
	s_clause 0x1
	flat_load_b32 v36, v[34:35]
	flat_store_b64 v[34:35], v[8:9] offset:8
                                        ; implicit-def: $vgpr8_vgpr9
	s_wait_loadcnt_dscnt 0x1
	v_cmpx_eq_u32_e32 1, v36
	s_cbranch_execz .LBB10_989
; %bb.988:                              ;   in Loop: Header=BB10_855 Depth=1
	flat_load_b32 v8, v[34:35] offset:4 scope:SCOPE_SYS
	s_xor_b32 s19, exec_lo, -1
	s_wait_loadcnt_dscnt 0x0
	v_ashrrev_i32_e32 v9, 31, v8
	s_delay_alu instid0(VALU_DEP_1)
	v_lshrrev_b64 v[8:9], 1, v[8:9]
.LBB10_989:                             ;   in Loop: Header=BB10_855 Depth=1
	s_wait_xcnt 0x0
	s_or_b32 exec_lo, exec_lo, s20
	s_delay_alu instid0(SALU_CYCLE_1)
	s_and_b32 s19, s19, exec_lo
	s_and_not1_saveexec_b32 s10, s10
	s_cbranch_execnz .LBB10_1008
.LBB10_990:                             ;   in Loop: Header=BB10_855 Depth=1
	s_or_b32 exec_lo, exec_lo, s10
	s_and_saveexec_b32 s10, s19
.LBB10_991:                             ;   in Loop: Header=BB10_855 Depth=1
	v_mul_u64_e32 v[8:9], v[10:11], v[66:67]
.LBB10_992:                             ;   in Loop: Header=BB10_855 Depth=1
	s_or_b32 exec_lo, exec_lo, s10
	v_and_b32_e32 v10, 0x2000, v30
	s_delay_alu instid0(VALU_DEP_2)
	v_lshl_add_u64 v[8:9], v[8:9], 1, v[68:69]
	s_mov_b32 s10, exec_lo
	ds_store_b64 v0, v[8:9] offset:784
	v_cmpx_ne_u32_e32 0, v10
	s_cbranch_execz .LBB10_994
; %bb.993:                              ;   in Loop: Header=BB10_855 Depth=1
	ds_load_b64 v[8:9], v0 offset:872
	s_wait_dscnt 0x0
	v_add_nc_u64_e32 v[8:9], 1, v[8:9]
	ds_store_b64 v0, v[8:9] offset:872
.LBB10_994:                             ;   in Loop: Header=BB10_855 Depth=1
	s_or_b32 exec_lo, exec_lo, s10
	v_mov_b64_e32 v[8:9], v[32:33]
.LBB10_995:                             ;   in Loop: Header=BB10_855 Depth=1
	s_or_b32 exec_lo, exec_lo, s17
	s_and_saveexec_b32 s10, s2
	s_cbranch_execz .LBB10_1016
; %bb.996:                              ;   in Loop: Header=BB10_855 Depth=1
	s_and_saveexec_b32 s17, s3
	s_delay_alu instid0(SALU_CYCLE_1)
	s_xor_b32 s17, exec_lo, s17
	s_cbranch_execz .LBB10_1013
; %bb.997:                              ;   in Loop: Header=BB10_855 Depth=1
	s_and_saveexec_b32 s19, s4
	s_cbranch_execz .LBB10_1012
; %bb.998:                              ;   in Loop: Header=BB10_855 Depth=1
	s_mov_b32 s21, exec_lo
	s_mov_b32 s20, exec_lo
	v_mbcnt_lo_u32_b32 v10, s21, 0
	global_wb scope:SCOPE_DEV
	s_wait_storecnt 0x0
	s_wait_loadcnt_dscnt 0x0
	global_inv scope:SCOPE_DEV
	v_cmpx_eq_u32_e32 0, v10
	s_cbranch_execz .LBB10_1000
; %bb.999:                              ;   in Loop: Header=BB10_855 Depth=1
	s_bcnt1_i32_b32 s21, s21
	s_delay_alu instid0(SALU_CYCLE_1)
	v_mov_b32_e32 v10, s21
	s_wait_loadcnt 0x0
	ds_add_u64 v0, v[10:11]
	s_trap 2
.LBB10_1000:                            ;   in Loop: Header=BB10_855 Depth=1
	s_or_b32 exec_lo, exec_lo, s20
	s_trap 2
	ds_load_b64 v[32:33], v0
	s_wait_dscnt 0x0
	v_add_nc_u64_e32 v[70:71], v[70:71], v[12:13]
	s_mov_b32 s20, exec_lo
	s_delay_alu instid0(VALU_DEP_1)
	v_cmpx_lt_u64_e64 v[32:33], v[70:71]
	s_cbranch_execz .LBB10_1011
; %bb.1001:                             ;   in Loop: Header=BB10_855 Depth=1
	s_mov_b32 s21, 0
	s_mov_b32 s24, 0
                                        ; implicit-def: $sgpr22
                                        ; implicit-def: $sgpr23
	s_branch .LBB10_1003
.LBB10_1002:                            ;   in Loop: Header=BB10_1003 Depth=2
	s_or_b32 exec_lo, exec_lo, s26
	s_delay_alu instid0(SALU_CYCLE_1) | instskip(NEXT) | instid1(SALU_CYCLE_1)
	s_and_b32 s25, exec_lo, s27
	s_or_b32 s21, s25, s21
	s_and_not1_b32 s22, s22, exec_lo
	s_and_b32 s25, s23, exec_lo
	s_delay_alu instid0(SALU_CYCLE_1)
	s_or_b32 s22, s22, s25
	s_and_not1_b32 exec_lo, exec_lo, s21
	s_cbranch_execz .LBB10_1009
.LBB10_1003:                            ;   Parent Loop BB10_855 Depth=1
                                        ; =>  This Inner Loop Header: Depth=2
	s_add_co_i32 s24, s24, 1
	s_delay_alu instid0(SALU_CYCLE_1) | instskip(SKIP_1) | instid1(SALU_CYCLE_1)
	s_cmp_lg_u32 s24, 0x2710
	s_cselect_b32 s25, -1, 0
	s_and_b32 vcc_lo, exec_lo, s25
	s_cbranch_vccz .LBB10_1005
; %bb.1004:                             ;   in Loop: Header=BB10_1003 Depth=2
	s_mov_b32 s27, -1
	s_or_b32 s23, s23, exec_lo
	s_and_saveexec_b32 s26, s25
	s_cbranch_execz .LBB10_1002
	s_branch .LBB10_1006
.LBB10_1005:                            ;   in Loop: Header=BB10_1003 Depth=2
	s_trap 2
	ds_load_b64 v[32:33], v0
	s_and_not1_b32 s25, s25, exec_lo
	s_mov_b32 s24, 0
	s_wait_loadcnt_dscnt 0x0
	flat_load_b32 v10, v[32:33] scope:SCOPE_SYS
	s_wait_loadcnt_dscnt 0x0
	global_inv scope:SCOPE_SYS
	v_cmp_eq_u32_e32 vcc_lo, 0, v10
	s_and_b32 s26, vcc_lo, exec_lo
	s_delay_alu instid0(SALU_CYCLE_1)
	s_or_b32 s25, s25, s26
	s_mov_b32 s27, -1
	s_or_b32 s23, s23, exec_lo
	s_and_saveexec_b32 s26, s25
	s_cbranch_execz .LBB10_1002
.LBB10_1006:                            ;   in Loop: Header=BB10_1003 Depth=2
	s_sleep 1
	s_trap 2
	ds_load_b64 v[32:33], v0
	s_wait_dscnt 0x0
	s_and_not1_b32 s23, s23, exec_lo
	v_cmp_ge_u64_e32 vcc_lo, v[32:33], v[70:71]
	s_or_not1_b32 s27, vcc_lo, exec_lo
	s_branch .LBB10_1002
.LBB10_1007:                            ;   in Loop: Header=BB10_855 Depth=1
	s_and_not1_saveexec_b32 s10, s10
	s_cbranch_execz .LBB10_990
.LBB10_1008:                            ;   in Loop: Header=BB10_855 Depth=1
	s_or_b32 s19, s19, exec_lo
	s_or_b32 exec_lo, exec_lo, s10
	s_and_saveexec_b32 s10, s19
	s_cbranch_execnz .LBB10_991
	s_branch .LBB10_992
.LBB10_1009:                            ;   in Loop: Header=BB10_855 Depth=1
	s_or_b32 exec_lo, exec_lo, s21
	s_and_saveexec_b32 s21, s22
	s_delay_alu instid0(SALU_CYCLE_1)
	s_xor_b32 s21, exec_lo, s21
	s_cbranch_execz .LBB10_1011
; %bb.1010:                             ;   in Loop: Header=BB10_855 Depth=1
	ds_store_b32 v0, v86
	s_trap 2
.LBB10_1011:                            ;   in Loop: Header=BB10_855 Depth=1
	s_or_b32 exec_lo, exec_lo, s20
	;;#ASMSTART
	s_wakeup
	;;#ASMEND
.LBB10_1012:                            ;   in Loop: Header=BB10_855 Depth=1
	s_or_b32 exec_lo, exec_lo, s19
.LBB10_1013:                            ;   in Loop: Header=BB10_855 Depth=1
	s_and_not1_saveexec_b32 s17, s17
	s_cbranch_execz .LBB10_1015
; %bb.1014:                             ;   in Loop: Header=BB10_855 Depth=1
	global_wb scope:SCOPE_DEV
	s_wait_storecnt 0x0
	s_wait_loadcnt_dscnt 0x0
	global_inv scope:SCOPE_DEV
	s_barrier_signal -1
	s_barrier_wait -1
.LBB10_1015:                            ;   in Loop: Header=BB10_855 Depth=1
	s_or_b32 exec_lo, exec_lo, s17
.LBB10_1016:                            ;   in Loop: Header=BB10_855 Depth=1
	s_delay_alu instid0(SALU_CYCLE_1)
	s_or_b32 exec_lo, exec_lo, s10
	s_trap 2
	ds_load_b32 v10, v0
	v_cmp_lt_i32_e32 vcc_lo, 0, v28
	s_wait_dscnt 0x0
	v_readfirstlane_b32 s10, v10
	v_and_b32_e32 v10, 16, v30
	s_cmp_eq_u32 s10, 0
	s_delay_alu instid0(VALU_DEP_1) | instskip(SKIP_1) | instid1(SALU_CYCLE_1)
	v_cmp_ne_u32_e64 s10, 0, v10
	s_cselect_b32 s17, -1, 0
	s_and_b32 s17, vcc_lo, s17
	s_delay_alu instid0(SALU_CYCLE_1) | instskip(NEXT) | instid1(SALU_CYCLE_1)
	s_and_b32 s17, s10, s17
	s_and_saveexec_b32 s10, s17
	s_cbranch_execz .LBB10_1018
; %bb.1017:                             ;   in Loop: Header=BB10_855 Depth=1
	global_wb scope:SCOPE_SYS
	s_wait_loadcnt 0x0
	s_wait_storecnt 0x0
	global_inv scope:SCOPE_SYS
.LBB10_1018:                            ;   in Loop: Header=BB10_855 Depth=1
	s_or_b32 exec_lo, exec_lo, s10
	s_delay_alu instid0(SALU_CYCLE_1)
	s_mov_b32 s10, exec_lo
	v_cmpx_ne_u32_e32 0, v10
	s_cbranch_execz .LBB10_853
; %bb.1019:                             ;   in Loop: Header=BB10_855 Depth=1
	s_and_saveexec_b32 s17, s7
	s_cbranch_execz .LBB10_852
; %bb.1020:                             ;   in Loop: Header=BB10_855 Depth=1
	global_wb scope:SCOPE_SYS
	s_wait_loadcnt 0x0
	s_wait_storecnt 0x0
	flat_store_b32 v[84:85], v86 scope:SCOPE_SYS
	s_branch .LBB10_852
.LBB10_1021:
	s_or_b32 exec_lo, exec_lo, s13
.LBB10_1022:
	s_delay_alu instid0(SALU_CYCLE_1)
	s_or_b32 exec_lo, exec_lo, s12
.LBB10_1023:
	s_delay_alu instid0(SALU_CYCLE_1) | instskip(SKIP_2) | instid1(VALU_DEP_1)
	s_or_b32 exec_lo, exec_lo, s11
	v_and_b32_e32 v0, 0x800, v30
	s_mov_b32 s1, exec_lo
	v_cmpx_eq_u32_e32 0, v0
	s_cbranch_execz .LBB10_1056
; %bb.1024:
	v_and_b32_e32 v0, 48, v30
	s_mov_b32 s0, exec_lo
	s_delay_alu instid0(VALU_DEP_1)
	v_cmpx_ne_u32_e32 0, v0
	s_cbranch_execz .LBB10_1026
; %bb.1025:
	s_wait_dscnt 0x0
	flat_store_b64 v[54:55], v[8:9] offset:104
.LBB10_1026:
	s_wait_xcnt 0x0
	s_or_b32 exec_lo, exec_lo, s0
	v_and_b32_e32 v0, 0x88, v30
	s_mov_b32 s2, exec_lo
	s_delay_alu instid0(VALU_DEP_1)
	v_cmpx_eq_u32_e32 0x88, v0
	s_cbranch_execz .LBB10_1036
; %bb.1027:
	s_wait_dscnt 0x0
	v_add_nc_u32_e32 v0, -1, v8
	s_mov_b32 s3, 0
	s_delay_alu instid0(VALU_DEP_1) | instskip(NEXT) | instid1(VALU_DEP_1)
	v_and_b32_e32 v0, 7, v0
	v_mad_nc_u64_u32 v[4:5], v0, 24, v[6:7]
	v_and_b32_e32 v0, 64, v30
	s_delay_alu instid0(VALU_DEP_1)
	v_cmp_eq_u32_e64 s0, 0, v0
	flat_load_b64 v[6:7], v[4:5] offset:8 scope:SCOPE_SYS
	s_wait_loadcnt_dscnt 0x0
	v_cmp_ne_u64_e32 vcc_lo, -1, v[6:7]
	s_and_b32 s0, vcc_lo, s0
	s_wait_xcnt 0x0
	s_and_b32 exec_lo, exec_lo, s0
	s_cbranch_execz .LBB10_1036
; %bb.1028:
	s_mov_b32 s5, 0
                                        ; implicit-def: $sgpr0
                                        ; implicit-def: $sgpr4
	s_branch .LBB10_1031
.LBB10_1029:                            ;   in Loop: Header=BB10_1031 Depth=1
	flat_load_b64 v[6:7], v[4:5] offset:8 scope:SCOPE_SYS
	s_wait_loadcnt 0x0
	s_and_not1_b32 s4, s4, exec_lo
	s_wait_dscnt 0x0
	v_cmp_eq_u64_e32 vcc_lo, -1, v[6:7]
	s_or_not1_b32 s7, vcc_lo, exec_lo
.LBB10_1030:                            ;   in Loop: Header=BB10_1031 Depth=1
	s_wait_xcnt 0x0
	s_or_b32 exec_lo, exec_lo, s10
	s_delay_alu instid0(SALU_CYCLE_1) | instskip(NEXT) | instid1(SALU_CYCLE_1)
	s_and_b32 s6, exec_lo, s7
	s_or_b32 s3, s6, s3
	s_and_not1_b32 s0, s0, exec_lo
	s_and_b32 s6, s4, exec_lo
	s_delay_alu instid0(SALU_CYCLE_1)
	s_or_b32 s0, s0, s6
	s_and_not1_b32 exec_lo, exec_lo, s3
	s_cbranch_execz .LBB10_1034
.LBB10_1031:                            ; =>This Inner Loop Header: Depth=1
	s_cmp_lt_i32 s5, 0x270f
	s_cselect_b32 s6, -1, 0
	s_delay_alu instid0(SALU_CYCLE_1)
	s_and_b32 vcc_lo, exec_lo, s6
	s_cbranch_vccnz .LBB10_1033
; %bb.1032:                             ;   in Loop: Header=BB10_1031 Depth=1
	s_trap 2
	ds_load_b64 v[6:7], v0
	s_and_not1_b32 s6, s6, exec_lo
	s_mov_b32 s5, 0
	s_wait_storecnt_dscnt 0x0
	flat_load_b32 v0, v[6:7] scope:SCOPE_SYS
	s_wait_loadcnt_dscnt 0x0
	global_inv scope:SCOPE_SYS
	v_cmp_eq_u32_e32 vcc_lo, 0, v0
	s_and_b32 s7, vcc_lo, exec_lo
	s_delay_alu instid0(SALU_CYCLE_1)
	s_or_b32 s6, s6, s7
	s_mov_b32 s7, -1
	s_or_b32 s4, s4, exec_lo
	s_wait_xcnt 0x0
	s_and_saveexec_b32 s10, s6
	s_cbranch_execz .LBB10_1030
	s_branch .LBB10_1029
.LBB10_1033:                            ;   in Loop: Header=BB10_1031 Depth=1
	s_add_co_i32 s5, s5, 1
                                        ; implicit-def: $vgpr0
	s_mov_b32 s7, -1
	s_or_b32 s4, s4, exec_lo
	s_and_saveexec_b32 s10, s6
	s_cbranch_execz .LBB10_1030
	s_branch .LBB10_1029
.LBB10_1034:
	s_or_b32 exec_lo, exec_lo, s3
	s_and_saveexec_b32 s3, s0
	s_delay_alu instid0(SALU_CYCLE_1)
	s_xor_b32 s3, exec_lo, s3
	s_cbranch_execz .LBB10_1036
; %bb.1035:
	s_wait_loadcnt 0x0
	s_wait_storecnt 0x0
	ds_store_b32 v0, v0
	s_trap 2
.LBB10_1036:
	s_or_b32 exec_lo, exec_lo, s2
	v_and_b32_e32 v0, 0x2000, v30
	s_mov_b32 s0, exec_lo
	s_delay_alu instid0(VALU_DEP_1)
	v_cmpx_ne_u32_e32 0, v0
	s_cbranch_execz .LBB10_1038
; %bb.1037:
	s_trap 2
	ds_load_b64 v[4:5], v0
	s_wait_dscnt 0x0
	flat_store_b64 v[2:3], v[4:5] offset:16
.LBB10_1038:
	s_wait_xcnt 0x0
	s_or_b32 exec_lo, exec_lo, s0
	v_cmp_ne_u32_e32 vcc_lo, 32, v1
	s_and_b32 exec_lo, exec_lo, vcc_lo
	s_cbranch_execz .LBB10_1056
; %bb.1039:
	s_mov_b32 s0, exec_lo
	v_cmpx_ne_u32_e64 v1, v60
	s_xor_b32 s0, exec_lo, s0
	s_cbranch_execz .LBB10_1054
; %bb.1040:
	v_and_b32_e32 v0, 31, v31
	s_mov_b32 s2, exec_lo
	s_delay_alu instid0(VALU_DEP_1)
	v_cmpx_eq_u32_e32 0, v0
	s_cbranch_execz .LBB10_1053
; %bb.1041:
	s_mov_b32 s4, exec_lo
	s_mov_b32 s3, exec_lo
	v_mbcnt_lo_u32_b32 v0, s4, 0
	global_wb scope:SCOPE_DEV
	s_wait_storecnt 0x0
	s_wait_loadcnt_dscnt 0x0
	global_inv scope:SCOPE_DEV
	v_cmpx_eq_u32_e32 0, v0
	s_cbranch_execz .LBB10_1043
; %bb.1042:
	s_bcnt1_i32_b32 s4, s4
	s_delay_alu instid0(SALU_CYCLE_1)
	v_dual_mov_b32 v3, 0 :: v_dual_mov_b32 v2, s4
	s_wait_loadcnt 0x0
	ds_add_u64 v0, v[2:3]
	s_trap 2
.LBB10_1043:
	s_or_b32 exec_lo, exec_lo, s3
	s_trap 2
	ds_load_b64 v[2:3], v0
	s_wait_dscnt 0x0
	v_dual_mov_b32 v1, 0 :: v_dual_lshrrev_b32 v0, 5, v1
	s_mov_b32 s3, exec_lo
	s_delay_alu instid0(VALU_DEP_1) | instskip(NEXT) | instid1(VALU_DEP_1)
	v_add_nc_u64_e32 v[0:1], v[70:71], v[0:1]
	v_cmpx_lt_u64_e64 v[2:3], v[0:1]
	s_cbranch_execz .LBB10_1052
; %bb.1044:
	s_mov_b32 s4, 0
	s_mov_b32 s7, 0
                                        ; implicit-def: $sgpr5
                                        ; implicit-def: $sgpr6
	s_branch .LBB10_1046
.LBB10_1045:                            ;   in Loop: Header=BB10_1046 Depth=1
	s_or_b32 exec_lo, exec_lo, s11
	s_delay_alu instid0(SALU_CYCLE_1) | instskip(NEXT) | instid1(SALU_CYCLE_1)
	s_and_b32 s10, exec_lo, s12
	s_or_b32 s4, s10, s4
	s_and_not1_b32 s5, s5, exec_lo
	s_and_b32 s10, s6, exec_lo
	s_delay_alu instid0(SALU_CYCLE_1)
	s_or_b32 s5, s5, s10
	s_and_not1_b32 exec_lo, exec_lo, s4
	s_cbranch_execz .LBB10_1050
.LBB10_1046:                            ; =>This Inner Loop Header: Depth=1
	s_add_co_i32 s7, s7, 1
	s_delay_alu instid0(SALU_CYCLE_1) | instskip(SKIP_1) | instid1(SALU_CYCLE_1)
	s_cmp_lg_u32 s7, 0x2710
	s_cselect_b32 s10, -1, 0
	s_and_b32 vcc_lo, exec_lo, s10
	s_cbranch_vccz .LBB10_1048
; %bb.1047:                             ;   in Loop: Header=BB10_1046 Depth=1
	s_mov_b32 s12, -1
	s_or_b32 s6, s6, exec_lo
	s_and_saveexec_b32 s11, s10
	s_cbranch_execz .LBB10_1045
	s_branch .LBB10_1049
.LBB10_1048:                            ;   in Loop: Header=BB10_1046 Depth=1
	s_trap 2
	ds_load_b64 v[2:3], v0
	s_and_not1_b32 s10, s10, exec_lo
	s_mov_b32 s7, 0
	s_wait_loadcnt_dscnt 0x0
	flat_load_b32 v2, v[2:3] scope:SCOPE_SYS
	s_wait_loadcnt_dscnt 0x0
	global_inv scope:SCOPE_SYS
	v_cmp_eq_u32_e32 vcc_lo, 0, v2
	s_and_b32 s11, vcc_lo, exec_lo
	s_delay_alu instid0(SALU_CYCLE_1)
	s_or_b32 s10, s10, s11
	s_mov_b32 s12, -1
	s_or_b32 s6, s6, exec_lo
	s_and_saveexec_b32 s11, s10
	s_cbranch_execz .LBB10_1045
.LBB10_1049:                            ;   in Loop: Header=BB10_1046 Depth=1
	s_sleep 1
	s_trap 2
	ds_load_b64 v[2:3], v0
	s_wait_dscnt 0x0
	s_and_not1_b32 s6, s6, exec_lo
	v_cmp_ge_u64_e32 vcc_lo, v[2:3], v[0:1]
	s_or_not1_b32 s12, vcc_lo, exec_lo
	s_branch .LBB10_1045
.LBB10_1050:
	s_or_b32 exec_lo, exec_lo, s4
	s_and_saveexec_b32 s4, s5
	s_delay_alu instid0(SALU_CYCLE_1)
	s_xor_b32 s4, exec_lo, s4
	s_cbranch_execz .LBB10_1052
; %bb.1051:
	v_mov_b32_e32 v0, 1
	ds_store_b32 v0, v0
	s_trap 2
.LBB10_1052:
	s_or_b32 exec_lo, exec_lo, s3
	;;#ASMSTART
	s_wakeup
	;;#ASMEND
.LBB10_1053:
	s_or_b32 exec_lo, exec_lo, s2
.LBB10_1054:
	s_and_not1_saveexec_b32 s0, s0
	s_cbranch_execz .LBB10_1056
; %bb.1055:
	global_wb scope:SCOPE_DEV
	s_wait_storecnt 0x0
	s_wait_loadcnt_dscnt 0x0
	global_inv scope:SCOPE_DEV
	s_barrier_signal -1
	s_barrier_wait -1
.LBB10_1056:
	s_or_b32 exec_lo, exec_lo, s1
.LBB10_1057:
	s_and_not1_saveexec_b32 s21, s14
	s_cbranch_execz .LBB10_1059
; %bb.1058:
	s_get_pc_i64 s[0:1]
	s_add_nc_u64 s[0:1], s[0:1], __PRETTY_FUNCTION__._ZN10PrimitivesI12hip_bfloat1610FuncMinMaxIS0_E12FanSymmetricILi1EELi0E11ProtoSimpleILi1ELi1ELi0ELi4ELi0ELi0EELi0ELb0ELi0ELi0ELi0EEC2EiiPKiS9_PKvPvmhhhP15ncclDevWorkCollP14ncclDevWorkP2pii@rel64+4
	s_get_pc_i64 s[2:3]
	s_add_nc_u64 s[2:3], s[2:3], __assert_fail@rel64+4
	v_dual_mov_b32 v0, s0 :: v_dual_mov_b32 v1, s1
	s_swap_pc_i64 s[30:31], s[2:3]
	; divergent unreachable
.LBB10_1059:
	s_or_b32 exec_lo, exec_lo, s21
	s_clause 0x17
	scratch_load_b32 v79, off, s33
	scratch_load_b32 v78, off, s33 offset:4
	scratch_load_b32 v77, off, s33 offset:8
	;; [unrolled: 1-line block ×23, first 2 shown]
	v_readlane_b32 s30, v88, 0
	v_readlane_b32 s31, v88, 1
	s_mov_b32 s32, s33
	s_wait_xcnt 0x0
	s_or_saveexec_b32 s0, -1
	scratch_load_b32 v88, off, s33 offset:96 ; 4-byte Folded Reload
	s_wait_xcnt 0x0
	s_mov_b32 exec_lo, s0
	s_mov_b32 s33, s43
	s_wait_loadcnt_dscnt 0x0
	s_set_pc_i64 s[30:31]
.Lfunc_end10:
	.size	_ZN12_GLOBAL__N_17runRingI12hip_bfloat1610FuncMinMaxIS1_E11ProtoSimpleILi1ELi1ELi0ELi4ELi0ELi0EELi0ELi4ELi0EEEviiP15ncclDevWorkColl, .Lfunc_end10-_ZN12_GLOBAL__N_17runRingI12hip_bfloat1610FuncMinMaxIS1_E11ProtoSimpleILi1ELi1ELi0ELi4ELi0ELi0EELi0ELi4ELi0EEEviiP15ncclDevWorkColl
                                        ; -- End function
	.set .L_ZN12_GLOBAL__N_17runRingI12hip_bfloat1610FuncMinMaxIS1_E11ProtoSimpleILi1ELi1ELi0ELi4ELi0ELi0EELi0ELi4ELi0EEEviiP15ncclDevWorkColl.num_vgpr, max(120, .L__assert_fail.num_vgpr)
	.set .L_ZN12_GLOBAL__N_17runRingI12hip_bfloat1610FuncMinMaxIS1_E11ProtoSimpleILi1ELi1ELi0ELi4ELi0ELi0EELi0ELi4ELi0EEEviiP15ncclDevWorkColl.num_agpr, max(0, .L__assert_fail.num_agpr)
	.set .L_ZN12_GLOBAL__N_17runRingI12hip_bfloat1610FuncMinMaxIS1_E11ProtoSimpleILi1ELi1ELi0ELi4ELi0ELi0EELi0ELi4ELi0EEEviiP15ncclDevWorkColl.numbered_sgpr, max(44, .L__assert_fail.numbered_sgpr)
	.set .L_ZN12_GLOBAL__N_17runRingI12hip_bfloat1610FuncMinMaxIS1_E11ProtoSimpleILi1ELi1ELi0ELi4ELi0ELi0EELi0ELi4ELi0EEEviiP15ncclDevWorkColl.num_named_barrier, max(0, .L__assert_fail.num_named_barrier)
	.set .L_ZN12_GLOBAL__N_17runRingI12hip_bfloat1610FuncMinMaxIS1_E11ProtoSimpleILi1ELi1ELi0ELi4ELi0ELi0EELi0ELi4ELi0EEEviiP15ncclDevWorkColl.private_seg_size, 112+max(.L__assert_fail.private_seg_size)
	.set .L_ZN12_GLOBAL__N_17runRingI12hip_bfloat1610FuncMinMaxIS1_E11ProtoSimpleILi1ELi1ELi0ELi4ELi0ELi0EELi0ELi4ELi0EEEviiP15ncclDevWorkColl.uses_vcc, or(1, .L__assert_fail.uses_vcc)
	.set .L_ZN12_GLOBAL__N_17runRingI12hip_bfloat1610FuncMinMaxIS1_E11ProtoSimpleILi1ELi1ELi0ELi4ELi0ELi0EELi0ELi4ELi0EEEviiP15ncclDevWorkColl.uses_flat_scratch, or(1, .L__assert_fail.uses_flat_scratch)
	.set .L_ZN12_GLOBAL__N_17runRingI12hip_bfloat1610FuncMinMaxIS1_E11ProtoSimpleILi1ELi1ELi0ELi4ELi0ELi0EELi0ELi4ELi0EEEviiP15ncclDevWorkColl.has_dyn_sized_stack, or(0, .L__assert_fail.has_dyn_sized_stack)
	.set .L_ZN12_GLOBAL__N_17runRingI12hip_bfloat1610FuncMinMaxIS1_E11ProtoSimpleILi1ELi1ELi0ELi4ELi0ELi0EELi0ELi4ELi0EEEviiP15ncclDevWorkColl.has_recursion, or(1, .L__assert_fail.has_recursion)
	.set .L_ZN12_GLOBAL__N_17runRingI12hip_bfloat1610FuncMinMaxIS1_E11ProtoSimpleILi1ELi1ELi0ELi4ELi0ELi0EELi0ELi4ELi0EEEviiP15ncclDevWorkColl.has_indirect_call, or(0, .L__assert_fail.has_indirect_call)
	.section	.AMDGPU.csdata,"",@progbits
; Function info:
; codeLenInByte = 39924
; TotalNumSgprs: 46
; NumVgprs: 120
; ScratchSize: 176
; MemoryBound: 1
	.text
	.p2align	2                               ; -- Begin function _Z48ncclDevFunc_Reduce_RING_SIMPLE_MinMax_bf16_0_0_4v
	.type	_Z48ncclDevFunc_Reduce_RING_SIMPLE_MinMax_bf16_0_0_4v,@function
_Z48ncclDevFunc_Reduce_RING_SIMPLE_MinMax_bf16_0_0_4v: ; @_Z48ncclDevFunc_Reduce_RING_SIMPLE_MinMax_bf16_0_0_4v
; %bb.0:
	s_wait_loadcnt_dscnt 0x0
	s_wait_kmcnt 0x0
	s_mov_b32 s59, s33
	s_mov_b32 s33, s32
	s_or_saveexec_b32 s0, -1
	scratch_store_b32 off, v42, s33 offset:12 ; 4-byte Folded Spill
	s_wait_xcnt 0x0
	s_mov_b32 exec_lo, s0
	s_add_co_i32 s32, s32, 32
	s_clause 0x2
	scratch_store_b32 off, v40, s33 offset:8
	; meta instruction
	scratch_store_b32 off, v41, s33 offset:4
	; meta instruction
	scratch_store_b32 off, v88, s33
	v_writelane_b32 v42, s30, 0
	v_writelane_b32 v42, s31, 1
	s_trap 2
	ds_load_b32 v0, v0
	s_wait_xcnt 0x2
	v_mov_b32_e32 v40, v31
	s_mov_b32 s46, s12
	s_mov_b64 s[44:45], s[8:9]
	s_mov_b32 s2, exec_lo
	s_wait_xcnt 0x1
	v_and_b32_e32 v41, 0x3ff, v40
	s_wait_dscnt 0x0
	s_wait_xcnt 0x0
	s_delay_alu instid0(VALU_DEP_1)
	v_cmpx_lt_i32_e64 v41, v0
	s_cbranch_execz .LBB11_5
; %bb.1:
	s_load_b32 s0, s[44:45], 0x0
	s_bfe_u32 s1, ttmp6, 0x4000c
	s_and_b32 s3, ttmp6, 15
	s_add_co_i32 s1, s1, 1
	s_getreg_b32 s4, hwreg(HW_REG_IB_STS2, 6, 4)
	s_mul_i32 s1, ttmp9, s1
	v_mov_b32_e32 v2, v41
	s_add_co_i32 s3, s3, s1
	s_cmp_eq_u32 s4, 0
                                        ; implicit-def: $vgpr3
	s_cselect_b32 s1, ttmp9, s3
	s_mov_b32 s3, 0
	s_wait_kmcnt 0x0
	s_cmp_lt_u32 s1, s0
	s_mov_b32 s1, 0
	s_cselect_b32 s0, 12, 18
	s_delay_alu instid0(SALU_CYCLE_1)
	s_add_nc_u64 s[4:5], s[44:45], s[0:1]
	s_load_u16 s0, s[4:5], 0x0
	s_trap 2
	ds_load_b32 v1, v0
	s_wait_dscnt 0x0
	s_wait_kmcnt 0x0
	v_mul_lo_u32 v1, v1, s0
	s_branch .LBB11_3
.LBB11_2:                               ;   in Loop: Header=BB11_3 Depth=1
	s_or_b32 exec_lo, exec_lo, s4
	v_dual_add_nc_u32 v2, s0, v2 :: v_dual_add_nc_u32 v3, v3, v1
	s_delay_alu instid0(VALU_DEP_1) | instskip(SKIP_1) | instid1(SALU_CYCLE_1)
	v_cmp_ge_i32_e32 vcc_lo, v2, v0
	s_or_b32 s3, vcc_lo, s3
	s_and_not1_b32 exec_lo, exec_lo, s3
	s_cbranch_execz .LBB11_5
.LBB11_3:                               ; =>This Inner Loop Header: Depth=1
	ds_load_b32 v4, v3
	s_mov_b32 s4, exec_lo
	s_wait_dscnt 0x0
	v_and_b32_e32 v4, 0x1000000, v4
	s_delay_alu instid0(VALU_DEP_1)
	v_cmpx_ne_u32_e32 0, v4
	s_cbranch_execz .LBB11_2
; %bb.4:                                ;   in Loop: Header=BB11_3 Depth=1
	ds_load_b64 v[4:5], v3 offset:104
	s_wait_dscnt 0x0
	flat_load_u16 v4, v[4:5]
	s_wait_xcnt 0x0
	v_mov_b32_e32 v5, s1
	s_wait_loadcnt_dscnt 0x0
	v_and_b32_e32 v4, 0xffff, v4
	ds_store_b64 v3, v[4:5] offset:104
	s_branch .LBB11_2
.LBB11_5:
	s_or_b32 exec_lo, exec_lo, s2
	s_wait_storecnt_dscnt 0x0
	s_barrier_signal -1
	s_barrier_wait -1
	s_trap 2
	ds_load_b32 v0, v0
	s_wait_dscnt 0x0
	v_cmp_gt_i32_e32 vcc_lo, 1, v0
	s_cbranch_vccnz .LBB11_13
; %bb.6:
	s_mov_b32 s47, 0
	s_get_pc_i64 s[56:57]
	s_add_nc_u64 s[56:57], s[56:57], _ZN12_GLOBAL__N_17runRingI12hip_bfloat1610FuncMinMaxIS1_E11ProtoSimpleILi1ELi1ELi0ELi4ELi0ELi0EELi0ELi4ELi0EEEviiP15ncclDevWorkColl@rel64+4
	s_branch .LBB11_8
.LBB11_7:                               ;   in Loop: Header=BB11_8 Depth=1
	s_or_b32 exec_lo, exec_lo, s58
	s_trap 2
	ds_load_b32 v0, v0
	s_add_co_i32 s47, s47, 1
	s_wait_dscnt 0x0
	v_cmp_lt_i32_e32 vcc_lo, s47, v0
	s_cbranch_vccz .LBB11_13
.LBB11_8:                               ; =>This Inner Loop Header: Depth=1
	s_trap 2
	ds_load_b32 v0, v0
	s_cmp_eq_u32 s47, 0
	s_cbranch_scc1 .LBB11_11
; %bb.9:                                ;   in Loop: Header=BB11_8 Depth=1
	s_trap 2
	s_wait_dscnt 0x0
	ds_load_b32 v1, v0
	s_wait_dscnt 0x0
	v_xor_b32_e32 v1, v1, v0
	s_delay_alu instid0(VALU_DEP_1) | instskip(NEXT) | instid1(VALU_DEP_1)
	v_and_b32_e32 v1, 0xff0000, v1
	v_cmp_eq_u32_e32 vcc_lo, 0, v1
	s_cbranch_vccnz .LBB11_11
; %bb.10:                               ;   in Loop: Header=BB11_8 Depth=1
	s_barrier_signal -1
	s_barrier_wait -1
	ds_load_b32 v0, v0
.LBB11_11:                              ;   in Loop: Header=BB11_8 Depth=1
	s_wait_dscnt 0x0
	v_lshrrev_b32_e32 v0, 11, v0
	s_mov_b32 s58, exec_lo
	s_delay_alu instid0(VALU_DEP_1) | instskip(NEXT) | instid1(VALU_DEP_1)
	v_and_b32_e32 v1, 0x1fe0, v0
	v_cmpx_lt_u32_e64 v41, v1
	s_cbranch_execz .LBB11_7
; %bb.12:                               ;   in Loop: Header=BB11_8 Depth=1
	s_mov_b64 s[0:1], src_shared_base
	v_dual_mov_b32 v31, v40 :: v_dual_mov_b32 v0, v41
	v_mov_b32_e32 v3, s1
	s_mov_b64 s[8:9], s[44:45]
	s_mov_b32 s12, s46
	s_swap_pc_i64 s[30:31], s[56:57]
	s_branch .LBB11_7
.LBB11_13:
	s_clause 0x2
	scratch_load_b32 v88, off, s33
	scratch_load_b32 v41, off, s33 offset:4
	scratch_load_b32 v40, off, s33 offset:8
	v_readlane_b32 s30, v42, 0
	v_readlane_b32 s31, v42, 1
	s_mov_b32 s32, s33
	s_wait_xcnt 0x0
	s_or_saveexec_b32 s0, -1
	scratch_load_b32 v42, off, s33 offset:12 ; 4-byte Folded Reload
	s_wait_xcnt 0x0
	s_mov_b32 exec_lo, s0
	s_mov_b32 s33, s59
	s_wait_loadcnt 0x0
	s_set_pc_i64 s[30:31]
.Lfunc_end11:
	.size	_Z48ncclDevFunc_Reduce_RING_SIMPLE_MinMax_bf16_0_0_4v, .Lfunc_end11-_Z48ncclDevFunc_Reduce_RING_SIMPLE_MinMax_bf16_0_0_4v
                                        ; -- End function
	.set .L_Z48ncclDevFunc_Reduce_RING_SIMPLE_MinMax_bf16_0_0_4v.num_vgpr, max(89, .L_ZN12_GLOBAL__N_17runRingI12hip_bfloat1610FuncMinMaxIS1_E11ProtoSimpleILi1ELi1ELi0ELi4ELi0ELi0EELi0ELi4ELi0EEEviiP15ncclDevWorkColl.num_vgpr)
	.set .L_Z48ncclDevFunc_Reduce_RING_SIMPLE_MinMax_bf16_0_0_4v.num_agpr, max(0, .L_ZN12_GLOBAL__N_17runRingI12hip_bfloat1610FuncMinMaxIS1_E11ProtoSimpleILi1ELi1ELi0ELi4ELi0ELi0EELi0ELi4ELi0EEEviiP15ncclDevWorkColl.num_agpr)
	.set .L_Z48ncclDevFunc_Reduce_RING_SIMPLE_MinMax_bf16_0_0_4v.numbered_sgpr, max(60, .L_ZN12_GLOBAL__N_17runRingI12hip_bfloat1610FuncMinMaxIS1_E11ProtoSimpleILi1ELi1ELi0ELi4ELi0ELi0EELi0ELi4ELi0EEEviiP15ncclDevWorkColl.numbered_sgpr)
	.set .L_Z48ncclDevFunc_Reduce_RING_SIMPLE_MinMax_bf16_0_0_4v.num_named_barrier, max(0, .L_ZN12_GLOBAL__N_17runRingI12hip_bfloat1610FuncMinMaxIS1_E11ProtoSimpleILi1ELi1ELi0ELi4ELi0ELi0EELi0ELi4ELi0EEEviiP15ncclDevWorkColl.num_named_barrier)
	.set .L_Z48ncclDevFunc_Reduce_RING_SIMPLE_MinMax_bf16_0_0_4v.private_seg_size, 32+max(.L_ZN12_GLOBAL__N_17runRingI12hip_bfloat1610FuncMinMaxIS1_E11ProtoSimpleILi1ELi1ELi0ELi4ELi0ELi0EELi0ELi4ELi0EEEviiP15ncclDevWorkColl.private_seg_size)
	.set .L_Z48ncclDevFunc_Reduce_RING_SIMPLE_MinMax_bf16_0_0_4v.uses_vcc, or(1, .L_ZN12_GLOBAL__N_17runRingI12hip_bfloat1610FuncMinMaxIS1_E11ProtoSimpleILi1ELi1ELi0ELi4ELi0ELi0EELi0ELi4ELi0EEEviiP15ncclDevWorkColl.uses_vcc)
	.set .L_Z48ncclDevFunc_Reduce_RING_SIMPLE_MinMax_bf16_0_0_4v.uses_flat_scratch, or(1, .L_ZN12_GLOBAL__N_17runRingI12hip_bfloat1610FuncMinMaxIS1_E11ProtoSimpleILi1ELi1ELi0ELi4ELi0ELi0EELi0ELi4ELi0EEEviiP15ncclDevWorkColl.uses_flat_scratch)
	.set .L_Z48ncclDevFunc_Reduce_RING_SIMPLE_MinMax_bf16_0_0_4v.has_dyn_sized_stack, or(0, .L_ZN12_GLOBAL__N_17runRingI12hip_bfloat1610FuncMinMaxIS1_E11ProtoSimpleILi1ELi1ELi0ELi4ELi0ELi0EELi0ELi4ELi0EEEviiP15ncclDevWorkColl.has_dyn_sized_stack)
	.set .L_Z48ncclDevFunc_Reduce_RING_SIMPLE_MinMax_bf16_0_0_4v.has_recursion, or(1, .L_ZN12_GLOBAL__N_17runRingI12hip_bfloat1610FuncMinMaxIS1_E11ProtoSimpleILi1ELi1ELi0ELi4ELi0ELi0EELi0ELi4ELi0EEEviiP15ncclDevWorkColl.has_recursion)
	.set .L_Z48ncclDevFunc_Reduce_RING_SIMPLE_MinMax_bf16_0_0_4v.has_indirect_call, or(0, .L_ZN12_GLOBAL__N_17runRingI12hip_bfloat1610FuncMinMaxIS1_E11ProtoSimpleILi1ELi1ELi0ELi4ELi0ELi0EELi0ELi4ELi0EEEviiP15ncclDevWorkColl.has_indirect_call)
	.section	.AMDGPU.csdata,"",@progbits
; Function info:
; codeLenInByte = 756
; TotalNumSgprs: 62
; NumVgprs: 120
; ScratchSize: 208
; MemoryBound: 0
	.text
	.p2align	2                               ; -- Begin function _ZN12_GLOBAL__N_17runRingI12hip_bfloat1610FuncMinMaxIS1_E11ProtoSimpleILi1ELi1ELi0ELi4ELi0ELi0EELi0ELi4ELi1EEEviiP15ncclDevWorkColl
	.type	_ZN12_GLOBAL__N_17runRingI12hip_bfloat1610FuncMinMaxIS1_E11ProtoSimpleILi1ELi1ELi0ELi4ELi0ELi0EELi0ELi4ELi1EEEviiP15ncclDevWorkColl,@function
_ZN12_GLOBAL__N_17runRingI12hip_bfloat1610FuncMinMaxIS1_E11ProtoSimpleILi1ELi1ELi0ELi4ELi0ELi0EELi0ELi4ELi1EEEviiP15ncclDevWorkColl: ; @_ZN12_GLOBAL__N_17runRingI12hip_bfloat1610FuncMinMaxIS1_E11ProtoSimpleILi1ELi1ELi0ELi4ELi0ELi0EELi0ELi4ELi1EEEviiP15ncclDevWorkColl
; %bb.0:
	s_wait_loadcnt_dscnt 0x0
	s_wait_kmcnt 0x0
	s_mov_b32 s56, s33
	s_mov_b32 s33, s32
	s_or_saveexec_b32 s0, -1
	scratch_store_b32 off, v127, s33 offset:352 ; 4-byte Folded Spill
	s_wait_xcnt 0x0
	s_mov_b32 exec_lo, s0
	s_addk_co_i32 s32, 0x170
	s_clause 0x2e
	scratch_store_b32 off, v40, s33 offset:184
	; meta instruction
	scratch_store_b32 off, v41, s33 offset:180
	; meta instruction
	;; [unrolled: 2-line block ×46, first 2 shown]
	scratch_store_b32 off, v126, s33
	v_writelane_b32 v127, s30, 0
	v_writelane_b32 v127, s31, 1
	s_trap 2
	ds_load_b64 v[14:15], v0
	flat_load_b64 v[6:7], v[2:3]
	s_wait_xcnt 0x3
	v_dual_mov_b32 v23, v1 :: v_dual_mov_b32 v124, v0
	ds_load_b32 v1, v0
                                        ; implicit-def: $vgpr18_vgpr19
                                        ; implicit-def: $vgpr4_vgpr5
                                        ; implicit-def: $vgpr8_vgpr9
                                        ; kill: killed $vgpr8_vgpr9
	s_wait_dscnt 0x2
	v_readfirstlane_b32 s0, v14
	v_readfirstlane_b32 s1, v15
	flat_load_u16 v17, v[2:3] offset:8
	flat_load_b32 v22, v15, s[0:1] offset:-4 scale_offset
	s_wait_xcnt 0x0
	s_mov_b32 s0, exec_lo
	s_wait_loadcnt_dscnt 0x203
	v_and_b32_e32 v0, 0xff, v6
	v_mov_b32_e32 v16, v7
	s_wait_dscnt 0x2
	s_delay_alu instid0(VALU_DEP_2)
	v_cmpx_ne_u32_e64 v1, v0
	s_xor_b32 s0, exec_lo, s0
	s_cbranch_execz .LBB12_6
; %bb.1:
	v_bfe_u32 v8, v6, 8, 8
	v_not_b32_e32 v0, v0
	s_mov_b32 s1, exec_lo
                                        ; implicit-def: $vgpr18_vgpr19
                                        ; implicit-def: $vgpr4_vgpr5
                                        ; implicit-def: $vgpr6_vgpr7
                                        ; kill: killed $vgpr6_vgpr7
	s_delay_alu instid0(VALU_DEP_2)
	v_cmpx_ne_u32_e64 v1, v8
	s_xor_b32 s1, exec_lo, s1
	s_cbranch_execz .LBB12_3
; %bb.2:
	s_clause 0x1
	flat_load_b128 v[4:7], v[2:3] offset:72
	flat_load_b64 v[8:9], v[2:3] offset:96
	v_add_nc_u32_e32 v0, v1, v0
	s_wait_loadcnt_dscnt 0x101
	s_delay_alu instid0(VALU_DEP_1) | instskip(SKIP_2) | instid1(VALU_DEP_2)
	v_mad_nc_u64_u32 v[4:5], v6, v0, v[4:5]
	s_wait_loadcnt_dscnt 0x0
	v_lshrrev_b64 v[18:19], 13, v[8:9]
                                        ; implicit-def: $vgpr8
	v_mad_u32 v1, v7, v0, v5
	v_ashrrev_i32_e32 v0, 31, v0
	s_delay_alu instid0(VALU_DEP_1)
	v_mad_u32 v5, v6, v0, v1
                                        ; implicit-def: $vgpr0
	scratch_store_b64 off, v[4:5], s33 offset:264 ; 8-byte Folded Spill
	s_wait_xcnt 0x0
	v_mov_b64_e32 v[4:5], v[6:7]
.LBB12_3:
	s_and_not1_saveexec_b32 s1, s1
	s_cbranch_execz .LBB12_5
; %bb.4:
	s_clause 0x1
	flat_load_b128 v[10:13], v[2:3] offset:72
	flat_load_b128 v[4:7], v[2:3] offset:88
	s_wait_loadcnt_dscnt 0x0
	v_dual_add_nc_u32 v0, v8, v0 :: v_dual_lshrrev_b32 v18, 2, v7
	s_delay_alu instid0(VALU_DEP_1) | instskip(NEXT) | instid1(VALU_DEP_1)
	v_mad_nc_u64_u32 v[8:9], v12, v0, v[10:11]
	v_mad_u32 v1, v13, v0, v9
	v_ashrrev_i32_e32 v0, 31, v0
	s_delay_alu instid0(VALU_DEP_1)
	v_mad_u32 v9, v12, v0, v1
	scratch_store_b64 off, v[8:9], s33 offset:264 ; 8-byte Folded Spill
.LBB12_5:
	s_wait_xcnt 0x0
	s_or_b32 exec_lo, exec_lo, s1
.LBB12_6:
	s_and_not1_saveexec_b32 s0, s0
	s_cbranch_execz .LBB12_8
; %bb.7:
	s_clause 0x1
	flat_load_b64 v[0:1], v[2:3] offset:96
	flat_load_b64 v[4:5], v[2:3] offset:72
	s_wait_loadcnt_dscnt 0x101
	v_lshlrev_b64_e32 v[18:19], 8, v[0:1]
	v_mov_b64_e32 v[0:1], 0
	scratch_store_b64 off, v[0:1], s33 offset:264 ; 8-byte Folded Spill
.LBB12_8:
	s_wait_xcnt 0x0
	s_or_b32 exec_lo, exec_lo, s0
	s_trap 2
	ds_load_b64 v[0:1], v0
	s_mov_b32 s1, 0
	s_mov_b32 s2, exec_lo
	s_wait_dscnt 0x0
	v_cmp_ne_u32_e32 vcc_lo, -1, v0
	v_cndmask_b32_e64 v15, 0, 1, vcc_lo
	v_cmp_ne_u32_e32 vcc_lo, -1, v1
	s_delay_alu instid0(VALU_DEP_2) | instskip(NEXT) | instid1(VALU_DEP_1)
	v_add_co_ci_u32_e64 v1, null, 0, v15, vcc_lo
	v_lshlrev_b32_e32 v0, 1, v1
	s_delay_alu instid0(VALU_DEP_1)
	v_cmpx_le_u32_e64 v0, v23
	s_xor_b32 s16, exec_lo, s2
	s_cbranch_execz .LBB12_2074
; %bb.9:
	s_clause 0x1
	flat_load_b128 v[10:13], v[2:3] offset:16
	flat_load_b64 v[20:21], v[2:3] offset:104
	s_trap 2
	s_load_b32 s0, s[8:9], 0x0
	s_bfe_u32 s2, ttmp6, 0x4000c
	s_and_b32 s3, ttmp6, 15
	s_add_co_i32 s2, s2, 1
	s_getreg_b32 s4, hwreg(HW_REG_IB_STS2, 6, 4)
	s_mul_i32 s2, ttmp9, s2
	v_dual_mov_b32 v0, 0 :: v_dual_mov_b32 v126, 4
	s_add_co_i32 s3, s3, s2
	s_cmp_eq_u32 s4, 0
	s_cselect_b32 s2, ttmp9, s3
	s_wait_kmcnt 0x0
	s_cmp_lt_u32 s2, s0
	s_mov_b32 s2, exec_lo
	s_cselect_b32 s0, 12, 18
	s_delay_alu instid0(SALU_CYCLE_1)
	s_add_nc_u64 s[0:1], s[8:9], s[0:1]
	global_load_u16 v0, v0, s[0:1]
	s_wait_loadcnt 0x0
	ds_load_b32 v2, v0
	s_wait_dscnt 0x0
	s_wait_xcnt 0x0
	v_readfirstlane_b32 s1, v2
	v_cmpx_ge_u32_e64 v124, v15
	s_cbranch_execz .LBB12_19
; %bb.10:
	v_cmp_ge_u32_e64 s0, v124, v1
                                        ; implicit-def: $vgpr126
	s_and_saveexec_b32 s3, s0
	s_delay_alu instid0(SALU_CYCLE_1)
	s_xor_b32 s0, exec_lo, s3
	s_cbranch_execz .LBB12_16
; %bb.11:
	v_cndmask_b32_e64 v2, 0, 1, vcc_lo
	s_mov_b32 s3, exec_lo
	s_delay_alu instid0(VALU_DEP_1) | instskip(NEXT) | instid1(VALU_DEP_1)
	v_sub_nc_u32_e32 v2, v23, v2
	v_cmpx_ge_u32_e64 v124, v2
	s_xor_b32 s3, exec_lo, s3
; %bb.12:
                                        ; implicit-def: $vgpr1
; %bb.13:
	s_delay_alu instid0(SALU_CYCLE_1)
	s_or_saveexec_b32 s3, s3
	v_mov_b32_e32 v126, 16
	s_xor_b32 exec_lo, exec_lo, s3
; %bb.14:
	v_sub_nc_u32_e32 v1, v23, v1
	s_delay_alu instid0(VALU_DEP_1)
	v_cmp_lt_i32_e32 vcc_lo, v124, v1
	v_cndmask_b32_e64 v126, 32, 0, vcc_lo
; %bb.15:
	s_or_b32 exec_lo, exec_lo, s3
.LBB12_16:
	s_and_not1_saveexec_b32 s0, s0
; %bb.17:
	v_mov_b32_e32 v126, 8
; %bb.18:
	s_or_b32 exec_lo, exec_lo, s0
.LBB12_19:
	s_delay_alu instid0(SALU_CYCLE_1) | instskip(NEXT) | instid1(VALU_DEP_1)
	s_or_b32 exec_lo, exec_lo, s2
	v_and_b32_e32 v1, 36, v126
	s_delay_alu instid0(VALU_DEP_1)
	v_cmp_ne_u32_e32 vcc_lo, 0, v1
	v_mov_b32_e32 v1, -1
	s_and_saveexec_b32 s0, vcc_lo
	s_cbranch_execz .LBB12_21
; %bb.20:
	s_trap 2
	ds_load_b32 v1, v0
.LBB12_21:
	s_or_b32 exec_lo, exec_lo, s0
	v_and_b32_e32 v2, 24, v126
	s_mov_b32 s2, exec_lo
	s_delay_alu instid0(VALU_DEP_1)
	v_cmpx_ne_u32_e32 0, v2
	s_cbranch_execz .LBB12_23
; %bb.22:
	s_trap 2
	s_wait_dscnt 0x0
	ds_load_b32 v1, v0
.LBB12_23:
	s_or_b32 exec_lo, exec_lo, s2
	v_lshrrev_b64 v[2:3], 31, v[16:17]
	v_mov_b64_e32 v[24:25], 0
	v_mov_b64_e32 v[6:7], 0
                                        ; implicit-def: $vgpr46_vgpr47
                                        ; implicit-def: $vgpr32_vgpr33
                                        ; implicit-def: $vgpr40_vgpr41
	s_delay_alu instid0(VALU_DEP_3)
	v_and_b32_e32 v17, 3, v2
                                        ; implicit-def: $vgpr2_vgpr3
                                        ; kill: killed $vgpr2_vgpr3
                                        ; implicit-def: $vgpr2
	scratch_store_b64 off, v[2:3], s33 offset:256 ; 8-byte Folded Spill
	s_wait_xcnt 0x0
	s_and_saveexec_b32 s0, vcc_lo
	s_cbranch_execz .LBB12_33
; %bb.24:
	s_trap 2
	ds_load_b64 v[2:3], v0
	v_and_b32_e32 v6, 0xffff, v17
	s_wait_dscnt 0x0
	v_readfirstlane_b32 s2, v2
	v_readfirstlane_b32 s3, v3
	flat_load_b64 v[2:3], v1, s[2:3] scale_offset
	s_wait_loadcnt_dscnt 0x0
	v_mad_nc_u64_u32 v[2:3], 0xa8, v6, v[2:3]
	flat_load_b32 v6, v[2:3] offset:640
	s_wait_loadcnt_dscnt 0x0
	v_cmp_eq_u32_e32 vcc_lo, 1, v6
                                        ; implicit-def: $vgpr6_vgpr7
                                        ; kill: killed $vgpr6_vgpr7
	s_wait_xcnt 0x0
	s_and_saveexec_b32 s2, vcc_lo
	s_cbranch_execz .LBB12_26
; %bb.25:
	flat_load_b64 v[8:9], v[2:3] offset:648
	v_or_b32_e32 v126, 0x2000, v126
	s_wait_loadcnt_dscnt 0x0
	flat_load_b64 v[6:7], v[8:9]
	s_trap 2
	scratch_store_b64 off, v[8:9], s33 offset:320 ; 8-byte Folded Spill
	s_wait_loadcnt_dscnt 0x0
	ds_store_b64 v0, v[6:7]
	flat_load_b64 v[6:7], v[8:9] offset:8
	s_wait_loadcnt_dscnt 0x0
	ds_store_b64 v0, v[6:7]
	flat_load_b64 v[6:7], v[8:9] offset:16
	s_wait_loadcnt_dscnt 0x0
	ds_store_b64 v0, v[6:7]
.LBB12_26:
	s_wait_xcnt 0x0
	s_or_b32 exec_lo, exec_lo, s2
	flat_load_b64 v[8:9], v[2:3] offset:608
	v_and_b32_e32 v6, 32, v126
	s_mov_b32 s2, exec_lo
                                        ; implicit-def: $vgpr40_vgpr41
	s_wait_xcnt 0x0
	s_delay_alu instid0(VALU_DEP_1)
	v_cmpx_ne_u32_e32 0, v6
	s_cbranch_execz .LBB12_28
; %bb.27:
	flat_load_b64 v[40:41], v[2:3] offset:560
	global_wb scope:SCOPE_SYS
	s_wait_storecnt 0x0
	s_wait_xcnt 0x0
	s_wait_loadcnt_dscnt 0x0
	flat_store_b64 v[40:41], v[8:9] scope:SCOPE_SYS
.LBB12_28:
	s_wait_xcnt 0x0
	s_or_b32 exec_lo, exec_lo, s2
	v_add_nc_u64_e32 v[24:25], 0x1f8, v[2:3]
	v_mov_b64_e32 v[6:7], 0
	v_and_b32_e32 v19, 4, v126
	s_mov_b32 s2, exec_lo
                                        ; implicit-def: $vgpr26
	scratch_store_b64 off, v[26:27], s33 offset:256 ; 8-byte Folded Spill
                                        ; implicit-def: $vgpr46_vgpr47
                                        ; implicit-def: $vgpr32_vgpr33
	s_wait_xcnt 0x0
	v_cmpx_ne_u32_e32 0, v19
	s_cbranch_execz .LBB12_32
; %bb.29:
	v_and_b32_e32 v6, 0x800, v126
	s_mov_b32 s3, exec_lo
	s_delay_alu instid0(VALU_DEP_1)
	v_cmpx_eq_u32_e32 0, v6
	s_cbranch_execz .LBB12_31
; %bb.30:
	s_trap 2
	ds_store_b64 v0, v[24:25]
.LBB12_31:
	s_or_b32 exec_lo, exec_lo, s3
	flat_load_b64 v[40:41], v[2:3] offset:552
	s_wait_loadcnt_dscnt 0x0
	flat_load_b64 v[46:47], v[40:41] scope:SCOPE_SYS
	s_clause 0x2
	flat_load_b32 v19, v[2:3] offset:576
	flat_load_b64 v[6:7], v[2:3] offset:600
	flat_load_b64 v[32:33], v[2:3] offset:520
	s_wait_xcnt 0x0
	v_or_b32_e32 v2, 0x100, v126
	s_wait_loadcnt_dscnt 0x101
	v_cmp_eq_u64_e32 vcc_lo, 0, v[6:7]
	s_delay_alu instid0(VALU_DEP_2)
	v_dual_ashrrev_i32 v26, 1, v19 :: v_dual_cndmask_b32 v126, v2, v126, vcc_lo
	scratch_store_b64 off, v[26:27], s33 offset:256 ; 8-byte Folded Spill
.LBB12_32:
	s_wait_xcnt 0x0
	s_or_b32 exec_lo, exec_lo, s2
.LBB12_33:
	s_delay_alu instid0(SALU_CYCLE_1) | instskip(SKIP_1) | instid1(VALU_DEP_1)
	s_or_b32 exec_lo, exec_lo, s0
	v_and_b32_e32 v2, 24, v126
	v_cmp_ne_u32_e32 vcc_lo, 0, v2
                                        ; implicit-def: $vgpr2_vgpr3
                                        ; kill: killed $vgpr2_vgpr3
	s_and_saveexec_b32 s0, vcc_lo
	s_cbranch_execz .LBB12_41
; %bb.34:
	s_trap 2
	ds_load_b64 v[2:3], v0
	s_wait_dscnt 0x0
	v_readfirstlane_b32 s2, v2
	v_readfirstlane_b32 s3, v3
	flat_load_b64 v[2:3], v1, s[2:3] scale_offset
	s_wait_xcnt 0x0
	v_and_b32_e32 v1, 0xffff, v17
	s_mov_b32 s2, exec_lo
	s_wait_loadcnt_dscnt 0x0
	s_delay_alu instid0(VALU_DEP_1)
	v_mad_nc_u64_u32 v[24:25], 0xa8, v1, v[2:3]
	v_or_b32_e32 v1, 0x100, v126
                                        ; implicit-def: $vgpr2_vgpr3
                                        ; kill: killed $vgpr2_vgpr3
	flat_load_b128 v[6:9], v[24:25] offset:96
	s_wait_loadcnt_dscnt 0x0
	v_cmp_eq_u64_e32 vcc_lo, 0, v[6:7]
	v_cndmask_b32_e32 v126, v1, v126, vcc_lo
	s_delay_alu instid0(VALU_DEP_1) | instskip(SKIP_1) | instid1(VALU_DEP_1)
	v_and_b32_e32 v1, 16, v126
	s_wait_xcnt 0x0
	v_cmpx_ne_u32_e32 0, v1
	s_cbranch_execz .LBB12_36
; %bb.35:
	s_clause 0x2
	flat_load_b64 v[40:41], v[24:25] offset:48
	flat_load_b64 v[2:3], v[24:25] offset:120
	;; [unrolled: 1-line block ×3, first 2 shown]
	s_wait_loadcnt_dscnt 0x101
	scratch_store_b64 off, v[2:3], s33 offset:272 ; 8-byte Folded Spill
.LBB12_36:
	s_wait_xcnt 0x0
	s_or_b32 exec_lo, exec_lo, s2
	v_and_b32_e32 v1, 8, v126
	s_mov_b32 s2, exec_lo
	s_delay_alu instid0(VALU_DEP_1)
	v_cmpx_ne_u32_e32 0, v1
	s_cbranch_execz .LBB12_40
; %bb.37:
	v_and_b32_e32 v1, 0x800, v126
	s_mov_b32 s3, exec_lo
	s_delay_alu instid0(VALU_DEP_1)
	v_cmpx_eq_u32_e32 0, v1
	s_cbranch_execz .LBB12_39
; %bb.38:
	s_trap 2
	ds_store_b64 v0, v[24:25]
.LBB12_39:
	s_or_b32 exec_lo, exec_lo, s3
	flat_load_b64 v[40:41], v[24:25] offset:56
	s_wait_loadcnt_dscnt 0x0
	flat_load_b64 v[46:47], v[40:41] scope:SCOPE_SYS
	s_clause 0x1
	flat_load_b32 v1, v[24:25] offset:72
	flat_load_b64 v[32:33], v[24:25] offset:16
	s_wait_loadcnt_dscnt 0x101
	v_ashrrev_i32_e32 v2, 1, v1
	scratch_store_b64 off, v[2:3], s33 offset:256 ; 8-byte Folded Spill
.LBB12_40:
	s_wait_xcnt 0x0
	s_or_b32 exec_lo, exec_lo, s2
.LBB12_41:
	s_delay_alu instid0(SALU_CYCLE_1)
	s_or_b32 exec_lo, exec_lo, s0
	v_cmp_eq_u32_e64 s0, 0, v124
	s_and_saveexec_b32 s2, s0
	s_cbranch_execz .LBB12_43
; %bb.42:
	v_dual_mov_b32 v2, v12 :: v_dual_mov_b32 v3, v13
	v_mov_b64_e32 v[12:13], 0
	ds_store_2addr_b64 v0, v[2:3], v[10:11] offset1:1
	s_trap 2
	ds_store_b64 v0, v[12:13]
	ds_store_b64 v0, v[20:21]
.LBB12_43:
	s_or_b32 exec_lo, exec_lo, s2
	s_ashr_i32 s2, s1, 31
	v_and_b32_e32 v58, 0x1fffff00, v18
	s_lshr_b32 s2, s2, 29
	s_wait_dscnt 0x0
	v_bfe_u32 v1, v16, 1, 30
	v_mov_b32_e32 v59, 0
	v_and_b32_e32 v10, 0xffff, v0
	s_add_co_i32 s1, s1, s2
                                        ; implicit-def: $vgpr56_vgpr57
	s_delay_alu instid0(SALU_CYCLE_1)
	s_ashr_i32 s17, s1, 4
	s_mov_b32 s1, exec_lo
	v_cmpx_ne_u32_e64 v22, v1
	s_xor_b32 s18, exec_lo, s1
	s_cbranch_execz .LBB12_1835
; %bb.44:
                                        ; implicit-def: $vgpr56_vgpr57
	s_mov_b32 s1, exec_lo
	v_cmpx_ne_u32_e64 v14, v1
	s_xor_b32 s19, exec_lo, s1
	s_cbranch_execz .LBB12_945
; %bb.45:
	v_mov_b64_e32 v[56:57], 0
	s_mov_b32 s20, exec_lo
	v_cmpx_ne_u64_e32 0, v[4:5]
	s_cbranch_execz .LBB12_944
; %bb.46:
	scratch_load_b64 v[0:1], off, s33 offset:256 ; 8-byte Folded Reload
	v_dual_mov_b32 v63, 0 :: v_dual_bitop2_b32 v117, 31, v124 bitop3:0x40
	v_dual_lshrrev_b32 v72, 5, v23 :: v_dual_lshrrev_b32 v44, 5, v124
	s_lshr_b32 s2, s17, 27
	s_delay_alu instid0(VALU_DEP_2) | instskip(SKIP_1) | instid1(VALU_DEP_2)
	v_mov_b32_e32 v73, v63
	s_add_co_i32 s2, s17, s2
	v_lshlrev_b32_e32 v45, 9, v72
	v_lshl_add_u32 v74, v72, 11, 0xfffff800
	v_lshl_add_u32 v78, v72, 10, 0xfffffc00
	v_cmp_eq_u32_e32 vcc_lo, 32, v23
	v_mov_b64_e32 v[106:107], 0
	v_mov_b64_e32 v[56:57], 0
	v_cmp_ge_u32_e64 s1, v124, v23
	s_ashr_i32 s21, s2, 5
	v_cmp_ne_u32_e64 s2, 32, v23
	v_cmp_ne_u32_e64 s3, v23, v10
	v_cmp_le_u32_e64 s5, v117, v15
	v_cmp_lt_u32_e64 s6, v117, v15
	v_dual_mov_b32 v91, 1 :: v_dual_mov_b32 v104, 0x90
	s_mov_b32 s22, 0
	s_add_co_i32 s23, s33, 0xf0
	s_add_co_i32 s24, s33, 0xd0
	s_xor_b32 s25, vcc_lo, -1
	s_clause 0x1
	scratch_store_b32 off, v10, s33 offset:300
	scratch_store_b32 off, v31, s33 offset:288
	s_wait_loadcnt 0x0
	v_ashrrev_i32_e32 v1, 31, v0
	s_clause 0x1
	scratch_store_b64 off, v[0:1], s33 offset:256
	scratch_store_b64 off, v[24:25], s33 offset:292
	s_wait_xcnt 0x1
	v_dual_lshlrev_b32 v1, 6, v72 :: v_dual_bitop2_b32 v0, 31, v31 bitop3:0x40
	v_add_nc_u32_e32 v76, 0xfffffe00, v45
	s_delay_alu instid0(VALU_DEP_2) | instskip(SKIP_1) | instid1(VALU_DEP_4)
	v_cmp_eq_u32_e64 s4, 0, v0
	v_lshlrev_b32_e32 v0, 4, v117
	v_subrev_nc_u32_e32 v88, 64, v1
	v_dual_mov_b32 v1, v63 :: v_dual_ashrrev_i32 v75, 31, v74
	v_ashrrev_i32_e32 v77, 31, v76
	s_delay_alu instid0(VALU_DEP_4)
	v_lshl_or_b32 v0, v44, 11, v0
	scratch_store_b32 off, v23, s33 offset:316 ; 4-byte Folded Spill
	v_dual_ashrrev_i32 v79, 31, v78 :: v_dual_ashrrev_i32 v89, 31, v88
	v_add_nc_u64_e32 v[92:93], 0x800, v[74:75]
	s_clause 0x1
	scratch_store_b64 off, v[0:1], s33 offset:304
	scratch_load_b64 v[0:1], off, s33 offset:272
	v_add_nc_u64_e32 v[94:95], 0x400, v[78:79]
	s_trap 2
	s_clause 0x3
	scratch_store_b32 off, v124, s33 offset:312
	scratch_store_b64 off, v[32:33], s33 offset:280
	scratch_store_b32 off, v117, s33 offset:340
	scratch_store_b32 off, v44, s33 offset:348
	s_wait_loadcnt 0x0
	v_cmp_eq_u64_e64 s7, 0, v[0:1]
	s_branch .LBB12_49
.LBB12_47:                              ;   in Loop: Header=BB12_49 Depth=1
	s_wait_xcnt 0x0
	s_or_b32 exec_lo, exec_lo, s10
.LBB12_48:                              ;   in Loop: Header=BB12_49 Depth=1
	s_delay_alu instid0(SALU_CYCLE_1) | instskip(SKIP_1) | instid1(VALU_DEP_1)
	s_or_b32 exec_lo, exec_lo, s11
	v_add_nc_u64_e32 v[106:107], v[106:107], v[58:59]
	v_cmp_ge_u64_e32 vcc_lo, v[106:107], v[4:5]
	s_or_b32 s22, vcc_lo, s22
	s_delay_alu instid0(SALU_CYCLE_1)
	s_and_not1_b32 exec_lo, exec_lo, s22
	s_cbranch_execz .LBB12_943
.LBB12_49:                              ; =>This Loop Header: Depth=1
                                        ;     Child Loop BB12_58 Depth 2
                                        ;     Child Loop BB12_86 Depth 2
	;; [unrolled: 1-line block ×5, first 2 shown]
                                        ;       Child Loop BB12_527 Depth 3
                                        ;       Child Loop BB12_564 Depth 3
                                        ;     Child Loop BB12_641 Depth 2
                                        ;     Child Loop BB12_844 Depth 2
                                        ;       Child Loop BB12_845 Depth 3
                                        ;       Child Loop BB12_854 Depth 3
                                        ;     Child Loop BB12_873 Depth 2
                                        ;     Child Loop BB12_898 Depth 2
	;; [unrolled: 1-line block ×3, first 2 shown]
	v_sub_nc_u64_e32 v[0:1], v[4:5], v[106:107]
	s_delay_alu instid0(VALU_DEP_1) | instskip(NEXT) | instid1(VALU_DEP_1)
	v_min_u64 v[108:109], v[58:59], v[0:1]
	v_add_nc_u32_e32 v0, 15, v108
	s_delay_alu instid0(VALU_DEP_2) | instskip(NEXT) | instid1(VALU_DEP_2)
	v_cmp_eq_u64_e32 vcc_lo, 0, v[108:109]
	v_and_b32_e32 v0, 0x3ffffff0, v0
	s_or_b32 s26, s1, vcc_lo
	s_delay_alu instid0(SALU_CYCLE_1) | instskip(NEXT) | instid1(VALU_DEP_1)
	s_xor_b32 s10, s26, -1
	v_dual_mov_b32 v0, 0 :: v_dual_max_i32 v109, s21, v0
	s_wait_xcnt 0x0
	s_and_saveexec_b32 s27, s10
	s_cbranch_execz .LBB12_891
; %bb.50:                               ;   in Loop: Header=BB12_49 Depth=1
	s_and_saveexec_b32 s10, s0
	s_cbranch_execz .LBB12_52
; %bb.51:                               ;   in Loop: Header=BB12_49 Depth=1
	s_trap 2
	scratch_load_b64 v[2:3], off, s33 offset:264 ; 8-byte Folded Reload
	ds_load_b64 v[0:1], v0
	s_wait_loadcnt_dscnt 0x0
	v_lshl_add_u64 v[0:1], v[2:3], 1, v[0:1]
	v_mov_b64_e32 v[2:3], 0
	s_delay_alu instid0(VALU_DEP_2)
	v_lshl_add_u64 v[0:1], v[106:107], 1, v[0:1]
	ds_store_b64 v0, v[0:1]
	ds_store_b64 v0, v[2:3]
.LBB12_52:                              ;   in Loop: Header=BB12_49 Depth=1
	s_wait_xcnt 0x0
	s_or_b32 exec_lo, exec_lo, s10
	v_and_b32_e32 v0, 12, v126
	v_min_u32_e32 v109, v109, v108
	s_mov_b32 s11, exec_lo
	s_delay_alu instid0(VALU_DEP_2)
	v_cmpx_ne_u32_e32 0, v0
	s_cbranch_execz .LBB12_78
; %bb.53:                               ;   in Loop: Header=BB12_49 Depth=1
	v_and_b32_e32 v62, 8, v126
	v_add_nc_u64_e32 v[2:3], 1, v[8:9]
	s_mov_b32 s12, exec_lo
	s_wait_loadcnt 0x0
	s_delay_alu instid0(VALU_DEP_2) | instskip(NEXT) | instid1(VALU_DEP_1)
	v_add_nc_u64_e32 v[0:1], v[46:47], v[62:63]
	v_cmpx_lt_u64_e64 v[0:1], v[2:3]
	s_cbranch_execz .LBB12_65
; %bb.54:                               ;   in Loop: Header=BB12_49 Depth=1
	v_and_b32_e32 v0, 64, v126
	s_mov_b32 s13, 0
	s_mov_b32 s29, 0
                                        ; implicit-def: $sgpr14
                                        ; implicit-def: $sgpr15
                                        ; implicit-def: $sgpr28
	s_delay_alu instid0(VALU_DEP_1)
	v_cmp_eq_u32_e32 vcc_lo, 0, v0
	s_branch .LBB12_58
.LBB12_55:                              ;   in Loop: Header=BB12_58 Depth=2
	s_wait_loadcnt_dscnt 0x0
	v_add_nc_u64_e32 v[10:11], v[46:47], v[62:63]
	s_or_b32 s42, s42, exec_lo
	s_delay_alu instid0(VALU_DEP_1)
	v_cmp_ge_u64_e64 s10, v[10:11], v[2:3]
	s_or_not1_b32 s41, s10, exec_lo
.LBB12_56:                              ;   in Loop: Header=BB12_58 Depth=2
	s_or_b32 exec_lo, exec_lo, s44
	s_delay_alu instid0(SALU_CYCLE_1)
	s_and_not1_b32 s10, s28, exec_lo
	s_and_b32 s28, s42, exec_lo
	s_and_not1_b32 s15, s15, exec_lo
	s_and_b32 s41, s41, exec_lo
	s_or_b32 s28, s10, s28
	s_or_b32 s15, s15, s41
.LBB12_57:                              ;   in Loop: Header=BB12_58 Depth=2
	s_or_b32 exec_lo, exec_lo, s40
	s_delay_alu instid0(SALU_CYCLE_1) | instskip(NEXT) | instid1(SALU_CYCLE_1)
	s_and_b32 s10, exec_lo, s15
	s_or_b32 s13, s10, s13
	s_and_not1_b32 s10, s14, exec_lo
	s_and_b32 s14, s28, exec_lo
	s_delay_alu instid0(SALU_CYCLE_1)
	s_or_b32 s14, s10, s14
	s_and_not1_b32 exec_lo, exec_lo, s13
	s_cbranch_execz .LBB12_62
.LBB12_58:                              ;   Parent Loop BB12_49 Depth=1
                                        ; =>  This Inner Loop Header: Depth=2
	s_sleep 1
	s_wait_loadcnt_dscnt 0x0
	flat_load_b64 v[46:47], v[40:41] scope:SCOPE_SYS
	s_or_b32 s28, s28, exec_lo
	s_or_b32 s15, s15, exec_lo
                                        ; implicit-def: $vgpr0
	s_wait_xcnt 0x0
	s_and_saveexec_b32 s40, vcc_lo
	s_cbranch_execz .LBB12_57
; %bb.59:                               ;   in Loop: Header=BB12_58 Depth=2
	s_cmp_lt_i32 s29, 0x270f
	s_mov_b32 s41, -1
	s_cselect_b32 s43, -1, 0
	s_cmp_gt_i32 s29, 0x270e
	s_cbranch_scc0 .LBB12_61
; %bb.60:                               ;   in Loop: Header=BB12_58 Depth=2
	s_trap 2
	ds_load_b64 v[0:1], v0
	s_and_not1_b32 s29, s43, exec_lo
	s_mov_b32 s42, 0
	s_wait_storecnt 0x0
	s_wait_loadcnt_dscnt 0x0
	flat_load_b32 v0, v[0:1] scope:SCOPE_SYS
	s_wait_loadcnt_dscnt 0x0
	global_inv scope:SCOPE_SYS
	v_cmp_eq_u32_e64 s10, 0, v0
	s_and_b32 s10, s10, exec_lo
	s_delay_alu instid0(SALU_CYCLE_1)
	s_or_b32 s43, s29, s10
	s_mov_b32 s29, 0
	s_wait_xcnt 0x0
	s_and_saveexec_b32 s44, s43
	s_cbranch_execz .LBB12_56
	s_branch .LBB12_55
.LBB12_61:                              ;   in Loop: Header=BB12_58 Depth=2
	s_add_co_i32 s29, s29, 1
	s_mov_b32 s42, -1
                                        ; implicit-def: $vgpr0
	s_and_saveexec_b32 s44, s43
	s_cbranch_execz .LBB12_56
	s_branch .LBB12_55
.LBB12_62:                              ;   in Loop: Header=BB12_49 Depth=1
	s_or_b32 exec_lo, exec_lo, s13
	s_xor_b32 s10, s14, -1
	s_delay_alu instid0(SALU_CYCLE_1) | instskip(NEXT) | instid1(SALU_CYCLE_1)
	s_and_saveexec_b32 s13, s10
	s_xor_b32 s10, exec_lo, s13
	s_cbranch_execz .LBB12_64
; %bb.63:                               ;   in Loop: Header=BB12_49 Depth=1
	v_or_b32_e32 v126, 64, v126
	s_wait_storecnt 0x0
	s_wait_loadcnt_dscnt 0x0
	ds_store_b32 v0, v0
	s_trap 2
.LBB12_64:                              ;   in Loop: Header=BB12_49 Depth=1
	s_or_b32 exec_lo, exec_lo, s10
.LBB12_65:                              ;   in Loop: Header=BB12_49 Depth=1
	s_delay_alu instid0(SALU_CYCLE_1) | instskip(SKIP_3) | instid1(VALU_DEP_1)
	s_or_b32 exec_lo, exec_lo, s12
	v_and_b32_e32 v0, 0x108, v126
	s_mov_b32 s10, exec_lo
	;;#ASMSTART
	s_wakeup
	;;#ASMEND
                                        ; implicit-def: $vgpr10_vgpr11
	v_cmpx_ne_u32_e32 0x108, v0
	s_xor_b32 s10, exec_lo, s10
; %bb.66:                               ;   in Loop: Header=BB12_49 Depth=1
	v_dual_mov_b32 v11, v63 :: v_dual_bitop2_b32 v10, 7, v8 bitop3:0x40
; %bb.67:                               ;   in Loop: Header=BB12_49 Depth=1
	s_and_not1_saveexec_b32 s10, s10
	s_cbranch_execz .LBB12_69
; %bb.68:                               ;   in Loop: Header=BB12_49 Depth=1
	v_dual_lshlrev_b32 v8, 1, v109 :: v_dual_bitop2_b32 v10, 7, v8 bitop3:0x40
	v_dual_mov_b32 v9, v63 :: v_dual_mov_b32 v11, v63
	s_delay_alu instid0(VALU_DEP_2)
	v_mad_nc_u64_u32 v[0:1], v10, 24, v[6:7]
	flat_store_b64 v[0:1], v[8:9] offset:8
.LBB12_69:                              ;   in Loop: Header=BB12_49 Depth=1
	s_wait_xcnt 0x0
	s_or_b32 exec_lo, exec_lo, s10
	v_and_b32_e32 v0, 0x100, v126
	s_mov_b32 s10, -1
	s_mov_b32 s12, exec_lo
                                        ; implicit-def: $vgpr8_vgpr9
	s_delay_alu instid0(VALU_DEP_1)
	v_cmpx_ne_u32_e32 0, v0
	s_cbranch_execz .LBB12_73
; %bb.70:                               ;   in Loop: Header=BB12_49 Depth=1
	v_mad_nc_u64_u32 v[12:13], v10, 24, v[6:7]
	s_mov_b32 s13, exec_lo
                                        ; implicit-def: $vgpr8_vgpr9
	s_delay_alu instid0(VALU_DEP_1)
	v_mad_u32 v13, v11, 24, v13
	flat_load_b32 v0, v[12:13]
	s_wait_loadcnt_dscnt 0x0
	v_cmp_ne_u32_e32 vcc_lo, 1, v0
	s_wait_xcnt 0x0
	v_cmpx_eq_u32_e32 1, v0
	s_cbranch_execz .LBB12_72
; %bb.71:                               ;   in Loop: Header=BB12_49 Depth=1
	flat_load_b32 v0, v[12:13] offset:4 scope:SCOPE_SYS
	s_wait_loadcnt_dscnt 0x0
	v_ashrrev_i32_e32 v1, 31, v0
	s_delay_alu instid0(VALU_DEP_1)
	v_lshrrev_b64 v[8:9], 1, v[0:1]
.LBB12_72:                              ;   in Loop: Header=BB12_49 Depth=1
	s_wait_xcnt 0x0
	s_or_b32 exec_lo, exec_lo, s13
	s_delay_alu instid0(SALU_CYCLE_1)
	s_or_not1_b32 s10, vcc_lo, exec_lo
.LBB12_73:                              ;   in Loop: Header=BB12_49 Depth=1
	s_or_b32 exec_lo, exec_lo, s12
	s_and_saveexec_b32 s12, s10
	s_cbranch_execz .LBB12_75
; %bb.74:                               ;   in Loop: Header=BB12_49 Depth=1
	scratch_load_b64 v[0:1], off, s33 offset:256 ; 8-byte Folded Reload
	s_wait_loadcnt 0x0
	v_mul_u64_e32 v[8:9], v[10:11], v[0:1]
.LBB12_75:                              ;   in Loop: Header=BB12_49 Depth=1
	s_wait_xcnt 0x0
	s_or_b32 exec_lo, exec_lo, s12
	v_cmp_eq_u32_e32 vcc_lo, 0, v62
	s_delay_alu instid0(VALU_DEP_2) | instskip(SKIP_3) | instid1(VALU_DEP_1)
	v_lshl_add_u64 v[0:1], v[8:9], 1, v[32:33]
	v_and_b32_e32 v11, 0x2000, v126
	s_mov_b32 s10, exec_lo
	v_cndmask_b32_e32 v10, 0xc8, v104, vcc_lo
	v_add_nc_u32_e32 v8, v0, v10
	ds_store_b64 v8, v[0:1] offset:584
	v_cmpx_ne_u32_e32 0, v11
	s_cbranch_execz .LBB12_77
; %bb.76:                               ;   in Loop: Header=BB12_49 Depth=1
	ds_load_b64 v[0:1], v0 offset:872
	s_wait_dscnt 0x0
	v_add_nc_u64_e32 v[0:1], 1, v[0:1]
	ds_store_b64 v0, v[0:1] offset:872
.LBB12_77:                              ;   in Loop: Header=BB12_49 Depth=1
	s_or_b32 exec_lo, exec_lo, s10
	v_mov_b64_e32 v[8:9], v[2:3]
.LBB12_78:                              ;   in Loop: Header=BB12_49 Depth=1
	s_or_b32 exec_lo, exec_lo, s11
	s_and_saveexec_b32 s10, s2
	s_cbranch_execz .LBB12_97
; %bb.79:                               ;   in Loop: Header=BB12_49 Depth=1
	s_and_saveexec_b32 s11, s3
	s_delay_alu instid0(SALU_CYCLE_1)
	s_xor_b32 s11, exec_lo, s11
	s_cbranch_execz .LBB12_94
; %bb.80:                               ;   in Loop: Header=BB12_49 Depth=1
	s_and_saveexec_b32 s12, s4
	s_cbranch_execz .LBB12_93
; %bb.81:                               ;   in Loop: Header=BB12_49 Depth=1
	s_mov_b32 s14, exec_lo
	s_mov_b32 s13, exec_lo
	v_mbcnt_lo_u32_b32 v0, s14, 0
	global_wb scope:SCOPE_DEV
	s_wait_storecnt 0x0
	s_wait_loadcnt_dscnt 0x0
	global_inv scope:SCOPE_DEV
	v_cmpx_eq_u32_e32 0, v0
	s_cbranch_execz .LBB12_83
; %bb.82:                               ;   in Loop: Header=BB12_49 Depth=1
	s_bcnt1_i32_b32 s14, s14
	s_delay_alu instid0(SALU_CYCLE_1)
	v_mov_b32_e32 v62, s14
	s_wait_loadcnt 0x0
	ds_add_u64 v0, v[62:63]
	s_trap 2
.LBB12_83:                              ;   in Loop: Header=BB12_49 Depth=1
	s_or_b32 exec_lo, exec_lo, s13
	s_trap 2
	ds_load_b64 v[0:1], v0
	s_wait_dscnt 0x0
	v_add_nc_u64_e32 v[56:57], v[56:57], v[72:73]
	s_mov_b32 s13, exec_lo
	s_delay_alu instid0(VALU_DEP_1)
	v_cmpx_lt_u64_e64 v[0:1], v[56:57]
	s_cbranch_execz .LBB12_92
; %bb.84:                               ;   in Loop: Header=BB12_49 Depth=1
	s_mov_b32 s14, 0
	s_mov_b32 s29, 0
                                        ; implicit-def: $sgpr15
                                        ; implicit-def: $sgpr28
	s_branch .LBB12_86
.LBB12_85:                              ;   in Loop: Header=BB12_86 Depth=2
	s_or_b32 exec_lo, exec_lo, s41
	s_delay_alu instid0(SALU_CYCLE_1) | instskip(NEXT) | instid1(SALU_CYCLE_1)
	s_and_b32 s40, exec_lo, s42
	s_or_b32 s14, s40, s14
	s_and_not1_b32 s15, s15, exec_lo
	s_and_b32 s40, s28, exec_lo
	s_delay_alu instid0(SALU_CYCLE_1)
	s_or_b32 s15, s15, s40
	s_and_not1_b32 exec_lo, exec_lo, s14
	s_cbranch_execz .LBB12_90
.LBB12_86:                              ;   Parent Loop BB12_49 Depth=1
                                        ; =>  This Inner Loop Header: Depth=2
	s_add_co_i32 s29, s29, 1
	s_delay_alu instid0(SALU_CYCLE_1) | instskip(SKIP_1) | instid1(SALU_CYCLE_1)
	s_cmp_lg_u32 s29, 0x2710
	s_cselect_b32 s40, -1, 0
	s_and_b32 vcc_lo, exec_lo, s40
	s_cbranch_vccz .LBB12_88
; %bb.87:                               ;   in Loop: Header=BB12_86 Depth=2
	s_mov_b32 s42, -1
	s_or_b32 s28, s28, exec_lo
	s_and_saveexec_b32 s41, s40
	s_cbranch_execz .LBB12_85
	s_branch .LBB12_89
.LBB12_88:                              ;   in Loop: Header=BB12_86 Depth=2
	s_trap 2
	ds_load_b64 v[0:1], v0
	s_and_not1_b32 s40, s40, exec_lo
	s_mov_b32 s29, 0
	s_wait_loadcnt_dscnt 0x0
	flat_load_b32 v0, v[0:1] scope:SCOPE_SYS
	s_wait_loadcnt_dscnt 0x0
	global_inv scope:SCOPE_SYS
	v_cmp_eq_u32_e32 vcc_lo, 0, v0
	s_and_b32 s41, vcc_lo, exec_lo
	s_delay_alu instid0(SALU_CYCLE_1)
	s_or_b32 s40, s40, s41
	s_mov_b32 s42, -1
	s_or_b32 s28, s28, exec_lo
	s_wait_xcnt 0x0
	s_and_saveexec_b32 s41, s40
	s_cbranch_execz .LBB12_85
.LBB12_89:                              ;   in Loop: Header=BB12_86 Depth=2
	s_sleep 1
	s_trap 2
	ds_load_b64 v[0:1], v0
	s_wait_dscnt 0x0
	s_and_not1_b32 s28, s28, exec_lo
	v_cmp_ge_u64_e32 vcc_lo, v[0:1], v[56:57]
	s_or_not1_b32 s42, vcc_lo, exec_lo
	s_branch .LBB12_85
.LBB12_90:                              ;   in Loop: Header=BB12_49 Depth=1
	s_or_b32 exec_lo, exec_lo, s14
	s_and_saveexec_b32 s14, s15
	s_delay_alu instid0(SALU_CYCLE_1)
	s_xor_b32 s14, exec_lo, s14
	s_cbranch_execz .LBB12_92
; %bb.91:                               ;   in Loop: Header=BB12_49 Depth=1
	ds_store_b32 v0, v91
	s_trap 2
.LBB12_92:                              ;   in Loop: Header=BB12_49 Depth=1
	s_or_b32 exec_lo, exec_lo, s13
	;;#ASMSTART
	s_wakeup
	;;#ASMEND
.LBB12_93:                              ;   in Loop: Header=BB12_49 Depth=1
	s_or_b32 exec_lo, exec_lo, s12
.LBB12_94:                              ;   in Loop: Header=BB12_49 Depth=1
	s_and_not1_saveexec_b32 s11, s11
	s_cbranch_execz .LBB12_96
; %bb.95:                               ;   in Loop: Header=BB12_49 Depth=1
	global_wb scope:SCOPE_DEV
	s_wait_storecnt 0x0
	s_wait_loadcnt_dscnt 0x0
	global_inv scope:SCOPE_DEV
	s_barrier_signal -1
	s_barrier_wait -1
.LBB12_96:                              ;   in Loop: Header=BB12_49 Depth=1
	s_or_b32 exec_lo, exec_lo, s11
.LBB12_97:                              ;   in Loop: Header=BB12_49 Depth=1
	s_delay_alu instid0(SALU_CYCLE_1) | instskip(SKIP_3) | instid1(VALU_DEP_1)
	s_or_b32 exec_lo, exec_lo, s10
	s_trap 2
	ds_load_b32 v0, v0
	v_and_b32_e32 v1, 0x4000, v126
	v_cmp_ne_u32_e32 vcc_lo, 0, v1
	s_and_b32 s11, s25, vcc_lo
	s_delay_alu instid0(SALU_CYCLE_1)
	s_and_saveexec_b32 s10, s11
	s_cbranch_execz .LBB12_116
; %bb.98:                               ;   in Loop: Header=BB12_49 Depth=1
	s_and_saveexec_b32 s11, s3
	s_delay_alu instid0(SALU_CYCLE_1)
	s_xor_b32 s11, exec_lo, s11
	s_cbranch_execz .LBB12_113
; %bb.99:                               ;   in Loop: Header=BB12_49 Depth=1
	s_and_saveexec_b32 s12, s4
	s_cbranch_execz .LBB12_112
; %bb.100:                              ;   in Loop: Header=BB12_49 Depth=1
	s_mov_b32 s14, exec_lo
	s_mov_b32 s13, exec_lo
	v_mbcnt_lo_u32_b32 v1, s14, 0
	global_wb scope:SCOPE_DEV
	s_wait_storecnt 0x0
	s_wait_loadcnt_dscnt 0x0
	global_inv scope:SCOPE_DEV
	v_cmpx_eq_u32_e32 0, v1
	s_cbranch_execz .LBB12_102
; %bb.101:                              ;   in Loop: Header=BB12_49 Depth=1
	s_bcnt1_i32_b32 s14, s14
	s_delay_alu instid0(SALU_CYCLE_1)
	v_mov_b32_e32 v62, s14
	s_wait_loadcnt 0x0
	ds_add_u64 v0, v[62:63]
	s_trap 2
.LBB12_102:                             ;   in Loop: Header=BB12_49 Depth=1
	s_or_b32 exec_lo, exec_lo, s13
	s_trap 2
	ds_load_b64 v[2:3], v0
	s_wait_dscnt 0x0
	v_add_nc_u64_e32 v[56:57], v[56:57], v[72:73]
	s_mov_b32 s13, exec_lo
	s_delay_alu instid0(VALU_DEP_1)
	v_cmpx_lt_u64_e64 v[2:3], v[56:57]
	s_cbranch_execz .LBB12_111
; %bb.103:                              ;   in Loop: Header=BB12_49 Depth=1
	s_mov_b32 s14, 0
	s_mov_b32 s29, 0
                                        ; implicit-def: $sgpr15
                                        ; implicit-def: $sgpr28
	s_branch .LBB12_105
.LBB12_104:                             ;   in Loop: Header=BB12_105 Depth=2
	s_or_b32 exec_lo, exec_lo, s41
	s_delay_alu instid0(SALU_CYCLE_1) | instskip(NEXT) | instid1(SALU_CYCLE_1)
	s_and_b32 s40, exec_lo, s42
	s_or_b32 s14, s40, s14
	s_and_not1_b32 s15, s15, exec_lo
	s_and_b32 s40, s28, exec_lo
	s_delay_alu instid0(SALU_CYCLE_1)
	s_or_b32 s15, s15, s40
	s_and_not1_b32 exec_lo, exec_lo, s14
	s_cbranch_execz .LBB12_109
.LBB12_105:                             ;   Parent Loop BB12_49 Depth=1
                                        ; =>  This Inner Loop Header: Depth=2
	s_add_co_i32 s29, s29, 1
	s_delay_alu instid0(SALU_CYCLE_1) | instskip(SKIP_1) | instid1(SALU_CYCLE_1)
	s_cmp_lg_u32 s29, 0x2710
	s_cselect_b32 s40, -1, 0
	s_and_b32 vcc_lo, exec_lo, s40
	s_cbranch_vccz .LBB12_107
; %bb.106:                              ;   in Loop: Header=BB12_105 Depth=2
	s_mov_b32 s42, -1
	s_or_b32 s28, s28, exec_lo
	s_and_saveexec_b32 s41, s40
	s_cbranch_execz .LBB12_104
	s_branch .LBB12_108
.LBB12_107:                             ;   in Loop: Header=BB12_105 Depth=2
	s_trap 2
	ds_load_b64 v[2:3], v0
	s_and_not1_b32 s40, s40, exec_lo
	s_mov_b32 s29, 0
	s_wait_loadcnt_dscnt 0x0
	flat_load_b32 v1, v[2:3] scope:SCOPE_SYS
	s_wait_loadcnt_dscnt 0x0
	global_inv scope:SCOPE_SYS
	v_cmp_eq_u32_e32 vcc_lo, 0, v1
	s_and_b32 s41, vcc_lo, exec_lo
	s_delay_alu instid0(SALU_CYCLE_1)
	s_or_b32 s40, s40, s41
	s_mov_b32 s42, -1
	s_or_b32 s28, s28, exec_lo
	s_wait_xcnt 0x0
	s_and_saveexec_b32 s41, s40
	s_cbranch_execz .LBB12_104
.LBB12_108:                             ;   in Loop: Header=BB12_105 Depth=2
	s_sleep 1
	s_trap 2
	ds_load_b64 v[2:3], v0
	s_wait_dscnt 0x0
	s_and_not1_b32 s28, s28, exec_lo
	v_cmp_ge_u64_e32 vcc_lo, v[2:3], v[56:57]
	s_or_not1_b32 s42, vcc_lo, exec_lo
	s_branch .LBB12_104
.LBB12_109:                             ;   in Loop: Header=BB12_49 Depth=1
	s_or_b32 exec_lo, exec_lo, s14
	s_and_saveexec_b32 s14, s15
	s_delay_alu instid0(SALU_CYCLE_1)
	s_xor_b32 s14, exec_lo, s14
	s_cbranch_execz .LBB12_111
; %bb.110:                              ;   in Loop: Header=BB12_49 Depth=1
	ds_store_b32 v0, v91
	s_trap 2
.LBB12_111:                             ;   in Loop: Header=BB12_49 Depth=1
	s_or_b32 exec_lo, exec_lo, s13
	;;#ASMSTART
	s_wakeup
	;;#ASMEND
.LBB12_112:                             ;   in Loop: Header=BB12_49 Depth=1
	s_or_b32 exec_lo, exec_lo, s12
.LBB12_113:                             ;   in Loop: Header=BB12_49 Depth=1
	s_and_not1_saveexec_b32 s11, s11
	s_cbranch_execz .LBB12_115
; %bb.114:                              ;   in Loop: Header=BB12_49 Depth=1
	global_wb scope:SCOPE_DEV
	s_wait_storecnt 0x0
	s_wait_loadcnt_dscnt 0x0
	global_inv scope:SCOPE_DEV
	s_barrier_signal -1
	s_barrier_wait -1
.LBB12_115:                             ;   in Loop: Header=BB12_49 Depth=1
	s_or_b32 exec_lo, exec_lo, s11
.LBB12_116:                             ;   in Loop: Header=BB12_49 Depth=1
	s_delay_alu instid0(SALU_CYCLE_1)
	s_or_b32 exec_lo, exec_lo, s10
	s_trap 2
	s_wait_dscnt 0x0
	ds_load_b64 v[110:111], v0
	s_wait_dscnt 0x0
	v_cmp_eq_u64_e32 vcc_lo, 0, v[110:111]
	s_cbranch_vccnz .LBB12_124
; %bb.117:                              ;   in Loop: Header=BB12_49 Depth=1
	s_trap 2
	ds_load_b64 v[120:121], v0
	s_wait_dscnt 0x0
	v_cmp_eq_u64_e32 vcc_lo, 0, v[120:121]
	s_cbranch_vccnz .LBB12_124
; %bb.118:                              ;   in Loop: Header=BB12_49 Depth=1
	s_trap 2
	ds_load_b64 v[2:3], v0
	s_mov_b32 s10, -1
	s_wait_dscnt 0x0
	v_readfirstlane_b32 s11, v2
	s_and_saveexec_b32 s12, s5
	s_cbranch_execz .LBB12_120
; %bb.119:                              ;   in Loop: Header=BB12_49 Depth=1
	ds_load_b32 v1, v0 offset:720
	s_wait_dscnt 0x0
	v_and_b32_e32 v1, 15, v1
	s_delay_alu instid0(VALU_DEP_1)
	v_cmp_eq_u32_e32 vcc_lo, 0, v1
	s_or_not1_b32 s10, vcc_lo, exec_lo
.LBB12_120:                             ;   in Loop: Header=BB12_49 Depth=1
	s_or_b32 exec_lo, exec_lo, s12
	s_and_saveexec_b32 s12, s6
	s_cbranch_execz .LBB12_122
; %bb.121:                              ;   in Loop: Header=BB12_49 Depth=1
	ds_load_b32 v1, v0 offset:784
	s_wait_dscnt 0x0
	v_and_b32_e32 v1, 15, v1
	s_delay_alu instid0(VALU_DEP_1) | instskip(SKIP_3) | instid1(SALU_CYCLE_1)
	v_cmp_eq_u32_e32 vcc_lo, 0, v1
	s_and_b32 s13, s10, vcc_lo
	s_and_not1_b32 s10, s10, exec_lo
	s_and_b32 s13, s13, exec_lo
	s_or_b32 s10, s10, s13
.LBB12_122:                             ;   in Loop: Header=BB12_49 Depth=1
	s_or_b32 exec_lo, exec_lo, s12
	s_xor_b32 s10, s10, -1
	s_mov_b32 s12, -1
	v_cndmask_b32_e64 v1, 0, 1, s10
	v_cmp_eq_u32_e64 s10, 0, v0
	s_delay_alu instid0(VALU_DEP_2)
	v_cmp_ne_u32_e32 vcc_lo, 0, v1
	s_cbranch_vccz .LBB12_125
; %bb.123:                              ;   in Loop: Header=BB12_49 Depth=1
	s_and_b32 s28, s11, 1
	s_mov_b32 s12, 0
	s_mov_b32 s29, -1
	s_branch .LBB12_126
.LBB12_124:                             ;   in Loop: Header=BB12_49 Depth=1
	s_mov_b32 s10, 0
	s_and_saveexec_b32 s11, s2
	s_cbranch_execnz .LBB12_866
	s_branch .LBB12_884
.LBB12_125:                             ;   in Loop: Header=BB12_49 Depth=1
	s_mov_b32 s29, 0
                                        ; implicit-def: $sgpr28
.LBB12_126:                             ;   in Loop: Header=BB12_49 Depth=1
	v_dual_cndmask_b32 v62, 0, v109, s10 :: v_dual_mov_b32 v14, 0
	s_and_not1_b32 vcc_lo, exec_lo, s12
	s_delay_alu instid0(VALU_DEP_1)
	v_lshlrev_b32_e32 v105, 1, v62
	s_cbranch_vccnz .LBB12_390
; %bb.127:                              ;   in Loop: Header=BB12_49 Depth=1
	scratch_load_b64 v[0:1], off, s33 offset:304 ; 8-byte Folded Reload
	v_lshrrev_b32_e32 v49, 10, v62
	s_and_b32 s28, s11, 1
	s_mov_b32 s10, 0
	s_mov_b32 s11, exec_lo
                                        ; implicit-def: $vgpr80_vgpr81
                                        ; implicit-def: $vgpr36_vgpr37
                                        ; implicit-def: $vgpr26_vgpr27
                                        ; implicit-def: $vgpr14_vgpr15
                                        ; implicit-def: $vgpr32_vgpr33
                                        ; implicit-def: $vgpr22_vgpr23
                                        ; implicit-def: $vgpr18_vgpr19
                                        ; implicit-def: $vgpr10_vgpr11
	s_delay_alu instid0(VALU_DEP_1) | instskip(SKIP_3) | instid1(VALU_DEP_2)
	v_sub_nc_u32_e32 v90, v49, v44
	s_wait_loadcnt 0x0
	v_add_nc_u64_e32 v[122:123], v[120:121], v[0:1]
	s_wait_xcnt 0x0
	v_cmpx_lt_i32_e32 0, v90
	s_cbranch_execz .LBB12_392
; %bb.128:                              ;   in Loop: Header=BB12_49 Depth=1
	s_clause 0x2
	scratch_store_b32 off, v49, s33 offset:336
	scratch_store_b32 off, v105, s33 offset:332
	;; [unrolled: 1-line block ×3, first 2 shown]
	s_trap 2
	scratch_load_b64 v[2:3], off, s33 offset:304 ; 8-byte Folded Reload
	ds_load_b64 v[0:1], v0
	s_and_b32 s10, 0xffff, s28
	s_mov_b32 s14, 0
	s_cmp_eq_u32 s10, 0
	s_mov_b32 s12, 0
	s_cselect_b32 vcc_lo, -1, 0
                                        ; implicit-def: $sgpr13
                                        ; implicit-def: $vgpr80_vgpr81
                                        ; implicit-def: $vgpr36_vgpr37
                                        ; implicit-def: $vgpr26_vgpr27
                                        ; implicit-def: $vgpr14_vgpr15
                                        ; implicit-def: $vgpr32_vgpr33
                                        ; implicit-def: $vgpr22_vgpr23
                                        ; implicit-def: $vgpr18_vgpr19
                                        ; implicit-def: $vgpr10_vgpr11
	s_wait_loadcnt 0x0
	v_add_nc_u64_e32 v[124:125], v[110:111], v[2:3]
	s_wait_dscnt 0x0
	v_add_nc_u64_e32 v[2:3], v[0:1], v[2:3]
	s_branch .LBB12_130
.LBB12_129:                             ;   in Loop: Header=BB12_130 Depth=2
	s_or_b32 exec_lo, exec_lo, s15
	v_dual_lshrrev_b32 v0, 16, v0 :: v_dual_lshrrev_b32 v55, 16, v99
	v_dual_lshrrev_b32 v70, 16, v65 :: v_dual_lshrrev_b32 v68, 16, v68
	v_lshrrev_b32_e32 v71, 16, v96
	s_delay_alu instid0(VALU_DEP_3) | instskip(SKIP_4) | instid1(VALU_DEP_4)
	v_and_or_b32 v65, 0xffff0000, v1, v0
	v_lshrrev_b32_e32 v0, 16, v115
	v_and_or_b32 v64, 0xffff0000, v64, v55
	v_dual_lshrrev_b32 v55, 16, v112 :: v_dual_lshrrev_b32 v31, 16, v31
	v_lshrrev_b32_e32 v1, 16, v98
	v_and_or_b32 v84, 0xffff0000, v84, v0
	v_lshrrev_b32_e32 v0, 16, v97
	v_and_or_b32 v67, 0xffff0000, v67, v68
	v_and_or_b32 v96, 0xffff0000, v100, v31
	;; [unrolled: 1-line block ×3, first 2 shown]
	v_dual_lshrrev_b32 v1, 16, v52 :: v_dual_lshrrev_b32 v31, 16, v69
	v_lshrrev_b32_e32 v68, 16, v113
	v_and_or_b32 v86, 0xffff0000, v86, v0
	v_dual_lshrrev_b32 v0, 16, v114 :: v_dual_lshrrev_b32 v52, 16, v53
	v_lshrrev_b32_e32 v53, 16, v54
	v_and_or_b32 v48, 0xffff0000, v48, v31
	v_cndmask_b32_e64 v31, 0, v72, s14
	s_delay_alu instid0(VALU_DEP_4)
	v_and_or_b32 v99, 0xffff0000, v103, v0
	v_and_or_b32 v49, 0xffff0000, v49, v1
	v_add_nc_u64_e32 v[0:1], v[124:125], v[74:75]
	v_and_or_b32 v51, 0xffff0000, v51, v53
	v_dual_cndmask_b32 v53, 0, v93, s14 :: v_dual_sub_nc_u32 v90, v30, v31
	v_and_or_b32 v66, 0xffff0000, v66, v70
	v_and_or_b32 v97, 0xffff0000, v101, v55
	;; [unrolled: 1-line block ×4, first 2 shown]
	v_cndmask_b32_e64 v52, 0x800, v92, s14
	v_add_nc_u64_e32 v[30:31], v[2:3], v[74:75]
	v_and_or_b32 v85, 0xffff0000, v85, v71
	v_cndmask_b32_e64 v125, v125, v1, s14
	v_cmp_gt_i32_e64 s10, 1, v90
	s_clause 0x3
	global_store_b128 v[122:123], v[96:99], off th:TH_STORE_NT
	global_store_b128 v[122:123], v[84:87], off offset:512 th:TH_STORE_NT
	global_store_b128 v[122:123], v[64:67], off offset:1024 th:TH_STORE_NT
	;; [unrolled: 1-line block ×3, first 2 shown]
	s_wait_xcnt 0x0
	v_add_nc_u64_e32 v[122:123], v[122:123], v[52:53]
	v_dual_cndmask_b32 v124, v124, v0, s14 :: v_dual_cndmask_b32 v3, v3, v31, s14
	v_cndmask_b32_e64 v2, v2, v30, s14
	s_or_b32 s12, s10, s12
	s_and_not1_b32 s10, s13, exec_lo
	s_and_b32 s13, s14, exec_lo
	s_delay_alu instid0(SALU_CYCLE_1)
	s_or_b32 s13, s10, s13
	s_and_not1_b32 exec_lo, exec_lo, s12
	s_cbranch_execz .LBB12_391
.LBB12_130:                             ;   Parent Loop BB12_49 Depth=1
                                        ; =>  This Inner Loop Header: Depth=2
	s_clause 0x3
	global_load_b128 v[100:103], v[124:125], off th:TH_LOAD_NT
	global_load_b128 v[84:87], v[124:125], off offset:512 th:TH_LOAD_NT
	global_load_b128 v[64:67], v[124:125], off offset:1024 th:TH_LOAD_NT
	;; [unrolled: 1-line block ×3, first 2 shown]
	s_clause 0x3
	global_load_b128 v[112:115], v[2:3], off th:TH_LOAD_NT
	global_load_b128 v[96:99], v[2:3], off offset:512 th:TH_LOAD_NT
	global_load_b128 v[68:71], v[2:3], off offset:1024 th:TH_LOAD_NT
	;; [unrolled: 1-line block ×3, first 2 shown]
	s_wait_xcnt 0x0
	s_and_saveexec_b32 s15, s14
	s_cbranch_execz .LBB12_260
; %bb.131:                              ;   in Loop: Header=BB12_130 Depth=2
	v_lshlrev_b32_e32 v1, 16, v80
	s_delay_alu instid0(VALU_DEP_1) | instskip(NEXT) | instid1(VALU_DEP_1)
	v_dual_max_num_f32 v1, v1, v1 :: v_dual_lshlrev_b32 v0, 16, v32
	v_max_num_f32_e32 v0, v0, v0
	s_delay_alu instid0(VALU_DEP_1) | instskip(NEXT) | instid1(VALU_DEP_1)
	v_dual_min_num_f32 v30, v1, v0 :: v_dual_max_num_f32 v0, v1, v0
	v_cndmask_b32_e32 v0, v0, v30, vcc_lo
                                        ; implicit-def: $vgpr30
	s_delay_alu instid0(VALU_DEP_1) | instskip(NEXT) | instid1(VALU_DEP_1)
	v_and_b32_e32 v1, 0x7f800000, v0
	v_cmp_ne_u32_e64 s10, 0x7f800000, v1
	s_and_saveexec_b32 s14, s10
	s_delay_alu instid0(SALU_CYCLE_1)
	s_xor_b32 s10, exec_lo, s14
; %bb.132:                              ;   in Loop: Header=BB12_130 Depth=2
	v_bfe_u32 v1, v0, 16, 1
	s_delay_alu instid0(VALU_DEP_1)
	v_add3_u32 v30, v0, v1, 0x7fff
                                        ; implicit-def: $vgpr0
; %bb.133:                              ;   in Loop: Header=BB12_130 Depth=2
	s_and_not1_saveexec_b32 s14, s10
; %bb.134:                              ;   in Loop: Header=BB12_130 Depth=2
	v_and_b32_e32 v1, 0xffff, v0
	v_or_b32_e32 v30, 0x10000, v0
	s_delay_alu instid0(VALU_DEP_2) | instskip(NEXT) | instid1(VALU_DEP_1)
	v_cmp_eq_u32_e64 s10, 0, v1
	v_cndmask_b32_e64 v30, v30, v0, s10
; %bb.135:                              ;   in Loop: Header=BB12_130 Depth=2
	s_or_b32 exec_lo, exec_lo, s14
	v_and_b32_e32 v0, 0xffff0000, v32
	v_and_b32_e32 v1, 0xffff0000, v80
	s_delay_alu instid0(VALU_DEP_1) | instskip(NEXT) | instid1(VALU_DEP_1)
	v_dual_max_num_f32 v0, v0, v0 :: v_dual_max_num_f32 v1, v1, v1
	v_dual_min_num_f32 v31, v1, v0 :: v_dual_max_num_f32 v0, v1, v0
	s_delay_alu instid0(VALU_DEP_1) | instskip(NEXT) | instid1(VALU_DEP_1)
	v_cndmask_b32_e32 v0, v0, v31, vcc_lo
                                        ; implicit-def: $vgpr31
	v_and_b32_e32 v1, 0x7f800000, v0
	s_delay_alu instid0(VALU_DEP_1) | instskip(SKIP_1) | instid1(SALU_CYCLE_1)
	v_cmp_ne_u32_e64 s10, 0x7f800000, v1
	s_and_saveexec_b32 s14, s10
	s_xor_b32 s10, exec_lo, s14
; %bb.136:                              ;   in Loop: Header=BB12_130 Depth=2
	v_bfe_u32 v1, v0, 16, 1
	s_delay_alu instid0(VALU_DEP_1)
	v_add3_u32 v31, v0, v1, 0x7fff
                                        ; implicit-def: $vgpr0
; %bb.137:                              ;   in Loop: Header=BB12_130 Depth=2
	s_and_not1_saveexec_b32 s14, s10
; %bb.138:                              ;   in Loop: Header=BB12_130 Depth=2
	v_and_b32_e32 v1, 0xffff, v0
	v_or_b32_e32 v31, 0x10000, v0
	s_delay_alu instid0(VALU_DEP_2) | instskip(NEXT) | instid1(VALU_DEP_1)
	v_cmp_eq_u32_e64 s10, 0, v1
	v_cndmask_b32_e64 v31, v31, v0, s10
; %bb.139:                              ;   in Loop: Header=BB12_130 Depth=2
	s_or_b32 exec_lo, exec_lo, s14
	v_lshlrev_b32_e32 v0, 16, v33
	s_delay_alu instid0(VALU_DEP_1) | instskip(NEXT) | instid1(VALU_DEP_1)
	v_dual_max_num_f32 v0, v0, v0 :: v_dual_lshlrev_b32 v1, 16, v81
	v_max_num_f32_e32 v1, v1, v1
	s_delay_alu instid0(VALU_DEP_1) | instskip(NEXT) | instid1(VALU_DEP_1)
	v_dual_min_num_f32 v80, v1, v0 :: v_dual_max_num_f32 v0, v1, v0
	v_cndmask_b32_e32 v0, v0, v80, vcc_lo
                                        ; implicit-def: $vgpr80
	s_delay_alu instid0(VALU_DEP_1) | instskip(NEXT) | instid1(VALU_DEP_1)
	v_and_b32_e32 v1, 0x7f800000, v0
	v_cmp_ne_u32_e64 s10, 0x7f800000, v1
	s_and_saveexec_b32 s14, s10
	s_delay_alu instid0(SALU_CYCLE_1)
	s_xor_b32 s10, exec_lo, s14
; %bb.140:                              ;   in Loop: Header=BB12_130 Depth=2
	v_bfe_u32 v1, v0, 16, 1
	s_delay_alu instid0(VALU_DEP_1)
	v_add3_u32 v80, v0, v1, 0x7fff
                                        ; implicit-def: $vgpr0
; %bb.141:                              ;   in Loop: Header=BB12_130 Depth=2
	s_and_not1_saveexec_b32 s14, s10
; %bb.142:                              ;   in Loop: Header=BB12_130 Depth=2
	v_and_b32_e32 v1, 0xffff, v0
	v_or_b32_e32 v80, 0x10000, v0
	s_delay_alu instid0(VALU_DEP_2) | instskip(NEXT) | instid1(VALU_DEP_1)
	v_cmp_eq_u32_e64 s10, 0, v1
	v_cndmask_b32_e64 v80, v80, v0, s10
; %bb.143:                              ;   in Loop: Header=BB12_130 Depth=2
	s_or_b32 exec_lo, exec_lo, s14
	v_and_b32_e32 v0, 0xffff0000, v33
	v_and_b32_e32 v1, 0xffff0000, v81
	s_delay_alu instid0(VALU_DEP_1) | instskip(NEXT) | instid1(VALU_DEP_1)
	v_dual_max_num_f32 v0, v0, v0 :: v_dual_max_num_f32 v1, v1, v1
	v_dual_min_num_f32 v81, v1, v0 :: v_dual_max_num_f32 v0, v1, v0
	s_delay_alu instid0(VALU_DEP_1) | instskip(NEXT) | instid1(VALU_DEP_1)
	v_cndmask_b32_e32 v0, v0, v81, vcc_lo
                                        ; implicit-def: $vgpr81
	v_and_b32_e32 v1, 0x7f800000, v0
	s_delay_alu instid0(VALU_DEP_1) | instskip(SKIP_1) | instid1(SALU_CYCLE_1)
	v_cmp_ne_u32_e64 s10, 0x7f800000, v1
	s_and_saveexec_b32 s14, s10
	s_xor_b32 s10, exec_lo, s14
; %bb.144:                              ;   in Loop: Header=BB12_130 Depth=2
	v_bfe_u32 v1, v0, 16, 1
	s_delay_alu instid0(VALU_DEP_1)
	v_add3_u32 v81, v0, v1, 0x7fff
                                        ; implicit-def: $vgpr0
; %bb.145:                              ;   in Loop: Header=BB12_130 Depth=2
	s_and_not1_saveexec_b32 s14, s10
; %bb.146:                              ;   in Loop: Header=BB12_130 Depth=2
	v_and_b32_e32 v1, 0xffff, v0
	v_or_b32_e32 v81, 0x10000, v0
	s_delay_alu instid0(VALU_DEP_2) | instskip(NEXT) | instid1(VALU_DEP_1)
	v_cmp_eq_u32_e64 s10, 0, v1
	v_cndmask_b32_e64 v81, v81, v0, s10
; %bb.147:                              ;   in Loop: Header=BB12_130 Depth=2
	s_or_b32 exec_lo, exec_lo, s14
	v_lshlrev_b32_e32 v1, 16, v82
	v_lshlrev_b32_e32 v0, 16, v34
                                        ; implicit-def: $vgpr42
	s_delay_alu instid0(VALU_DEP_1) | instskip(NEXT) | instid1(VALU_DEP_1)
	v_dual_max_num_f32 v1, v1, v1 :: v_dual_max_num_f32 v0, v0, v0
	v_dual_min_num_f32 v116, v1, v0 :: v_dual_max_num_f32 v0, v1, v0
	s_delay_alu instid0(VALU_DEP_1) | instskip(NEXT) | instid1(VALU_DEP_1)
	v_cndmask_b32_e32 v0, v0, v116, vcc_lo
	v_and_b32_e32 v1, 0x7f800000, v0
	s_delay_alu instid0(VALU_DEP_1) | instskip(SKIP_1) | instid1(SALU_CYCLE_1)
	v_cmp_ne_u32_e64 s10, 0x7f800000, v1
	s_and_saveexec_b32 s14, s10
	s_xor_b32 s10, exec_lo, s14
; %bb.148:                              ;   in Loop: Header=BB12_130 Depth=2
	v_bfe_u32 v1, v0, 16, 1
	s_delay_alu instid0(VALU_DEP_1)
	v_add3_u32 v42, v0, v1, 0x7fff
                                        ; implicit-def: $vgpr0
; %bb.149:                              ;   in Loop: Header=BB12_130 Depth=2
	s_and_not1_saveexec_b32 s14, s10
; %bb.150:                              ;   in Loop: Header=BB12_130 Depth=2
	v_and_b32_e32 v1, 0xffff, v0
	v_or_b32_e32 v116, 0x10000, v0
	s_delay_alu instid0(VALU_DEP_2) | instskip(NEXT) | instid1(VALU_DEP_1)
	v_cmp_eq_u32_e64 s10, 0, v1
	v_cndmask_b32_e64 v42, v116, v0, s10
; %bb.151:                              ;   in Loop: Header=BB12_130 Depth=2
	s_or_b32 exec_lo, exec_lo, s14
	v_and_b32_e32 v0, 0xffff0000, v34
	v_and_b32_e32 v1, 0xffff0000, v82
	s_delay_alu instid0(VALU_DEP_1) | instskip(NEXT) | instid1(VALU_DEP_1)
	v_dual_max_num_f32 v0, v0, v0 :: v_dual_max_num_f32 v1, v1, v1
	v_dual_min_num_f32 v82, v1, v0 :: v_dual_max_num_f32 v0, v1, v0
	s_delay_alu instid0(VALU_DEP_1) | instskip(NEXT) | instid1(VALU_DEP_1)
	v_cndmask_b32_e32 v0, v0, v82, vcc_lo
                                        ; implicit-def: $vgpr82
	v_and_b32_e32 v1, 0x7f800000, v0
	s_delay_alu instid0(VALU_DEP_1) | instskip(SKIP_1) | instid1(SALU_CYCLE_1)
	v_cmp_ne_u32_e64 s10, 0x7f800000, v1
	s_and_saveexec_b32 s14, s10
	s_xor_b32 s10, exec_lo, s14
; %bb.152:                              ;   in Loop: Header=BB12_130 Depth=2
	v_bfe_u32 v1, v0, 16, 1
	s_delay_alu instid0(VALU_DEP_1)
	v_add3_u32 v82, v0, v1, 0x7fff
                                        ; implicit-def: $vgpr0
; %bb.153:                              ;   in Loop: Header=BB12_130 Depth=2
	s_and_not1_saveexec_b32 s14, s10
; %bb.154:                              ;   in Loop: Header=BB12_130 Depth=2
	v_and_b32_e32 v1, 0xffff, v0
	v_or_b32_e32 v82, 0x10000, v0
	s_delay_alu instid0(VALU_DEP_2) | instskip(NEXT) | instid1(VALU_DEP_1)
	v_cmp_eq_u32_e64 s10, 0, v1
	v_cndmask_b32_e64 v82, v82, v0, s10
; %bb.155:                              ;   in Loop: Header=BB12_130 Depth=2
	s_or_b32 exec_lo, exec_lo, s14
	v_lshlrev_b32_e32 v1, 16, v83
	v_lshlrev_b32_e32 v0, 16, v35
                                        ; implicit-def: $vgpr43
	s_delay_alu instid0(VALU_DEP_1) | instskip(NEXT) | instid1(VALU_DEP_1)
	v_dual_max_num_f32 v1, v1, v1 :: v_dual_max_num_f32 v0, v0, v0
	v_dual_min_num_f32 v116, v1, v0 :: v_dual_max_num_f32 v0, v1, v0
	s_delay_alu instid0(VALU_DEP_1) | instskip(NEXT) | instid1(VALU_DEP_1)
	v_cndmask_b32_e32 v0, v0, v116, vcc_lo
	v_and_b32_e32 v1, 0x7f800000, v0
	s_delay_alu instid0(VALU_DEP_1) | instskip(SKIP_1) | instid1(SALU_CYCLE_1)
	v_cmp_ne_u32_e64 s10, 0x7f800000, v1
	s_and_saveexec_b32 s14, s10
	s_xor_b32 s10, exec_lo, s14
; %bb.156:                              ;   in Loop: Header=BB12_130 Depth=2
	v_bfe_u32 v1, v0, 16, 1
	s_delay_alu instid0(VALU_DEP_1)
	v_add3_u32 v43, v0, v1, 0x7fff
                                        ; implicit-def: $vgpr0
; %bb.157:                              ;   in Loop: Header=BB12_130 Depth=2
	s_and_not1_saveexec_b32 s14, s10
; %bb.158:                              ;   in Loop: Header=BB12_130 Depth=2
	v_and_b32_e32 v1, 0xffff, v0
	v_or_b32_e32 v116, 0x10000, v0
	s_delay_alu instid0(VALU_DEP_2) | instskip(NEXT) | instid1(VALU_DEP_1)
	v_cmp_eq_u32_e64 s10, 0, v1
	v_cndmask_b32_e64 v43, v116, v0, s10
; %bb.159:                              ;   in Loop: Header=BB12_130 Depth=2
	s_or_b32 exec_lo, exec_lo, s14
	v_and_b32_e32 v0, 0xffff0000, v35
	v_and_b32_e32 v1, 0xffff0000, v83
	s_delay_alu instid0(VALU_DEP_1) | instskip(NEXT) | instid1(VALU_DEP_1)
	v_dual_max_num_f32 v0, v0, v0 :: v_dual_max_num_f32 v1, v1, v1
	v_dual_min_num_f32 v83, v1, v0 :: v_dual_max_num_f32 v0, v1, v0
	s_delay_alu instid0(VALU_DEP_1) | instskip(NEXT) | instid1(VALU_DEP_1)
	v_cndmask_b32_e32 v0, v0, v83, vcc_lo
                                        ; implicit-def: $vgpr83
	v_and_b32_e32 v1, 0x7f800000, v0
	s_delay_alu instid0(VALU_DEP_1) | instskip(SKIP_1) | instid1(SALU_CYCLE_1)
	v_cmp_ne_u32_e64 s10, 0x7f800000, v1
	s_and_saveexec_b32 s14, s10
	s_xor_b32 s10, exec_lo, s14
; %bb.160:                              ;   in Loop: Header=BB12_130 Depth=2
	v_bfe_u32 v1, v0, 16, 1
	s_delay_alu instid0(VALU_DEP_1)
	v_add3_u32 v83, v0, v1, 0x7fff
                                        ; implicit-def: $vgpr0
; %bb.161:                              ;   in Loop: Header=BB12_130 Depth=2
	s_and_not1_saveexec_b32 s14, s10
; %bb.162:                              ;   in Loop: Header=BB12_130 Depth=2
	v_and_b32_e32 v1, 0xffff, v0
	v_or_b32_e32 v83, 0x10000, v0
	s_delay_alu instid0(VALU_DEP_2) | instskip(NEXT) | instid1(VALU_DEP_1)
	v_cmp_eq_u32_e64 s10, 0, v1
	v_cndmask_b32_e64 v83, v83, v0, s10
; %bb.163:                              ;   in Loop: Header=BB12_130 Depth=2
	s_or_b32 exec_lo, exec_lo, s14
	v_dual_lshlrev_b32 v0, 16, v22 :: v_dual_lshlrev_b32 v1, 16, v36
                                        ; implicit-def: $vgpr60
	s_delay_alu instid0(VALU_DEP_1) | instskip(NEXT) | instid1(VALU_DEP_1)
	v_dual_max_num_f32 v0, v0, v0 :: v_dual_max_num_f32 v1, v1, v1
	v_dual_min_num_f32 v116, v1, v0 :: v_dual_max_num_f32 v0, v1, v0
	s_delay_alu instid0(VALU_DEP_1) | instskip(NEXT) | instid1(VALU_DEP_1)
	v_cndmask_b32_e32 v0, v0, v116, vcc_lo
	v_and_b32_e32 v1, 0x7f800000, v0
	s_delay_alu instid0(VALU_DEP_1) | instskip(SKIP_1) | instid1(SALU_CYCLE_1)
	v_cmp_ne_u32_e64 s10, 0x7f800000, v1
	s_and_saveexec_b32 s14, s10
	s_xor_b32 s10, exec_lo, s14
; %bb.164:                              ;   in Loop: Header=BB12_130 Depth=2
	v_bfe_u32 v1, v0, 16, 1
	s_delay_alu instid0(VALU_DEP_1)
	v_add3_u32 v60, v0, v1, 0x7fff
                                        ; implicit-def: $vgpr0
; %bb.165:                              ;   in Loop: Header=BB12_130 Depth=2
	s_and_not1_saveexec_b32 s14, s10
; %bb.166:                              ;   in Loop: Header=BB12_130 Depth=2
	v_and_b32_e32 v1, 0xffff, v0
	v_or_b32_e32 v116, 0x10000, v0
	s_delay_alu instid0(VALU_DEP_2) | instskip(NEXT) | instid1(VALU_DEP_1)
	v_cmp_eq_u32_e64 s10, 0, v1
	v_cndmask_b32_e64 v60, v116, v0, s10
; %bb.167:                              ;   in Loop: Header=BB12_130 Depth=2
	s_or_b32 exec_lo, exec_lo, s14
	v_and_b32_e32 v0, 0xffff0000, v22
	v_and_b32_e32 v1, 0xffff0000, v36
	s_delay_alu instid0(VALU_DEP_1) | instskip(NEXT) | instid1(VALU_DEP_1)
	v_dual_max_num_f32 v0, v0, v0 :: v_dual_max_num_f32 v1, v1, v1
	v_dual_min_num_f32 v36, v1, v0 :: v_dual_max_num_f32 v0, v1, v0
	s_delay_alu instid0(VALU_DEP_1) | instskip(NEXT) | instid1(VALU_DEP_1)
	v_cndmask_b32_e32 v0, v0, v36, vcc_lo
                                        ; implicit-def: $vgpr36
	v_and_b32_e32 v1, 0x7f800000, v0
	s_delay_alu instid0(VALU_DEP_1) | instskip(SKIP_1) | instid1(SALU_CYCLE_1)
	v_cmp_ne_u32_e64 s10, 0x7f800000, v1
	s_and_saveexec_b32 s14, s10
	s_xor_b32 s10, exec_lo, s14
; %bb.168:                              ;   in Loop: Header=BB12_130 Depth=2
	v_bfe_u32 v1, v0, 16, 1
	s_delay_alu instid0(VALU_DEP_1)
	v_add3_u32 v36, v0, v1, 0x7fff
                                        ; implicit-def: $vgpr0
; %bb.169:                              ;   in Loop: Header=BB12_130 Depth=2
	s_and_not1_saveexec_b32 s14, s10
; %bb.170:                              ;   in Loop: Header=BB12_130 Depth=2
	v_and_b32_e32 v1, 0xffff, v0
	v_or_b32_e32 v36, 0x10000, v0
	s_delay_alu instid0(VALU_DEP_2) | instskip(NEXT) | instid1(VALU_DEP_1)
	v_cmp_eq_u32_e64 s10, 0, v1
	v_cndmask_b32_e64 v36, v36, v0, s10
; %bb.171:                              ;   in Loop: Header=BB12_130 Depth=2
	s_or_b32 exec_lo, exec_lo, s14
	v_dual_lshlrev_b32 v0, 16, v23 :: v_dual_lshlrev_b32 v1, 16, v37
                                        ; implicit-def: $vgpr61
	s_delay_alu instid0(VALU_DEP_1) | instskip(NEXT) | instid1(VALU_DEP_1)
	v_dual_max_num_f32 v0, v0, v0 :: v_dual_max_num_f32 v1, v1, v1
	v_dual_min_num_f32 v116, v1, v0 :: v_dual_max_num_f32 v0, v1, v0
	s_delay_alu instid0(VALU_DEP_1) | instskip(NEXT) | instid1(VALU_DEP_1)
	v_cndmask_b32_e32 v0, v0, v116, vcc_lo
	v_and_b32_e32 v1, 0x7f800000, v0
	s_delay_alu instid0(VALU_DEP_1) | instskip(SKIP_1) | instid1(SALU_CYCLE_1)
	v_cmp_ne_u32_e64 s10, 0x7f800000, v1
	s_and_saveexec_b32 s14, s10
	s_xor_b32 s10, exec_lo, s14
; %bb.172:                              ;   in Loop: Header=BB12_130 Depth=2
	v_bfe_u32 v1, v0, 16, 1
	s_delay_alu instid0(VALU_DEP_1)
	v_add3_u32 v61, v0, v1, 0x7fff
                                        ; implicit-def: $vgpr0
; %bb.173:                              ;   in Loop: Header=BB12_130 Depth=2
	s_and_not1_saveexec_b32 s14, s10
; %bb.174:                              ;   in Loop: Header=BB12_130 Depth=2
	v_and_b32_e32 v1, 0xffff, v0
	v_or_b32_e32 v116, 0x10000, v0
	s_delay_alu instid0(VALU_DEP_2) | instskip(NEXT) | instid1(VALU_DEP_1)
	v_cmp_eq_u32_e64 s10, 0, v1
	v_cndmask_b32_e64 v61, v116, v0, s10
; %bb.175:                              ;   in Loop: Header=BB12_130 Depth=2
	s_or_b32 exec_lo, exec_lo, s14
	v_and_b32_e32 v0, 0xffff0000, v23
	v_and_b32_e32 v1, 0xffff0000, v37
	s_delay_alu instid0(VALU_DEP_1) | instskip(NEXT) | instid1(VALU_DEP_1)
	v_dual_max_num_f32 v0, v0, v0 :: v_dual_max_num_f32 v1, v1, v1
	v_dual_min_num_f32 v37, v1, v0 :: v_dual_max_num_f32 v0, v1, v0
	s_delay_alu instid0(VALU_DEP_1) | instskip(NEXT) | instid1(VALU_DEP_1)
	v_cndmask_b32_e32 v0, v0, v37, vcc_lo
                                        ; implicit-def: $vgpr37
	v_and_b32_e32 v1, 0x7f800000, v0
	s_delay_alu instid0(VALU_DEP_1) | instskip(SKIP_1) | instid1(SALU_CYCLE_1)
	v_cmp_ne_u32_e64 s10, 0x7f800000, v1
	s_and_saveexec_b32 s14, s10
	s_xor_b32 s10, exec_lo, s14
; %bb.176:                              ;   in Loop: Header=BB12_130 Depth=2
	v_bfe_u32 v1, v0, 16, 1
	s_delay_alu instid0(VALU_DEP_1)
	v_add3_u32 v37, v0, v1, 0x7fff
                                        ; implicit-def: $vgpr0
; %bb.177:                              ;   in Loop: Header=BB12_130 Depth=2
	s_and_not1_saveexec_b32 s14, s10
; %bb.178:                              ;   in Loop: Header=BB12_130 Depth=2
	v_and_b32_e32 v1, 0xffff, v0
	v_or_b32_e32 v37, 0x10000, v0
	s_delay_alu instid0(VALU_DEP_2) | instskip(NEXT) | instid1(VALU_DEP_1)
	v_cmp_eq_u32_e64 s10, 0, v1
	v_cndmask_b32_e64 v37, v37, v0, s10
; %bb.179:                              ;   in Loop: Header=BB12_130 Depth=2
	s_or_b32 exec_lo, exec_lo, s14
	v_dual_lshlrev_b32 v0, 16, v24 :: v_dual_lshlrev_b32 v1, 16, v38
                                        ; implicit-def: $vgpr119
	s_delay_alu instid0(VALU_DEP_1) | instskip(NEXT) | instid1(VALU_DEP_1)
	v_dual_max_num_f32 v0, v0, v0 :: v_dual_max_num_f32 v1, v1, v1
	v_dual_min_num_f32 v116, v1, v0 :: v_dual_max_num_f32 v0, v1, v0
	s_delay_alu instid0(VALU_DEP_1) | instskip(NEXT) | instid1(VALU_DEP_1)
	v_cndmask_b32_e32 v0, v0, v116, vcc_lo
	v_and_b32_e32 v1, 0x7f800000, v0
	s_delay_alu instid0(VALU_DEP_1) | instskip(SKIP_1) | instid1(SALU_CYCLE_1)
	v_cmp_ne_u32_e64 s10, 0x7f800000, v1
	s_and_saveexec_b32 s14, s10
	s_xor_b32 s10, exec_lo, s14
; %bb.180:                              ;   in Loop: Header=BB12_130 Depth=2
	v_bfe_u32 v1, v0, 16, 1
	s_delay_alu instid0(VALU_DEP_1)
	v_add3_u32 v119, v0, v1, 0x7fff
                                        ; implicit-def: $vgpr0
; %bb.181:                              ;   in Loop: Header=BB12_130 Depth=2
	s_and_not1_saveexec_b32 s14, s10
; %bb.182:                              ;   in Loop: Header=BB12_130 Depth=2
	v_and_b32_e32 v1, 0xffff, v0
	v_or_b32_e32 v116, 0x10000, v0
	s_delay_alu instid0(VALU_DEP_2) | instskip(NEXT) | instid1(VALU_DEP_1)
	v_cmp_eq_u32_e64 s10, 0, v1
	v_cndmask_b32_e64 v119, v116, v0, s10
; %bb.183:                              ;   in Loop: Header=BB12_130 Depth=2
	s_or_b32 exec_lo, exec_lo, s14
	v_and_b32_e32 v0, 0xffff0000, v24
	v_and_b32_e32 v1, 0xffff0000, v38
	s_delay_alu instid0(VALU_DEP_1) | instskip(NEXT) | instid1(VALU_DEP_1)
	v_dual_max_num_f32 v0, v0, v0 :: v_dual_max_num_f32 v1, v1, v1
	v_dual_min_num_f32 v38, v1, v0 :: v_dual_max_num_f32 v0, v1, v0
	s_delay_alu instid0(VALU_DEP_1) | instskip(NEXT) | instid1(VALU_DEP_1)
	v_cndmask_b32_e32 v0, v0, v38, vcc_lo
                                        ; implicit-def: $vgpr38
	v_and_b32_e32 v1, 0x7f800000, v0
	s_delay_alu instid0(VALU_DEP_1) | instskip(SKIP_1) | instid1(SALU_CYCLE_1)
	v_cmp_ne_u32_e64 s10, 0x7f800000, v1
	s_and_saveexec_b32 s14, s10
	s_xor_b32 s10, exec_lo, s14
; %bb.184:                              ;   in Loop: Header=BB12_130 Depth=2
	v_bfe_u32 v1, v0, 16, 1
	s_delay_alu instid0(VALU_DEP_1)
	v_add3_u32 v38, v0, v1, 0x7fff
                                        ; implicit-def: $vgpr0
; %bb.185:                              ;   in Loop: Header=BB12_130 Depth=2
	s_and_not1_saveexec_b32 s14, s10
; %bb.186:                              ;   in Loop: Header=BB12_130 Depth=2
	v_and_b32_e32 v1, 0xffff, v0
	v_or_b32_e32 v38, 0x10000, v0
	s_delay_alu instid0(VALU_DEP_2) | instskip(NEXT) | instid1(VALU_DEP_1)
	v_cmp_eq_u32_e64 s10, 0, v1
	v_cndmask_b32_e64 v38, v38, v0, s10
; %bb.187:                              ;   in Loop: Header=BB12_130 Depth=2
	s_or_b32 exec_lo, exec_lo, s14
	v_dual_lshlrev_b32 v0, 16, v25 :: v_dual_lshlrev_b32 v1, 16, v39
                                        ; implicit-def: $vgpr62
	s_delay_alu instid0(VALU_DEP_1) | instskip(NEXT) | instid1(VALU_DEP_1)
	v_dual_max_num_f32 v0, v0, v0 :: v_dual_max_num_f32 v1, v1, v1
	v_dual_min_num_f32 v116, v1, v0 :: v_dual_max_num_f32 v0, v1, v0
	s_delay_alu instid0(VALU_DEP_1) | instskip(NEXT) | instid1(VALU_DEP_1)
	v_cndmask_b32_e32 v0, v0, v116, vcc_lo
	v_and_b32_e32 v1, 0x7f800000, v0
	s_delay_alu instid0(VALU_DEP_1) | instskip(SKIP_1) | instid1(SALU_CYCLE_1)
	v_cmp_ne_u32_e64 s10, 0x7f800000, v1
	s_and_saveexec_b32 s14, s10
	s_xor_b32 s10, exec_lo, s14
; %bb.188:                              ;   in Loop: Header=BB12_130 Depth=2
	v_bfe_u32 v1, v0, 16, 1
	s_delay_alu instid0(VALU_DEP_1)
	v_add3_u32 v62, v0, v1, 0x7fff
                                        ; implicit-def: $vgpr0
; %bb.189:                              ;   in Loop: Header=BB12_130 Depth=2
	s_and_not1_saveexec_b32 s14, s10
; %bb.190:                              ;   in Loop: Header=BB12_130 Depth=2
	v_and_b32_e32 v1, 0xffff, v0
	v_or_b32_e32 v116, 0x10000, v0
	s_delay_alu instid0(VALU_DEP_2) | instskip(NEXT) | instid1(VALU_DEP_1)
	v_cmp_eq_u32_e64 s10, 0, v1
	v_cndmask_b32_e64 v62, v116, v0, s10
; %bb.191:                              ;   in Loop: Header=BB12_130 Depth=2
	s_or_b32 exec_lo, exec_lo, s14
	v_and_b32_e32 v0, 0xffff0000, v25
	v_and_b32_e32 v1, 0xffff0000, v39
	s_delay_alu instid0(VALU_DEP_1) | instskip(NEXT) | instid1(VALU_DEP_1)
	v_dual_max_num_f32 v0, v0, v0 :: v_dual_max_num_f32 v1, v1, v1
	v_dual_min_num_f32 v39, v1, v0 :: v_dual_max_num_f32 v0, v1, v0
	s_delay_alu instid0(VALU_DEP_1) | instskip(NEXT) | instid1(VALU_DEP_1)
	v_cndmask_b32_e32 v0, v0, v39, vcc_lo
                                        ; implicit-def: $vgpr39
	v_and_b32_e32 v1, 0x7f800000, v0
	s_delay_alu instid0(VALU_DEP_1) | instskip(SKIP_1) | instid1(SALU_CYCLE_1)
	v_cmp_ne_u32_e64 s10, 0x7f800000, v1
	s_and_saveexec_b32 s14, s10
	s_xor_b32 s10, exec_lo, s14
; %bb.192:                              ;   in Loop: Header=BB12_130 Depth=2
	v_bfe_u32 v1, v0, 16, 1
	s_delay_alu instid0(VALU_DEP_1)
	v_add3_u32 v39, v0, v1, 0x7fff
                                        ; implicit-def: $vgpr0
; %bb.193:                              ;   in Loop: Header=BB12_130 Depth=2
	s_and_not1_saveexec_b32 s14, s10
; %bb.194:                              ;   in Loop: Header=BB12_130 Depth=2
	v_and_b32_e32 v1, 0xffff, v0
	v_or_b32_e32 v39, 0x10000, v0
	s_delay_alu instid0(VALU_DEP_2) | instskip(NEXT) | instid1(VALU_DEP_1)
	v_cmp_eq_u32_e64 s10, 0, v1
	v_cndmask_b32_e64 v39, v39, v0, s10
; %bb.195:                              ;   in Loop: Header=BB12_130 Depth=2
	s_or_b32 exec_lo, exec_lo, s14
	v_lshlrev_b32_e32 v1, 16, v26
	v_lshlrev_b32_e32 v0, 16, v18
                                        ; implicit-def: $vgpr118
	s_delay_alu instid0(VALU_DEP_1) | instskip(NEXT) | instid1(VALU_DEP_1)
	v_dual_max_num_f32 v1, v1, v1 :: v_dual_max_num_f32 v0, v0, v0
	v_dual_min_num_f32 v116, v1, v0 :: v_dual_max_num_f32 v0, v1, v0
	s_delay_alu instid0(VALU_DEP_1) | instskip(NEXT) | instid1(VALU_DEP_1)
	v_cndmask_b32_e32 v0, v0, v116, vcc_lo
	v_and_b32_e32 v1, 0x7f800000, v0
	s_delay_alu instid0(VALU_DEP_1) | instskip(SKIP_1) | instid1(SALU_CYCLE_1)
	v_cmp_ne_u32_e64 s10, 0x7f800000, v1
	s_and_saveexec_b32 s14, s10
	s_xor_b32 s10, exec_lo, s14
; %bb.196:                              ;   in Loop: Header=BB12_130 Depth=2
	v_bfe_u32 v1, v0, 16, 1
	s_delay_alu instid0(VALU_DEP_1)
	v_add3_u32 v118, v0, v1, 0x7fff
                                        ; implicit-def: $vgpr0
; %bb.197:                              ;   in Loop: Header=BB12_130 Depth=2
	s_and_not1_saveexec_b32 s14, s10
; %bb.198:                              ;   in Loop: Header=BB12_130 Depth=2
	v_and_b32_e32 v1, 0xffff, v0
	v_or_b32_e32 v116, 0x10000, v0
	s_delay_alu instid0(VALU_DEP_2) | instskip(NEXT) | instid1(VALU_DEP_1)
	v_cmp_eq_u32_e64 s10, 0, v1
	v_cndmask_b32_e64 v118, v116, v0, s10
; %bb.199:                              ;   in Loop: Header=BB12_130 Depth=2
	s_or_b32 exec_lo, exec_lo, s14
	v_and_b32_e32 v0, 0xffff0000, v18
	v_and_b32_e32 v1, 0xffff0000, v26
	s_delay_alu instid0(VALU_DEP_1) | instskip(NEXT) | instid1(VALU_DEP_1)
	v_dual_max_num_f32 v0, v0, v0 :: v_dual_max_num_f32 v1, v1, v1
	v_dual_min_num_f32 v26, v1, v0 :: v_dual_max_num_f32 v0, v1, v0
	s_delay_alu instid0(VALU_DEP_1) | instskip(NEXT) | instid1(VALU_DEP_1)
	v_cndmask_b32_e32 v0, v0, v26, vcc_lo
                                        ; implicit-def: $vgpr26
	v_and_b32_e32 v1, 0x7f800000, v0
	s_delay_alu instid0(VALU_DEP_1) | instskip(SKIP_1) | instid1(SALU_CYCLE_1)
	v_cmp_ne_u32_e64 s10, 0x7f800000, v1
	s_and_saveexec_b32 s14, s10
	s_xor_b32 s10, exec_lo, s14
; %bb.200:                              ;   in Loop: Header=BB12_130 Depth=2
	v_bfe_u32 v1, v0, 16, 1
	s_delay_alu instid0(VALU_DEP_1)
	v_add3_u32 v26, v0, v1, 0x7fff
                                        ; implicit-def: $vgpr0
; %bb.201:                              ;   in Loop: Header=BB12_130 Depth=2
	s_and_not1_saveexec_b32 s14, s10
; %bb.202:                              ;   in Loop: Header=BB12_130 Depth=2
	v_and_b32_e32 v1, 0xffff, v0
	v_or_b32_e32 v26, 0x10000, v0
	s_delay_alu instid0(VALU_DEP_2) | instskip(NEXT) | instid1(VALU_DEP_1)
	v_cmp_eq_u32_e64 s10, 0, v1
	v_cndmask_b32_e64 v26, v26, v0, s10
; %bb.203:                              ;   in Loop: Header=BB12_130 Depth=2
	s_or_b32 exec_lo, exec_lo, s14
	v_lshlrev_b32_e32 v1, 16, v27
	s_delay_alu instid0(VALU_DEP_1) | instskip(NEXT) | instid1(VALU_DEP_1)
	v_dual_max_num_f32 v1, v1, v1 :: v_dual_lshlrev_b32 v0, 16, v19
	v_max_num_f32_e32 v0, v0, v0
	s_delay_alu instid0(VALU_DEP_1) | instskip(NEXT) | instid1(VALU_DEP_1)
	v_dual_min_num_f32 v116, v1, v0 :: v_dual_max_num_f32 v0, v1, v0
	v_cndmask_b32_e32 v1, v0, v116, vcc_lo
	s_delay_alu instid0(VALU_DEP_1) | instskip(NEXT) | instid1(VALU_DEP_1)
	v_and_b32_e32 v0, 0x7f800000, v1
	v_cmp_ne_u32_e64 s10, 0x7f800000, v0
                                        ; implicit-def: $vgpr0
	s_and_saveexec_b32 s14, s10
	s_delay_alu instid0(SALU_CYCLE_1)
	s_xor_b32 s10, exec_lo, s14
; %bb.204:                              ;   in Loop: Header=BB12_130 Depth=2
	v_bfe_u32 v0, v1, 16, 1
	s_delay_alu instid0(VALU_DEP_1)
	v_add3_u32 v0, v1, v0, 0x7fff
                                        ; implicit-def: $vgpr1
; %bb.205:                              ;   in Loop: Header=BB12_130 Depth=2
	s_and_not1_saveexec_b32 s14, s10
; %bb.206:                              ;   in Loop: Header=BB12_130 Depth=2
	v_and_b32_e32 v0, 0xffff, v1
	v_or_b32_e32 v116, 0x10000, v1
	s_delay_alu instid0(VALU_DEP_2) | instskip(NEXT) | instid1(VALU_DEP_1)
	v_cmp_eq_u32_e64 s10, 0, v0
	v_cndmask_b32_e64 v0, v116, v1, s10
; %bb.207:                              ;   in Loop: Header=BB12_130 Depth=2
	s_or_b32 exec_lo, exec_lo, s14
	v_and_b32_e32 v1, 0xffff0000, v19
	v_and_b32_e32 v27, 0xffff0000, v27
	s_delay_alu instid0(VALU_DEP_1) | instskip(NEXT) | instid1(VALU_DEP_1)
	v_dual_max_num_f32 v1, v1, v1 :: v_dual_max_num_f32 v27, v27, v27
	v_dual_min_num_f32 v116, v27, v1 :: v_dual_max_num_f32 v1, v27, v1
	s_delay_alu instid0(VALU_DEP_1) | instskip(NEXT) | instid1(VALU_DEP_1)
	v_cndmask_b32_e32 v27, v1, v116, vcc_lo
	v_and_b32_e32 v1, 0x7f800000, v27
	s_delay_alu instid0(VALU_DEP_1) | instskip(SKIP_1) | instid1(SALU_CYCLE_1)
	v_cmp_ne_u32_e64 s10, 0x7f800000, v1
                                        ; implicit-def: $vgpr1
	s_and_saveexec_b32 s14, s10
	s_xor_b32 s10, exec_lo, s14
; %bb.208:                              ;   in Loop: Header=BB12_130 Depth=2
	v_bfe_u32 v1, v27, 16, 1
	s_delay_alu instid0(VALU_DEP_1)
	v_add3_u32 v1, v27, v1, 0x7fff
                                        ; implicit-def: $vgpr27
; %bb.209:                              ;   in Loop: Header=BB12_130 Depth=2
	s_and_not1_saveexec_b32 s14, s10
; %bb.210:                              ;   in Loop: Header=BB12_130 Depth=2
	v_and_b32_e32 v1, 0xffff, v27
	v_or_b32_e32 v116, 0x10000, v27
	s_delay_alu instid0(VALU_DEP_2) | instskip(NEXT) | instid1(VALU_DEP_1)
	v_cmp_eq_u32_e64 s10, 0, v1
	v_cndmask_b32_e64 v1, v116, v27, s10
; %bb.211:                              ;   in Loop: Header=BB12_130 Depth=2
	s_or_b32 exec_lo, exec_lo, s14
	v_lshlrev_b32_e32 v27, 16, v20
	s_delay_alu instid0(VALU_DEP_1) | instskip(NEXT) | instid1(VALU_DEP_1)
	v_dual_max_num_f32 v27, v27, v27 :: v_dual_lshlrev_b32 v116, 16, v28
	v_max_num_f32_e32 v116, v116, v116
	s_delay_alu instid0(VALU_DEP_1) | instskip(NEXT) | instid1(VALU_DEP_1)
	v_dual_min_num_f32 v117, v116, v27 :: v_dual_max_num_f32 v27, v116, v27
	v_cndmask_b32_e32 v116, v27, v117, vcc_lo
	s_delay_alu instid0(VALU_DEP_1) | instskip(NEXT) | instid1(VALU_DEP_1)
	v_and_b32_e32 v27, 0x7f800000, v116
	v_cmp_ne_u32_e64 s10, 0x7f800000, v27
                                        ; implicit-def: $vgpr27
	s_and_saveexec_b32 s14, s10
	s_delay_alu instid0(SALU_CYCLE_1)
	s_xor_b32 s10, exec_lo, s14
; %bb.212:                              ;   in Loop: Header=BB12_130 Depth=2
	v_bfe_u32 v27, v116, 16, 1
	s_delay_alu instid0(VALU_DEP_1)
	v_add3_u32 v27, v116, v27, 0x7fff
                                        ; implicit-def: $vgpr116
; %bb.213:                              ;   in Loop: Header=BB12_130 Depth=2
	s_and_not1_saveexec_b32 s14, s10
; %bb.214:                              ;   in Loop: Header=BB12_130 Depth=2
	v_and_b32_e32 v27, 0xffff, v116
	v_or_b32_e32 v117, 0x10000, v116
	s_delay_alu instid0(VALU_DEP_2) | instskip(NEXT) | instid1(VALU_DEP_1)
	v_cmp_eq_u32_e64 s10, 0, v27
	v_cndmask_b32_e64 v27, v117, v116, s10
; %bb.215:                              ;   in Loop: Header=BB12_130 Depth=2
	s_or_b32 exec_lo, exec_lo, s14
	v_and_b32_e32 v116, 0xffff0000, v20
	v_and_b32_e32 v28, 0xffff0000, v28
	s_delay_alu instid0(VALU_DEP_2) | instskip(NEXT) | instid1(VALU_DEP_2)
	v_max_num_f32_e32 v116, v116, v116
	v_max_num_f32_e32 v28, v28, v28
	s_delay_alu instid0(VALU_DEP_1) | instskip(NEXT) | instid1(VALU_DEP_1)
	v_dual_min_num_f32 v117, v28, v116 :: v_dual_max_num_f32 v28, v28, v116
	v_cndmask_b32_e32 v116, v28, v117, vcc_lo
	s_delay_alu instid0(VALU_DEP_1) | instskip(NEXT) | instid1(VALU_DEP_1)
	v_and_b32_e32 v28, 0x7f800000, v116
	v_cmp_ne_u32_e64 s10, 0x7f800000, v28
                                        ; implicit-def: $vgpr28
	s_and_saveexec_b32 s14, s10
	s_delay_alu instid0(SALU_CYCLE_1)
	s_xor_b32 s10, exec_lo, s14
; %bb.216:                              ;   in Loop: Header=BB12_130 Depth=2
	v_bfe_u32 v28, v116, 16, 1
	s_delay_alu instid0(VALU_DEP_1)
	v_add3_u32 v28, v116, v28, 0x7fff
                                        ; implicit-def: $vgpr116
; %bb.217:                              ;   in Loop: Header=BB12_130 Depth=2
	s_and_not1_saveexec_b32 s14, s10
; %bb.218:                              ;   in Loop: Header=BB12_130 Depth=2
	v_and_b32_e32 v28, 0xffff, v116
	v_or_b32_e32 v117, 0x10000, v116
	s_delay_alu instid0(VALU_DEP_2) | instskip(NEXT) | instid1(VALU_DEP_1)
	v_cmp_eq_u32_e64 s10, 0, v28
	v_cndmask_b32_e64 v28, v117, v116, s10
; %bb.219:                              ;   in Loop: Header=BB12_130 Depth=2
	s_or_b32 exec_lo, exec_lo, s14
	v_lshlrev_b32_e32 v116, 16, v21
	s_delay_alu instid0(VALU_DEP_1) | instskip(NEXT) | instid1(VALU_DEP_1)
	v_dual_max_num_f32 v116, v116, v116 :: v_dual_lshlrev_b32 v117, 16, v29
	v_max_num_f32_e32 v117, v117, v117
	s_delay_alu instid0(VALU_DEP_1) | instskip(NEXT) | instid1(VALU_DEP_1)
	v_dual_min_num_f32 v44, v117, v116 :: v_dual_max_num_f32 v116, v117, v116
	v_cndmask_b32_e32 v116, v116, v44, vcc_lo
                                        ; implicit-def: $vgpr44
	s_delay_alu instid0(VALU_DEP_1) | instskip(NEXT) | instid1(VALU_DEP_1)
	v_and_b32_e32 v117, 0x7f800000, v116
	v_cmp_ne_u32_e64 s10, 0x7f800000, v117
	s_and_saveexec_b32 s14, s10
	s_delay_alu instid0(SALU_CYCLE_1)
	s_xor_b32 s10, exec_lo, s14
; %bb.220:                              ;   in Loop: Header=BB12_130 Depth=2
	v_bfe_u32 v117, v116, 16, 1
	s_delay_alu instid0(VALU_DEP_1)
	v_add3_u32 v44, v116, v117, 0x7fff
                                        ; implicit-def: $vgpr116
; %bb.221:                              ;   in Loop: Header=BB12_130 Depth=2
	s_and_not1_saveexec_b32 s14, s10
; %bb.222:                              ;   in Loop: Header=BB12_130 Depth=2
	v_and_b32_e32 v117, 0xffff, v116
	v_or_b32_e32 v44, 0x10000, v116
	s_delay_alu instid0(VALU_DEP_2) | instskip(NEXT) | instid1(VALU_DEP_1)
	v_cmp_eq_u32_e64 s10, 0, v117
	v_cndmask_b32_e64 v44, v44, v116, s10
; %bb.223:                              ;   in Loop: Header=BB12_130 Depth=2
	s_or_b32 exec_lo, exec_lo, s14
	v_and_b32_e32 v116, 0xffff0000, v21
	v_and_b32_e32 v29, 0xffff0000, v29
	s_delay_alu instid0(VALU_DEP_1) | instskip(NEXT) | instid1(VALU_DEP_1)
	v_dual_max_num_f32 v116, v116, v116 :: v_dual_max_num_f32 v29, v29, v29
	v_dual_min_num_f32 v117, v29, v116 :: v_dual_max_num_f32 v29, v29, v116
	s_delay_alu instid0(VALU_DEP_1) | instskip(NEXT) | instid1(VALU_DEP_1)
	v_cndmask_b32_e32 v116, v29, v117, vcc_lo
	v_and_b32_e32 v29, 0x7f800000, v116
	s_delay_alu instid0(VALU_DEP_1) | instskip(SKIP_1) | instid1(SALU_CYCLE_1)
	v_cmp_ne_u32_e64 s10, 0x7f800000, v29
                                        ; implicit-def: $vgpr29
	s_and_saveexec_b32 s14, s10
	s_xor_b32 s10, exec_lo, s14
; %bb.224:                              ;   in Loop: Header=BB12_130 Depth=2
	v_bfe_u32 v29, v116, 16, 1
	s_delay_alu instid0(VALU_DEP_1)
	v_add3_u32 v29, v116, v29, 0x7fff
                                        ; implicit-def: $vgpr116
; %bb.225:                              ;   in Loop: Header=BB12_130 Depth=2
	s_and_not1_saveexec_b32 s14, s10
; %bb.226:                              ;   in Loop: Header=BB12_130 Depth=2
	v_and_b32_e32 v29, 0xffff, v116
	v_or_b32_e32 v117, 0x10000, v116
	s_delay_alu instid0(VALU_DEP_2) | instskip(NEXT) | instid1(VALU_DEP_1)
	v_cmp_eq_u32_e64 s10, 0, v29
	v_cndmask_b32_e64 v29, v117, v116, s10
; %bb.227:                              ;   in Loop: Header=BB12_130 Depth=2
	s_or_b32 exec_lo, exec_lo, s14
	v_lshlrev_b32_e32 v117, 16, v14
	s_delay_alu instid0(VALU_DEP_1) | instskip(NEXT) | instid1(VALU_DEP_1)
	v_dual_max_num_f32 v117, v117, v117 :: v_dual_lshlrev_b32 v116, 16, v10
	v_max_num_f32_e32 v116, v116, v116
	s_delay_alu instid0(VALU_DEP_1) | instskip(NEXT) | instid1(VALU_DEP_1)
	v_dual_min_num_f32 v45, v117, v116 :: v_dual_max_num_f32 v116, v117, v116
	v_cndmask_b32_e32 v116, v116, v45, vcc_lo
                                        ; implicit-def: $vgpr45
	s_delay_alu instid0(VALU_DEP_1) | instskip(NEXT) | instid1(VALU_DEP_1)
	v_and_b32_e32 v117, 0x7f800000, v116
	v_cmp_ne_u32_e64 s10, 0x7f800000, v117
	s_and_saveexec_b32 s14, s10
	s_delay_alu instid0(SALU_CYCLE_1)
	s_xor_b32 s10, exec_lo, s14
; %bb.228:                              ;   in Loop: Header=BB12_130 Depth=2
	v_bfe_u32 v117, v116, 16, 1
	s_delay_alu instid0(VALU_DEP_1)
	v_add3_u32 v45, v116, v117, 0x7fff
                                        ; implicit-def: $vgpr116
; %bb.229:                              ;   in Loop: Header=BB12_130 Depth=2
	s_and_not1_saveexec_b32 s14, s10
; %bb.230:                              ;   in Loop: Header=BB12_130 Depth=2
	v_and_b32_e32 v117, 0xffff, v116
	v_or_b32_e32 v45, 0x10000, v116
	s_delay_alu instid0(VALU_DEP_2) | instskip(NEXT) | instid1(VALU_DEP_1)
	v_cmp_eq_u32_e64 s10, 0, v117
	v_cndmask_b32_e64 v45, v45, v116, s10
; %bb.231:                              ;   in Loop: Header=BB12_130 Depth=2
	s_or_b32 exec_lo, exec_lo, s14
	v_and_b32_e32 v116, 0xffff0000, v10
	v_and_b32_e32 v14, 0xffff0000, v14
	s_delay_alu instid0(VALU_DEP_1) | instskip(NEXT) | instid1(VALU_DEP_1)
	v_dual_max_num_f32 v116, v116, v116 :: v_dual_max_num_f32 v14, v14, v14
	v_dual_min_num_f32 v117, v14, v116 :: v_dual_max_num_f32 v14, v14, v116
	s_delay_alu instid0(VALU_DEP_1) | instskip(NEXT) | instid1(VALU_DEP_1)
	v_cndmask_b32_e32 v116, v14, v117, vcc_lo
	v_and_b32_e32 v14, 0x7f800000, v116
	s_delay_alu instid0(VALU_DEP_1) | instskip(SKIP_1) | instid1(SALU_CYCLE_1)
	v_cmp_ne_u32_e64 s10, 0x7f800000, v14
                                        ; implicit-def: $vgpr14
	s_and_saveexec_b32 s14, s10
	s_xor_b32 s10, exec_lo, s14
; %bb.232:                              ;   in Loop: Header=BB12_130 Depth=2
	v_bfe_u32 v14, v116, 16, 1
	s_delay_alu instid0(VALU_DEP_1)
	v_add3_u32 v14, v116, v14, 0x7fff
                                        ; implicit-def: $vgpr116
; %bb.233:                              ;   in Loop: Header=BB12_130 Depth=2
	s_and_not1_saveexec_b32 s14, s10
; %bb.234:                              ;   in Loop: Header=BB12_130 Depth=2
	v_and_b32_e32 v14, 0xffff, v116
	v_or_b32_e32 v117, 0x10000, v116
	s_delay_alu instid0(VALU_DEP_2) | instskip(NEXT) | instid1(VALU_DEP_1)
	v_cmp_eq_u32_e64 s10, 0, v14
	v_cndmask_b32_e64 v14, v117, v116, s10
; %bb.235:                              ;   in Loop: Header=BB12_130 Depth=2
	s_or_b32 exec_lo, exec_lo, s14
	v_lshlrev_b32_e32 v117, 16, v15
	s_delay_alu instid0(VALU_DEP_1) | instskip(NEXT) | instid1(VALU_DEP_1)
	v_dual_max_num_f32 v117, v117, v117 :: v_dual_lshlrev_b32 v116, 16, v11
	v_max_num_f32_e32 v116, v116, v116
	s_delay_alu instid0(VALU_DEP_1) | instskip(NEXT) | instid1(VALU_DEP_1)
	v_dual_min_num_f32 v104, v117, v116 :: v_dual_max_num_f32 v116, v117, v116
	v_cndmask_b32_e32 v117, v116, v104, vcc_lo
	s_delay_alu instid0(VALU_DEP_1) | instskip(NEXT) | instid1(VALU_DEP_1)
	v_and_b32_e32 v116, 0x7f800000, v117
	v_cmp_ne_u32_e64 s10, 0x7f800000, v116
                                        ; implicit-def: $vgpr116
	s_and_saveexec_b32 s14, s10
	s_delay_alu instid0(SALU_CYCLE_1)
	s_xor_b32 s10, exec_lo, s14
; %bb.236:                              ;   in Loop: Header=BB12_130 Depth=2
	v_bfe_u32 v116, v117, 16, 1
	s_delay_alu instid0(VALU_DEP_1)
	v_add3_u32 v116, v117, v116, 0x7fff
                                        ; implicit-def: $vgpr117
; %bb.237:                              ;   in Loop: Header=BB12_130 Depth=2
	s_and_not1_saveexec_b32 s14, s10
; %bb.238:                              ;   in Loop: Header=BB12_130 Depth=2
	v_and_b32_e32 v116, 0xffff, v117
	v_or_b32_e32 v104, 0x10000, v117
	s_delay_alu instid0(VALU_DEP_2) | instskip(NEXT) | instid1(VALU_DEP_1)
	v_cmp_eq_u32_e64 s10, 0, v116
	v_cndmask_b32_e64 v116, v104, v117, s10
; %bb.239:                              ;   in Loop: Header=BB12_130 Depth=2
	s_or_b32 exec_lo, exec_lo, s14
	v_and_b32_e32 v117, 0xffff0000, v11
	v_and_b32_e32 v15, 0xffff0000, v15
	s_delay_alu instid0(VALU_DEP_1) | instskip(NEXT) | instid1(VALU_DEP_1)
	v_dual_max_num_f32 v117, v117, v117 :: v_dual_max_num_f32 v15, v15, v15
	v_dual_min_num_f32 v104, v15, v117 :: v_dual_max_num_f32 v15, v15, v117
	s_delay_alu instid0(VALU_DEP_1) | instskip(NEXT) | instid1(VALU_DEP_1)
	v_cndmask_b32_e32 v117, v15, v104, vcc_lo
	v_and_b32_e32 v15, 0x7f800000, v117
	s_delay_alu instid0(VALU_DEP_1) | instskip(SKIP_1) | instid1(SALU_CYCLE_1)
	v_cmp_ne_u32_e64 s10, 0x7f800000, v15
                                        ; implicit-def: $vgpr15
	s_and_saveexec_b32 s14, s10
	s_xor_b32 s10, exec_lo, s14
; %bb.240:                              ;   in Loop: Header=BB12_130 Depth=2
	v_bfe_u32 v15, v117, 16, 1
	s_delay_alu instid0(VALU_DEP_1)
	v_add3_u32 v15, v117, v15, 0x7fff
                                        ; implicit-def: $vgpr117
; %bb.241:                              ;   in Loop: Header=BB12_130 Depth=2
	s_and_not1_saveexec_b32 s14, s10
; %bb.242:                              ;   in Loop: Header=BB12_130 Depth=2
	v_and_b32_e32 v15, 0xffff, v117
	v_or_b32_e32 v104, 0x10000, v117
	s_delay_alu instid0(VALU_DEP_2) | instskip(NEXT) | instid1(VALU_DEP_1)
	v_cmp_eq_u32_e64 s10, 0, v15
	v_cndmask_b32_e64 v15, v104, v117, s10
; %bb.243:                              ;   in Loop: Header=BB12_130 Depth=2
	s_or_b32 exec_lo, exec_lo, s14
	v_lshlrev_b32_e32 v117, 16, v12
	s_delay_alu instid0(VALU_DEP_1) | instskip(NEXT) | instid1(VALU_DEP_1)
	v_dual_max_num_f32 v117, v117, v117 :: v_dual_lshlrev_b32 v104, 16, v16
	v_max_num_f32_e32 v104, v104, v104
	s_delay_alu instid0(VALU_DEP_1) | instskip(NEXT) | instid1(VALU_DEP_1)
	v_dual_min_num_f32 v105, v104, v117 :: v_dual_max_num_f32 v117, v104, v117
	v_cndmask_b32_e32 v104, v117, v105, vcc_lo
	s_delay_alu instid0(VALU_DEP_1) | instskip(NEXT) | instid1(VALU_DEP_1)
	v_and_b32_e32 v117, 0x7f800000, v104
	v_cmp_ne_u32_e64 s10, 0x7f800000, v117
                                        ; implicit-def: $vgpr117
	s_and_saveexec_b32 s14, s10
	s_delay_alu instid0(SALU_CYCLE_1)
	s_xor_b32 s10, exec_lo, s14
; %bb.244:                              ;   in Loop: Header=BB12_130 Depth=2
	v_bfe_u32 v117, v104, 16, 1
	s_delay_alu instid0(VALU_DEP_1)
	v_add3_u32 v117, v104, v117, 0x7fff
                                        ; implicit-def: $vgpr104
; %bb.245:                              ;   in Loop: Header=BB12_130 Depth=2
	s_and_not1_saveexec_b32 s14, s10
; %bb.246:                              ;   in Loop: Header=BB12_130 Depth=2
	v_and_b32_e32 v117, 0xffff, v104
	v_or_b32_e32 v105, 0x10000, v104
	s_delay_alu instid0(VALU_DEP_2) | instskip(NEXT) | instid1(VALU_DEP_1)
	v_cmp_eq_u32_e64 s10, 0, v117
	v_cndmask_b32_e64 v117, v105, v104, s10
; %bb.247:                              ;   in Loop: Header=BB12_130 Depth=2
	s_or_b32 exec_lo, exec_lo, s14
	v_and_b32_e32 v104, 0xffff0000, v12
	v_and_b32_e32 v16, 0xffff0000, v16
	s_delay_alu instid0(VALU_DEP_2) | instskip(NEXT) | instid1(VALU_DEP_2)
	v_max_num_f32_e32 v104, v104, v104
	v_max_num_f32_e32 v16, v16, v16
	s_delay_alu instid0(VALU_DEP_1) | instskip(NEXT) | instid1(VALU_DEP_1)
	v_dual_min_num_f32 v105, v16, v104 :: v_dual_max_num_f32 v16, v16, v104
	v_cndmask_b32_e32 v104, v16, v105, vcc_lo
	s_delay_alu instid0(VALU_DEP_1) | instskip(NEXT) | instid1(VALU_DEP_1)
	v_and_b32_e32 v16, 0x7f800000, v104
	v_cmp_ne_u32_e64 s10, 0x7f800000, v16
                                        ; implicit-def: $vgpr16
	s_and_saveexec_b32 s14, s10
	s_delay_alu instid0(SALU_CYCLE_1)
	s_xor_b32 s10, exec_lo, s14
; %bb.248:                              ;   in Loop: Header=BB12_130 Depth=2
	v_bfe_u32 v16, v104, 16, 1
	s_delay_alu instid0(VALU_DEP_1)
	v_add3_u32 v16, v104, v16, 0x7fff
                                        ; implicit-def: $vgpr104
; %bb.249:                              ;   in Loop: Header=BB12_130 Depth=2
	s_and_not1_saveexec_b32 s14, s10
; %bb.250:                              ;   in Loop: Header=BB12_130 Depth=2
	v_and_b32_e32 v16, 0xffff, v104
	v_or_b32_e32 v105, 0x10000, v104
	s_delay_alu instid0(VALU_DEP_2) | instskip(NEXT) | instid1(VALU_DEP_1)
	v_cmp_eq_u32_e64 s10, 0, v16
	v_cndmask_b32_e64 v16, v105, v104, s10
; %bb.251:                              ;   in Loop: Header=BB12_130 Depth=2
	s_or_b32 exec_lo, exec_lo, s14
	v_lshlrev_b32_e32 v104, 16, v13
	s_delay_alu instid0(VALU_DEP_1) | instskip(NEXT) | instid1(VALU_DEP_1)
	v_dual_max_num_f32 v104, v104, v104 :: v_dual_lshlrev_b32 v105, 16, v17
	v_max_num_f32_e32 v105, v105, v105
	s_delay_alu instid0(VALU_DEP_1) | instskip(NEXT) | instid1(VALU_DEP_1)
	v_dual_min_num_f32 v91, v105, v104 :: v_dual_max_num_f32 v104, v105, v104
	v_cndmask_b32_e32 v105, v104, v91, vcc_lo
                                        ; implicit-def: $vgpr104
	s_delay_alu instid0(VALU_DEP_1) | instskip(NEXT) | instid1(VALU_DEP_1)
	v_and_b32_e32 v91, 0x7f800000, v105
	v_cmp_ne_u32_e64 s10, 0x7f800000, v91
	s_and_saveexec_b32 s14, s10
	s_delay_alu instid0(SALU_CYCLE_1)
	s_xor_b32 s10, exec_lo, s14
; %bb.252:                              ;   in Loop: Header=BB12_130 Depth=2
	v_bfe_u32 v91, v105, 16, 1
	s_delay_alu instid0(VALU_DEP_1)
	v_add3_u32 v104, v105, v91, 0x7fff
                                        ; implicit-def: $vgpr105
; %bb.253:                              ;   in Loop: Header=BB12_130 Depth=2
	s_and_not1_saveexec_b32 s14, s10
; %bb.254:                              ;   in Loop: Header=BB12_130 Depth=2
	v_and_b32_e32 v91, 0xffff, v105
	v_or_b32_e32 v104, 0x10000, v105
	s_delay_alu instid0(VALU_DEP_2) | instskip(NEXT) | instid1(VALU_DEP_1)
	v_cmp_eq_u32_e64 s10, 0, v91
	v_cndmask_b32_e64 v104, v104, v105, s10
; %bb.255:                              ;   in Loop: Header=BB12_130 Depth=2
	s_or_b32 exec_lo, exec_lo, s14
	v_and_b32_e32 v91, 0xffff0000, v13
	v_and_b32_e32 v17, 0xffff0000, v17
	s_delay_alu instid0(VALU_DEP_1) | instskip(NEXT) | instid1(VALU_DEP_1)
	v_dual_max_num_f32 v91, v91, v91 :: v_dual_max_num_f32 v17, v17, v17
	v_dual_min_num_f32 v105, v17, v91 :: v_dual_max_num_f32 v17, v17, v91
	s_delay_alu instid0(VALU_DEP_1) | instskip(NEXT) | instid1(VALU_DEP_1)
	v_cndmask_b32_e32 v105, v17, v105, vcc_lo
	v_and_b32_e32 v17, 0x7f800000, v105
	s_delay_alu instid0(VALU_DEP_1) | instskip(SKIP_1) | instid1(SALU_CYCLE_1)
	v_cmp_ne_u32_e64 s10, 0x7f800000, v17
                                        ; implicit-def: $vgpr17
	s_and_saveexec_b32 s14, s10
	s_xor_b32 s10, exec_lo, s14
; %bb.256:                              ;   in Loop: Header=BB12_130 Depth=2
	v_bfe_u32 v17, v105, 16, 1
	s_delay_alu instid0(VALU_DEP_1)
	v_add3_u32 v17, v105, v17, 0x7fff
                                        ; implicit-def: $vgpr105
; %bb.257:                              ;   in Loop: Header=BB12_130 Depth=2
	s_and_not1_saveexec_b32 s14, s10
; %bb.258:                              ;   in Loop: Header=BB12_130 Depth=2
	v_and_b32_e32 v17, 0xffff, v105
	v_or_b32_e32 v91, 0x10000, v105
	s_delay_alu instid0(VALU_DEP_2) | instskip(NEXT) | instid1(VALU_DEP_1)
	v_cmp_eq_u32_e64 s10, 0, v17
	v_cndmask_b32_e64 v17, v91, v105, s10
; %bb.259:                              ;   in Loop: Header=BB12_130 Depth=2
	s_or_b32 exec_lo, exec_lo, s14
	v_dual_lshrrev_b32 v0, 16, v0 :: v_dual_lshrrev_b32 v118, 16, v118
	v_dual_lshrrev_b32 v91, 16, v27 :: v_dual_lshrrev_b32 v44, 16, v44
	v_lshrrev_b32_e32 v61, 16, v61
	s_delay_alu instid0(VALU_DEP_3) | instskip(SKIP_4) | instid1(VALU_DEP_4)
	v_and_or_b32 v27, 0xffff0000, v1, v0
	v_lshrrev_b32_e32 v0, 16, v60
	v_dual_lshrrev_b32 v80, 16, v80 :: v_dual_lshrrev_b32 v30, 16, v30
	v_and_or_b32 v26, 0xffff0000, v26, v118
	v_lshrrev_b32_e32 v1, 16, v62
	v_and_or_b32 v36, 0xffff0000, v36, v0
	v_dual_lshrrev_b32 v0, 16, v119 :: v_dual_lshrrev_b32 v118, 16, v42
	v_and_or_b32 v81, 0xffff0000, v81, v80
	s_delay_alu instid0(VALU_DEP_4) | instskip(SKIP_1) | instid1(VALU_DEP_4)
	v_and_or_b32 v39, 0xffff0000, v39, v1
	v_and_or_b32 v80, 0xffff0000, v31, v30
	;; [unrolled: 1-line block ×3, first 2 shown]
	v_dual_lshrrev_b32 v0, 16, v43 :: v_dual_lshrrev_b32 v1, 16, v116
	v_lshrrev_b32_e32 v30, 16, v45
	v_dual_lshrrev_b32 v31, 16, v117 :: v_dual_lshrrev_b32 v116, 16, v104
	v_and_or_b32 v82, 0xffff0000, v82, v118
	s_delay_alu instid0(VALU_DEP_4)
	v_and_or_b32 v83, 0xffff0000, v83, v0
	v_and_or_b32 v37, 0xffff0000, v37, v61
	;; [unrolled: 1-line block ×8, first 2 shown]
	s_clause 0x3
	global_store_b128 v[122:123], v[80:83], off th:TH_STORE_NT
	global_store_b128 v[122:123], v[36:39], off offset:512 th:TH_STORE_NT
	global_store_b128 v[122:123], v[26:29], off offset:1024 th:TH_STORE_NT
	;; [unrolled: 1-line block ×3, first 2 shown]
	s_wait_xcnt 0x0
	v_add_nc_u64_e32 v[122:123], v[122:123], v[92:93]
.LBB12_260:                             ;   in Loop: Header=BB12_130 Depth=2
	s_or_b32 exec_lo, exec_lo, s15
	v_sub_nc_u32_e32 v30, v90, v72
	v_add_nc_u64_e32 v[124:125], v[124:125], v[92:93]
	v_add_nc_u64_e32 v[2:3], v[2:3], v[92:93]
	s_delay_alu instid0(VALU_DEP_3)
	v_cmp_lt_i32_e64 s14, 0, v30
	s_and_saveexec_b32 s10, s14
	s_cbranch_execz .LBB12_262
; %bb.261:                              ;   in Loop: Header=BB12_130 Depth=2
	s_clause 0x3
	global_load_b128 v[80:83], v[124:125], off th:TH_LOAD_NT
	global_load_b128 v[36:39], v[124:125], off offset:512 th:TH_LOAD_NT
	global_load_b128 v[26:29], v[124:125], off offset:1024 th:TH_LOAD_NT
	;; [unrolled: 1-line block ×3, first 2 shown]
	s_clause 0x3
	global_load_b128 v[32:35], v[2:3], off th:TH_LOAD_NT
	global_load_b128 v[22:25], v[2:3], off offset:512 th:TH_LOAD_NT
	global_load_b128 v[18:21], v[2:3], off offset:1024 th:TH_LOAD_NT
	;; [unrolled: 1-line block ×3, first 2 shown]
	s_wait_xcnt 0x4
	v_add_nc_u64_e32 v[124:125], 0x800, v[124:125]
	s_wait_xcnt 0x0
	v_add_nc_u64_e32 v[2:3], 0x800, v[2:3]
.LBB12_262:                             ;   in Loop: Header=BB12_130 Depth=2
	s_or_b32 exec_lo, exec_lo, s10
	s_wait_loadcnt 0x7
	v_lshlrev_b32_e32 v1, 16, v100
	s_wait_loadcnt 0x3
	s_delay_alu instid0(VALU_DEP_1) | instskip(NEXT) | instid1(VALU_DEP_1)
	v_dual_max_num_f32 v1, v1, v1 :: v_dual_lshlrev_b32 v0, 16, v112
	v_max_num_f32_e32 v0, v0, v0
	s_delay_alu instid0(VALU_DEP_1) | instskip(NEXT) | instid1(VALU_DEP_1)
	v_dual_min_num_f32 v31, v1, v0 :: v_dual_max_num_f32 v0, v1, v0
	v_cndmask_b32_e32 v0, v0, v31, vcc_lo
                                        ; implicit-def: $vgpr31
	s_delay_alu instid0(VALU_DEP_1) | instskip(NEXT) | instid1(VALU_DEP_1)
	v_and_b32_e32 v1, 0x7f800000, v0
	v_cmp_ne_u32_e64 s10, 0x7f800000, v1
	s_and_saveexec_b32 s15, s10
	s_delay_alu instid0(SALU_CYCLE_1)
	s_xor_b32 s10, exec_lo, s15
; %bb.263:                              ;   in Loop: Header=BB12_130 Depth=2
	v_bfe_u32 v1, v0, 16, 1
	s_delay_alu instid0(VALU_DEP_1)
	v_add3_u32 v31, v0, v1, 0x7fff
                                        ; implicit-def: $vgpr0
; %bb.264:                              ;   in Loop: Header=BB12_130 Depth=2
	s_and_not1_saveexec_b32 s15, s10
; %bb.265:                              ;   in Loop: Header=BB12_130 Depth=2
	v_and_b32_e32 v1, 0xffff, v0
	v_or_b32_e32 v31, 0x10000, v0
	s_delay_alu instid0(VALU_DEP_2) | instskip(NEXT) | instid1(VALU_DEP_1)
	v_cmp_eq_u32_e64 s10, 0, v1
	v_cndmask_b32_e64 v31, v31, v0, s10
; %bb.266:                              ;   in Loop: Header=BB12_130 Depth=2
	s_or_b32 exec_lo, exec_lo, s15
	v_and_b32_e32 v0, 0xffff0000, v112
	v_and_b32_e32 v1, 0xffff0000, v100
	s_delay_alu instid0(VALU_DEP_1) | instskip(NEXT) | instid1(VALU_DEP_1)
	v_dual_max_num_f32 v0, v0, v0 :: v_dual_max_num_f32 v1, v1, v1
	v_dual_min_num_f32 v100, v1, v0 :: v_dual_max_num_f32 v0, v1, v0
	s_delay_alu instid0(VALU_DEP_1) | instskip(NEXT) | instid1(VALU_DEP_1)
	v_cndmask_b32_e32 v0, v0, v100, vcc_lo
                                        ; implicit-def: $vgpr100
	v_and_b32_e32 v1, 0x7f800000, v0
	s_delay_alu instid0(VALU_DEP_1) | instskip(SKIP_1) | instid1(SALU_CYCLE_1)
	v_cmp_ne_u32_e64 s10, 0x7f800000, v1
	s_and_saveexec_b32 s15, s10
	s_xor_b32 s10, exec_lo, s15
; %bb.267:                              ;   in Loop: Header=BB12_130 Depth=2
	v_bfe_u32 v1, v0, 16, 1
	s_delay_alu instid0(VALU_DEP_1)
	v_add3_u32 v100, v0, v1, 0x7fff
                                        ; implicit-def: $vgpr0
; %bb.268:                              ;   in Loop: Header=BB12_130 Depth=2
	s_and_not1_saveexec_b32 s15, s10
; %bb.269:                              ;   in Loop: Header=BB12_130 Depth=2
	v_and_b32_e32 v1, 0xffff, v0
	v_or_b32_e32 v100, 0x10000, v0
	s_delay_alu instid0(VALU_DEP_2) | instskip(NEXT) | instid1(VALU_DEP_1)
	v_cmp_eq_u32_e64 s10, 0, v1
	v_cndmask_b32_e64 v100, v100, v0, s10
; %bb.270:                              ;   in Loop: Header=BB12_130 Depth=2
	s_or_b32 exec_lo, exec_lo, s15
	v_lshlrev_b32_e32 v0, 16, v113
	s_delay_alu instid0(VALU_DEP_1) | instskip(NEXT) | instid1(VALU_DEP_1)
	v_dual_max_num_f32 v0, v0, v0 :: v_dual_lshlrev_b32 v1, 16, v101
	v_max_num_f32_e32 v1, v1, v1
	s_delay_alu instid0(VALU_DEP_1) | instskip(NEXT) | instid1(VALU_DEP_1)
	v_dual_min_num_f32 v112, v1, v0 :: v_dual_max_num_f32 v0, v1, v0
	v_cndmask_b32_e32 v0, v0, v112, vcc_lo
                                        ; implicit-def: $vgpr112
	s_delay_alu instid0(VALU_DEP_1) | instskip(NEXT) | instid1(VALU_DEP_1)
	v_and_b32_e32 v1, 0x7f800000, v0
	v_cmp_ne_u32_e64 s10, 0x7f800000, v1
	s_and_saveexec_b32 s15, s10
	s_delay_alu instid0(SALU_CYCLE_1)
	s_xor_b32 s10, exec_lo, s15
; %bb.271:                              ;   in Loop: Header=BB12_130 Depth=2
	v_bfe_u32 v1, v0, 16, 1
	s_delay_alu instid0(VALU_DEP_1)
	v_add3_u32 v112, v0, v1, 0x7fff
                                        ; implicit-def: $vgpr0
; %bb.272:                              ;   in Loop: Header=BB12_130 Depth=2
	s_and_not1_saveexec_b32 s15, s10
; %bb.273:                              ;   in Loop: Header=BB12_130 Depth=2
	v_and_b32_e32 v1, 0xffff, v0
	v_or_b32_e32 v112, 0x10000, v0
	s_delay_alu instid0(VALU_DEP_2) | instskip(NEXT) | instid1(VALU_DEP_1)
	v_cmp_eq_u32_e64 s10, 0, v1
	v_cndmask_b32_e64 v112, v112, v0, s10
; %bb.274:                              ;   in Loop: Header=BB12_130 Depth=2
	s_or_b32 exec_lo, exec_lo, s15
	v_and_b32_e32 v0, 0xffff0000, v113
	v_and_b32_e32 v1, 0xffff0000, v101
	s_delay_alu instid0(VALU_DEP_1) | instskip(NEXT) | instid1(VALU_DEP_1)
	v_dual_max_num_f32 v0, v0, v0 :: v_dual_max_num_f32 v1, v1, v1
	v_dual_min_num_f32 v101, v1, v0 :: v_dual_max_num_f32 v0, v1, v0
	s_delay_alu instid0(VALU_DEP_1) | instskip(NEXT) | instid1(VALU_DEP_1)
	v_cndmask_b32_e32 v0, v0, v101, vcc_lo
                                        ; implicit-def: $vgpr101
	v_and_b32_e32 v1, 0x7f800000, v0
	s_delay_alu instid0(VALU_DEP_1) | instskip(SKIP_1) | instid1(SALU_CYCLE_1)
	v_cmp_ne_u32_e64 s10, 0x7f800000, v1
	s_and_saveexec_b32 s15, s10
	s_xor_b32 s10, exec_lo, s15
; %bb.275:                              ;   in Loop: Header=BB12_130 Depth=2
	v_bfe_u32 v1, v0, 16, 1
	s_delay_alu instid0(VALU_DEP_1)
	v_add3_u32 v101, v0, v1, 0x7fff
                                        ; implicit-def: $vgpr0
; %bb.276:                              ;   in Loop: Header=BB12_130 Depth=2
	s_and_not1_saveexec_b32 s15, s10
; %bb.277:                              ;   in Loop: Header=BB12_130 Depth=2
	v_and_b32_e32 v1, 0xffff, v0
	v_or_b32_e32 v101, 0x10000, v0
	s_delay_alu instid0(VALU_DEP_2) | instskip(NEXT) | instid1(VALU_DEP_1)
	v_cmp_eq_u32_e64 s10, 0, v1
	v_cndmask_b32_e64 v101, v101, v0, s10
; %bb.278:                              ;   in Loop: Header=BB12_130 Depth=2
	s_or_b32 exec_lo, exec_lo, s15
	v_lshlrev_b32_e32 v1, 16, v102
	s_delay_alu instid0(VALU_DEP_1) | instskip(NEXT) | instid1(VALU_DEP_1)
	v_dual_max_num_f32 v1, v1, v1 :: v_dual_lshlrev_b32 v0, 16, v114
	v_max_num_f32_e32 v0, v0, v0
	s_delay_alu instid0(VALU_DEP_1) | instskip(NEXT) | instid1(VALU_DEP_1)
	v_dual_min_num_f32 v113, v1, v0 :: v_dual_max_num_f32 v0, v1, v0
	v_cndmask_b32_e32 v0, v0, v113, vcc_lo
                                        ; implicit-def: $vgpr113
	s_delay_alu instid0(VALU_DEP_1) | instskip(NEXT) | instid1(VALU_DEP_1)
	v_and_b32_e32 v1, 0x7f800000, v0
	v_cmp_ne_u32_e64 s10, 0x7f800000, v1
	s_and_saveexec_b32 s15, s10
	s_delay_alu instid0(SALU_CYCLE_1)
	s_xor_b32 s10, exec_lo, s15
; %bb.279:                              ;   in Loop: Header=BB12_130 Depth=2
	v_bfe_u32 v1, v0, 16, 1
	s_delay_alu instid0(VALU_DEP_1)
	v_add3_u32 v113, v0, v1, 0x7fff
                                        ; implicit-def: $vgpr0
; %bb.280:                              ;   in Loop: Header=BB12_130 Depth=2
	s_and_not1_saveexec_b32 s15, s10
; %bb.281:                              ;   in Loop: Header=BB12_130 Depth=2
	v_and_b32_e32 v1, 0xffff, v0
	v_or_b32_e32 v113, 0x10000, v0
	s_delay_alu instid0(VALU_DEP_2) | instskip(NEXT) | instid1(VALU_DEP_1)
	v_cmp_eq_u32_e64 s10, 0, v1
	v_cndmask_b32_e64 v113, v113, v0, s10
; %bb.282:                              ;   in Loop: Header=BB12_130 Depth=2
	s_or_b32 exec_lo, exec_lo, s15
	v_and_b32_e32 v0, 0xffff0000, v114
	v_and_b32_e32 v1, 0xffff0000, v102
	s_delay_alu instid0(VALU_DEP_1) | instskip(NEXT) | instid1(VALU_DEP_1)
	v_dual_max_num_f32 v0, v0, v0 :: v_dual_max_num_f32 v1, v1, v1
	v_dual_min_num_f32 v102, v1, v0 :: v_dual_max_num_f32 v0, v1, v0
	s_delay_alu instid0(VALU_DEP_1) | instskip(NEXT) | instid1(VALU_DEP_1)
	v_cndmask_b32_e32 v0, v0, v102, vcc_lo
                                        ; implicit-def: $vgpr102
	v_and_b32_e32 v1, 0x7f800000, v0
	s_delay_alu instid0(VALU_DEP_1) | instskip(SKIP_1) | instid1(SALU_CYCLE_1)
	v_cmp_ne_u32_e64 s10, 0x7f800000, v1
	s_and_saveexec_b32 s15, s10
	s_xor_b32 s10, exec_lo, s15
; %bb.283:                              ;   in Loop: Header=BB12_130 Depth=2
	v_bfe_u32 v1, v0, 16, 1
	s_delay_alu instid0(VALU_DEP_1)
	v_add3_u32 v102, v0, v1, 0x7fff
                                        ; implicit-def: $vgpr0
; %bb.284:                              ;   in Loop: Header=BB12_130 Depth=2
	s_and_not1_saveexec_b32 s15, s10
; %bb.285:                              ;   in Loop: Header=BB12_130 Depth=2
	v_and_b32_e32 v1, 0xffff, v0
	v_or_b32_e32 v102, 0x10000, v0
	s_delay_alu instid0(VALU_DEP_2) | instskip(NEXT) | instid1(VALU_DEP_1)
	v_cmp_eq_u32_e64 s10, 0, v1
	v_cndmask_b32_e64 v102, v102, v0, s10
; %bb.286:                              ;   in Loop: Header=BB12_130 Depth=2
	s_or_b32 exec_lo, exec_lo, s15
	v_lshlrev_b32_e32 v1, 16, v103
	s_delay_alu instid0(VALU_DEP_1) | instskip(NEXT) | instid1(VALU_DEP_1)
	v_dual_max_num_f32 v1, v1, v1 :: v_dual_lshlrev_b32 v0, 16, v115
	v_max_num_f32_e32 v0, v0, v0
	s_delay_alu instid0(VALU_DEP_1) | instskip(NEXT) | instid1(VALU_DEP_1)
	v_dual_min_num_f32 v114, v1, v0 :: v_dual_max_num_f32 v0, v1, v0
	v_cndmask_b32_e32 v0, v0, v114, vcc_lo
                                        ; implicit-def: $vgpr114
	s_delay_alu instid0(VALU_DEP_1) | instskip(NEXT) | instid1(VALU_DEP_1)
	v_and_b32_e32 v1, 0x7f800000, v0
	v_cmp_ne_u32_e64 s10, 0x7f800000, v1
	s_and_saveexec_b32 s15, s10
	s_delay_alu instid0(SALU_CYCLE_1)
	s_xor_b32 s10, exec_lo, s15
; %bb.287:                              ;   in Loop: Header=BB12_130 Depth=2
	v_bfe_u32 v1, v0, 16, 1
	s_delay_alu instid0(VALU_DEP_1)
	v_add3_u32 v114, v0, v1, 0x7fff
                                        ; implicit-def: $vgpr0
; %bb.288:                              ;   in Loop: Header=BB12_130 Depth=2
	s_and_not1_saveexec_b32 s15, s10
; %bb.289:                              ;   in Loop: Header=BB12_130 Depth=2
	v_and_b32_e32 v1, 0xffff, v0
	v_or_b32_e32 v114, 0x10000, v0
	s_delay_alu instid0(VALU_DEP_2) | instskip(NEXT) | instid1(VALU_DEP_1)
	v_cmp_eq_u32_e64 s10, 0, v1
	v_cndmask_b32_e64 v114, v114, v0, s10
; %bb.290:                              ;   in Loop: Header=BB12_130 Depth=2
	s_or_b32 exec_lo, exec_lo, s15
	v_and_b32_e32 v0, 0xffff0000, v115
	v_and_b32_e32 v1, 0xffff0000, v103
	s_delay_alu instid0(VALU_DEP_1) | instskip(NEXT) | instid1(VALU_DEP_1)
	v_dual_max_num_f32 v0, v0, v0 :: v_dual_max_num_f32 v1, v1, v1
	v_dual_min_num_f32 v103, v1, v0 :: v_dual_max_num_f32 v0, v1, v0
	s_delay_alu instid0(VALU_DEP_1) | instskip(NEXT) | instid1(VALU_DEP_1)
	v_cndmask_b32_e32 v0, v0, v103, vcc_lo
                                        ; implicit-def: $vgpr103
	v_and_b32_e32 v1, 0x7f800000, v0
	s_delay_alu instid0(VALU_DEP_1) | instskip(SKIP_1) | instid1(SALU_CYCLE_1)
	v_cmp_ne_u32_e64 s10, 0x7f800000, v1
	s_and_saveexec_b32 s15, s10
	s_xor_b32 s10, exec_lo, s15
; %bb.291:                              ;   in Loop: Header=BB12_130 Depth=2
	v_bfe_u32 v1, v0, 16, 1
	s_delay_alu instid0(VALU_DEP_1)
	v_add3_u32 v103, v0, v1, 0x7fff
                                        ; implicit-def: $vgpr0
; %bb.292:                              ;   in Loop: Header=BB12_130 Depth=2
	s_and_not1_saveexec_b32 s15, s10
; %bb.293:                              ;   in Loop: Header=BB12_130 Depth=2
	v_and_b32_e32 v1, 0xffff, v0
	v_or_b32_e32 v103, 0x10000, v0
	s_delay_alu instid0(VALU_DEP_2) | instskip(NEXT) | instid1(VALU_DEP_1)
	v_cmp_eq_u32_e64 s10, 0, v1
	v_cndmask_b32_e64 v103, v103, v0, s10
; %bb.294:                              ;   in Loop: Header=BB12_130 Depth=2
	s_or_b32 exec_lo, exec_lo, s15
	v_lshlrev_b32_e32 v1, 16, v84
	s_wait_loadcnt 0x2
	s_delay_alu instid0(VALU_DEP_1) | instskip(NEXT) | instid1(VALU_DEP_1)
	v_dual_max_num_f32 v1, v1, v1 :: v_dual_lshlrev_b32 v0, 16, v96
	v_max_num_f32_e32 v0, v0, v0
	s_delay_alu instid0(VALU_DEP_1) | instskip(NEXT) | instid1(VALU_DEP_1)
	v_dual_min_num_f32 v115, v1, v0 :: v_dual_max_num_f32 v0, v1, v0
	v_cndmask_b32_e32 v0, v0, v115, vcc_lo
                                        ; implicit-def: $vgpr115
	s_delay_alu instid0(VALU_DEP_1) | instskip(NEXT) | instid1(VALU_DEP_1)
	v_and_b32_e32 v1, 0x7f800000, v0
	v_cmp_ne_u32_e64 s10, 0x7f800000, v1
	s_and_saveexec_b32 s15, s10
	s_delay_alu instid0(SALU_CYCLE_1)
	s_xor_b32 s10, exec_lo, s15
; %bb.295:                              ;   in Loop: Header=BB12_130 Depth=2
	v_bfe_u32 v1, v0, 16, 1
	s_delay_alu instid0(VALU_DEP_1)
	v_add3_u32 v115, v0, v1, 0x7fff
                                        ; implicit-def: $vgpr0
; %bb.296:                              ;   in Loop: Header=BB12_130 Depth=2
	s_and_not1_saveexec_b32 s15, s10
; %bb.297:                              ;   in Loop: Header=BB12_130 Depth=2
	v_and_b32_e32 v1, 0xffff, v0
	v_or_b32_e32 v115, 0x10000, v0
	s_delay_alu instid0(VALU_DEP_2) | instskip(NEXT) | instid1(VALU_DEP_1)
	v_cmp_eq_u32_e64 s10, 0, v1
	v_cndmask_b32_e64 v115, v115, v0, s10
; %bb.298:                              ;   in Loop: Header=BB12_130 Depth=2
	s_or_b32 exec_lo, exec_lo, s15
	v_and_b32_e32 v0, 0xffff0000, v96
	v_and_b32_e32 v1, 0xffff0000, v84
	s_delay_alu instid0(VALU_DEP_1) | instskip(NEXT) | instid1(VALU_DEP_1)
	v_dual_max_num_f32 v0, v0, v0 :: v_dual_max_num_f32 v1, v1, v1
	v_dual_min_num_f32 v84, v1, v0 :: v_dual_max_num_f32 v0, v1, v0
	s_delay_alu instid0(VALU_DEP_1) | instskip(NEXT) | instid1(VALU_DEP_1)
	v_cndmask_b32_e32 v0, v0, v84, vcc_lo
                                        ; implicit-def: $vgpr84
	v_and_b32_e32 v1, 0x7f800000, v0
	s_delay_alu instid0(VALU_DEP_1) | instskip(SKIP_1) | instid1(SALU_CYCLE_1)
	v_cmp_ne_u32_e64 s10, 0x7f800000, v1
	s_and_saveexec_b32 s15, s10
	s_xor_b32 s10, exec_lo, s15
; %bb.299:                              ;   in Loop: Header=BB12_130 Depth=2
	v_bfe_u32 v1, v0, 16, 1
	s_delay_alu instid0(VALU_DEP_1)
	v_add3_u32 v84, v0, v1, 0x7fff
                                        ; implicit-def: $vgpr0
; %bb.300:                              ;   in Loop: Header=BB12_130 Depth=2
	s_and_not1_saveexec_b32 s15, s10
; %bb.301:                              ;   in Loop: Header=BB12_130 Depth=2
	v_and_b32_e32 v1, 0xffff, v0
	v_or_b32_e32 v84, 0x10000, v0
	s_delay_alu instid0(VALU_DEP_2) | instskip(NEXT) | instid1(VALU_DEP_1)
	v_cmp_eq_u32_e64 s10, 0, v1
	v_cndmask_b32_e64 v84, v84, v0, s10
; %bb.302:                              ;   in Loop: Header=BB12_130 Depth=2
	s_or_b32 exec_lo, exec_lo, s15
	v_lshlrev_b32_e32 v0, 16, v97
	s_delay_alu instid0(VALU_DEP_1) | instskip(NEXT) | instid1(VALU_DEP_1)
	v_dual_max_num_f32 v0, v0, v0 :: v_dual_lshlrev_b32 v1, 16, v85
	v_max_num_f32_e32 v1, v1, v1
	s_delay_alu instid0(VALU_DEP_1) | instskip(NEXT) | instid1(VALU_DEP_1)
	v_dual_min_num_f32 v96, v1, v0 :: v_dual_max_num_f32 v0, v1, v0
	v_cndmask_b32_e32 v0, v0, v96, vcc_lo
                                        ; implicit-def: $vgpr96
	s_delay_alu instid0(VALU_DEP_1) | instskip(NEXT) | instid1(VALU_DEP_1)
	v_and_b32_e32 v1, 0x7f800000, v0
	v_cmp_ne_u32_e64 s10, 0x7f800000, v1
	s_and_saveexec_b32 s15, s10
	s_delay_alu instid0(SALU_CYCLE_1)
	s_xor_b32 s10, exec_lo, s15
; %bb.303:                              ;   in Loop: Header=BB12_130 Depth=2
	v_bfe_u32 v1, v0, 16, 1
	s_delay_alu instid0(VALU_DEP_1)
	v_add3_u32 v96, v0, v1, 0x7fff
                                        ; implicit-def: $vgpr0
; %bb.304:                              ;   in Loop: Header=BB12_130 Depth=2
	s_and_not1_saveexec_b32 s15, s10
; %bb.305:                              ;   in Loop: Header=BB12_130 Depth=2
	v_and_b32_e32 v1, 0xffff, v0
	v_or_b32_e32 v96, 0x10000, v0
	s_delay_alu instid0(VALU_DEP_2) | instskip(NEXT) | instid1(VALU_DEP_1)
	v_cmp_eq_u32_e64 s10, 0, v1
	v_cndmask_b32_e64 v96, v96, v0, s10
; %bb.306:                              ;   in Loop: Header=BB12_130 Depth=2
	s_or_b32 exec_lo, exec_lo, s15
	v_and_b32_e32 v0, 0xffff0000, v97
	v_and_b32_e32 v1, 0xffff0000, v85
	s_delay_alu instid0(VALU_DEP_1) | instskip(NEXT) | instid1(VALU_DEP_1)
	v_dual_max_num_f32 v0, v0, v0 :: v_dual_max_num_f32 v1, v1, v1
	v_dual_min_num_f32 v85, v1, v0 :: v_dual_max_num_f32 v0, v1, v0
	s_delay_alu instid0(VALU_DEP_1) | instskip(NEXT) | instid1(VALU_DEP_1)
	v_cndmask_b32_e32 v0, v0, v85, vcc_lo
                                        ; implicit-def: $vgpr85
	v_and_b32_e32 v1, 0x7f800000, v0
	s_delay_alu instid0(VALU_DEP_1) | instskip(SKIP_1) | instid1(SALU_CYCLE_1)
	v_cmp_ne_u32_e64 s10, 0x7f800000, v1
	s_and_saveexec_b32 s15, s10
	s_xor_b32 s10, exec_lo, s15
; %bb.307:                              ;   in Loop: Header=BB12_130 Depth=2
	v_bfe_u32 v1, v0, 16, 1
	s_delay_alu instid0(VALU_DEP_1)
	v_add3_u32 v85, v0, v1, 0x7fff
                                        ; implicit-def: $vgpr0
; %bb.308:                              ;   in Loop: Header=BB12_130 Depth=2
	s_and_not1_saveexec_b32 s15, s10
; %bb.309:                              ;   in Loop: Header=BB12_130 Depth=2
	v_and_b32_e32 v1, 0xffff, v0
	v_or_b32_e32 v85, 0x10000, v0
	s_delay_alu instid0(VALU_DEP_2) | instskip(NEXT) | instid1(VALU_DEP_1)
	v_cmp_eq_u32_e64 s10, 0, v1
	v_cndmask_b32_e64 v85, v85, v0, s10
; %bb.310:                              ;   in Loop: Header=BB12_130 Depth=2
	s_or_b32 exec_lo, exec_lo, s15
	v_lshlrev_b32_e32 v1, 16, v86
	s_delay_alu instid0(VALU_DEP_1) | instskip(NEXT) | instid1(VALU_DEP_1)
	v_dual_max_num_f32 v1, v1, v1 :: v_dual_lshlrev_b32 v0, 16, v98
	v_max_num_f32_e32 v0, v0, v0
	s_delay_alu instid0(VALU_DEP_1) | instskip(NEXT) | instid1(VALU_DEP_1)
	v_dual_min_num_f32 v97, v1, v0 :: v_dual_max_num_f32 v0, v1, v0
	v_cndmask_b32_e32 v0, v0, v97, vcc_lo
                                        ; implicit-def: $vgpr97
	s_delay_alu instid0(VALU_DEP_1) | instskip(NEXT) | instid1(VALU_DEP_1)
	v_and_b32_e32 v1, 0x7f800000, v0
	v_cmp_ne_u32_e64 s10, 0x7f800000, v1
	s_and_saveexec_b32 s15, s10
	s_delay_alu instid0(SALU_CYCLE_1)
	s_xor_b32 s10, exec_lo, s15
; %bb.311:                              ;   in Loop: Header=BB12_130 Depth=2
	v_bfe_u32 v1, v0, 16, 1
	s_delay_alu instid0(VALU_DEP_1)
	v_add3_u32 v97, v0, v1, 0x7fff
                                        ; implicit-def: $vgpr0
; %bb.312:                              ;   in Loop: Header=BB12_130 Depth=2
	s_and_not1_saveexec_b32 s15, s10
; %bb.313:                              ;   in Loop: Header=BB12_130 Depth=2
	v_and_b32_e32 v1, 0xffff, v0
	v_or_b32_e32 v97, 0x10000, v0
	s_delay_alu instid0(VALU_DEP_2) | instskip(NEXT) | instid1(VALU_DEP_1)
	v_cmp_eq_u32_e64 s10, 0, v1
	v_cndmask_b32_e64 v97, v97, v0, s10
; %bb.314:                              ;   in Loop: Header=BB12_130 Depth=2
	s_or_b32 exec_lo, exec_lo, s15
	v_and_b32_e32 v0, 0xffff0000, v98
	v_and_b32_e32 v1, 0xffff0000, v86
	s_delay_alu instid0(VALU_DEP_1) | instskip(NEXT) | instid1(VALU_DEP_1)
	v_dual_max_num_f32 v0, v0, v0 :: v_dual_max_num_f32 v1, v1, v1
	v_dual_min_num_f32 v86, v1, v0 :: v_dual_max_num_f32 v0, v1, v0
	s_delay_alu instid0(VALU_DEP_1) | instskip(NEXT) | instid1(VALU_DEP_1)
	v_cndmask_b32_e32 v0, v0, v86, vcc_lo
                                        ; implicit-def: $vgpr86
	v_and_b32_e32 v1, 0x7f800000, v0
	s_delay_alu instid0(VALU_DEP_1) | instskip(SKIP_1) | instid1(SALU_CYCLE_1)
	v_cmp_ne_u32_e64 s10, 0x7f800000, v1
	s_and_saveexec_b32 s15, s10
	s_xor_b32 s10, exec_lo, s15
; %bb.315:                              ;   in Loop: Header=BB12_130 Depth=2
	v_bfe_u32 v1, v0, 16, 1
	s_delay_alu instid0(VALU_DEP_1)
	v_add3_u32 v86, v0, v1, 0x7fff
                                        ; implicit-def: $vgpr0
; %bb.316:                              ;   in Loop: Header=BB12_130 Depth=2
	s_and_not1_saveexec_b32 s15, s10
; %bb.317:                              ;   in Loop: Header=BB12_130 Depth=2
	v_and_b32_e32 v1, 0xffff, v0
	v_or_b32_e32 v86, 0x10000, v0
	s_delay_alu instid0(VALU_DEP_2) | instskip(NEXT) | instid1(VALU_DEP_1)
	v_cmp_eq_u32_e64 s10, 0, v1
	v_cndmask_b32_e64 v86, v86, v0, s10
; %bb.318:                              ;   in Loop: Header=BB12_130 Depth=2
	s_or_b32 exec_lo, exec_lo, s15
	v_lshlrev_b32_e32 v1, 16, v87
	s_delay_alu instid0(VALU_DEP_1) | instskip(NEXT) | instid1(VALU_DEP_1)
	v_dual_max_num_f32 v1, v1, v1 :: v_dual_lshlrev_b32 v0, 16, v99
	v_max_num_f32_e32 v0, v0, v0
	s_delay_alu instid0(VALU_DEP_1) | instskip(NEXT) | instid1(VALU_DEP_1)
	v_dual_min_num_f32 v98, v1, v0 :: v_dual_max_num_f32 v0, v1, v0
	v_cndmask_b32_e32 v0, v0, v98, vcc_lo
                                        ; implicit-def: $vgpr98
	s_delay_alu instid0(VALU_DEP_1) | instskip(NEXT) | instid1(VALU_DEP_1)
	v_and_b32_e32 v1, 0x7f800000, v0
	v_cmp_ne_u32_e64 s10, 0x7f800000, v1
	s_and_saveexec_b32 s15, s10
	s_delay_alu instid0(SALU_CYCLE_1)
	s_xor_b32 s10, exec_lo, s15
; %bb.319:                              ;   in Loop: Header=BB12_130 Depth=2
	v_bfe_u32 v1, v0, 16, 1
	s_delay_alu instid0(VALU_DEP_1)
	v_add3_u32 v98, v0, v1, 0x7fff
                                        ; implicit-def: $vgpr0
; %bb.320:                              ;   in Loop: Header=BB12_130 Depth=2
	s_and_not1_saveexec_b32 s15, s10
; %bb.321:                              ;   in Loop: Header=BB12_130 Depth=2
	v_and_b32_e32 v1, 0xffff, v0
	v_or_b32_e32 v98, 0x10000, v0
	s_delay_alu instid0(VALU_DEP_2) | instskip(NEXT) | instid1(VALU_DEP_1)
	v_cmp_eq_u32_e64 s10, 0, v1
	v_cndmask_b32_e64 v98, v98, v0, s10
; %bb.322:                              ;   in Loop: Header=BB12_130 Depth=2
	s_or_b32 exec_lo, exec_lo, s15
	v_and_b32_e32 v0, 0xffff0000, v99
	v_and_b32_e32 v1, 0xffff0000, v87
	s_delay_alu instid0(VALU_DEP_1) | instskip(NEXT) | instid1(VALU_DEP_1)
	v_dual_max_num_f32 v0, v0, v0 :: v_dual_max_num_f32 v1, v1, v1
	v_dual_min_num_f32 v87, v1, v0 :: v_dual_max_num_f32 v0, v1, v0
	s_delay_alu instid0(VALU_DEP_1) | instskip(NEXT) | instid1(VALU_DEP_1)
	v_cndmask_b32_e32 v0, v0, v87, vcc_lo
                                        ; implicit-def: $vgpr87
	v_and_b32_e32 v1, 0x7f800000, v0
	s_delay_alu instid0(VALU_DEP_1) | instskip(SKIP_1) | instid1(SALU_CYCLE_1)
	v_cmp_ne_u32_e64 s10, 0x7f800000, v1
	s_and_saveexec_b32 s15, s10
	s_xor_b32 s10, exec_lo, s15
; %bb.323:                              ;   in Loop: Header=BB12_130 Depth=2
	v_bfe_u32 v1, v0, 16, 1
	s_delay_alu instid0(VALU_DEP_1)
	v_add3_u32 v87, v0, v1, 0x7fff
                                        ; implicit-def: $vgpr0
; %bb.324:                              ;   in Loop: Header=BB12_130 Depth=2
	s_and_not1_saveexec_b32 s15, s10
; %bb.325:                              ;   in Loop: Header=BB12_130 Depth=2
	v_and_b32_e32 v1, 0xffff, v0
	v_or_b32_e32 v87, 0x10000, v0
	s_delay_alu instid0(VALU_DEP_2) | instskip(NEXT) | instid1(VALU_DEP_1)
	v_cmp_eq_u32_e64 s10, 0, v1
	v_cndmask_b32_e64 v87, v87, v0, s10
; %bb.326:                              ;   in Loop: Header=BB12_130 Depth=2
	s_or_b32 exec_lo, exec_lo, s15
	v_lshlrev_b32_e32 v1, 16, v64
	s_wait_loadcnt 0x1
	s_delay_alu instid0(VALU_DEP_1) | instskip(NEXT) | instid1(VALU_DEP_1)
	v_dual_max_num_f32 v1, v1, v1 :: v_dual_lshlrev_b32 v0, 16, v68
	v_max_num_f32_e32 v0, v0, v0
	s_delay_alu instid0(VALU_DEP_1) | instskip(NEXT) | instid1(VALU_DEP_1)
	v_dual_min_num_f32 v99, v1, v0 :: v_dual_max_num_f32 v0, v1, v0
	v_cndmask_b32_e32 v0, v0, v99, vcc_lo
                                        ; implicit-def: $vgpr99
	s_delay_alu instid0(VALU_DEP_1) | instskip(NEXT) | instid1(VALU_DEP_1)
	v_and_b32_e32 v1, 0x7f800000, v0
	v_cmp_ne_u32_e64 s10, 0x7f800000, v1
	s_and_saveexec_b32 s15, s10
	s_delay_alu instid0(SALU_CYCLE_1)
	s_xor_b32 s10, exec_lo, s15
; %bb.327:                              ;   in Loop: Header=BB12_130 Depth=2
	v_bfe_u32 v1, v0, 16, 1
	s_delay_alu instid0(VALU_DEP_1)
	v_add3_u32 v99, v0, v1, 0x7fff
                                        ; implicit-def: $vgpr0
; %bb.328:                              ;   in Loop: Header=BB12_130 Depth=2
	s_and_not1_saveexec_b32 s15, s10
; %bb.329:                              ;   in Loop: Header=BB12_130 Depth=2
	v_and_b32_e32 v1, 0xffff, v0
	v_or_b32_e32 v99, 0x10000, v0
	s_delay_alu instid0(VALU_DEP_2) | instskip(NEXT) | instid1(VALU_DEP_1)
	v_cmp_eq_u32_e64 s10, 0, v1
	v_cndmask_b32_e64 v99, v99, v0, s10
; %bb.330:                              ;   in Loop: Header=BB12_130 Depth=2
	s_or_b32 exec_lo, exec_lo, s15
	v_and_b32_e32 v0, 0xffff0000, v68
	v_and_b32_e32 v1, 0xffff0000, v64
	s_delay_alu instid0(VALU_DEP_1) | instskip(NEXT) | instid1(VALU_DEP_1)
	v_dual_max_num_f32 v0, v0, v0 :: v_dual_max_num_f32 v1, v1, v1
	v_dual_min_num_f32 v64, v1, v0 :: v_dual_max_num_f32 v0, v1, v0
	s_delay_alu instid0(VALU_DEP_1) | instskip(NEXT) | instid1(VALU_DEP_1)
	v_cndmask_b32_e32 v0, v0, v64, vcc_lo
                                        ; implicit-def: $vgpr64
	v_and_b32_e32 v1, 0x7f800000, v0
	s_delay_alu instid0(VALU_DEP_1) | instskip(SKIP_1) | instid1(SALU_CYCLE_1)
	v_cmp_ne_u32_e64 s10, 0x7f800000, v1
	s_and_saveexec_b32 s15, s10
	s_xor_b32 s10, exec_lo, s15
; %bb.331:                              ;   in Loop: Header=BB12_130 Depth=2
	v_bfe_u32 v1, v0, 16, 1
	s_delay_alu instid0(VALU_DEP_1)
	v_add3_u32 v64, v0, v1, 0x7fff
                                        ; implicit-def: $vgpr0
; %bb.332:                              ;   in Loop: Header=BB12_130 Depth=2
	s_and_not1_saveexec_b32 s15, s10
; %bb.333:                              ;   in Loop: Header=BB12_130 Depth=2
	v_and_b32_e32 v1, 0xffff, v0
	v_or_b32_e32 v64, 0x10000, v0
	s_delay_alu instid0(VALU_DEP_2) | instskip(NEXT) | instid1(VALU_DEP_1)
	v_cmp_eq_u32_e64 s10, 0, v1
	v_cndmask_b32_e64 v64, v64, v0, s10
; %bb.334:                              ;   in Loop: Header=BB12_130 Depth=2
	s_or_b32 exec_lo, exec_lo, s15
	v_lshlrev_b32_e32 v0, 16, v69
	s_delay_alu instid0(VALU_DEP_1) | instskip(NEXT) | instid1(VALU_DEP_1)
	v_dual_max_num_f32 v0, v0, v0 :: v_dual_lshlrev_b32 v1, 16, v65
	v_max_num_f32_e32 v1, v1, v1
	s_delay_alu instid0(VALU_DEP_1) | instskip(NEXT) | instid1(VALU_DEP_1)
	v_dual_min_num_f32 v68, v1, v0 :: v_dual_max_num_f32 v0, v1, v0
	v_cndmask_b32_e32 v1, v0, v68, vcc_lo
	s_delay_alu instid0(VALU_DEP_1) | instskip(NEXT) | instid1(VALU_DEP_1)
	v_and_b32_e32 v0, 0x7f800000, v1
	v_cmp_ne_u32_e64 s10, 0x7f800000, v0
                                        ; implicit-def: $vgpr0
	s_and_saveexec_b32 s15, s10
	s_delay_alu instid0(SALU_CYCLE_1)
	s_xor_b32 s10, exec_lo, s15
; %bb.335:                              ;   in Loop: Header=BB12_130 Depth=2
	v_bfe_u32 v0, v1, 16, 1
	s_delay_alu instid0(VALU_DEP_1)
	v_add3_u32 v0, v1, v0, 0x7fff
                                        ; implicit-def: $vgpr1
; %bb.336:                              ;   in Loop: Header=BB12_130 Depth=2
	s_and_not1_saveexec_b32 s15, s10
; %bb.337:                              ;   in Loop: Header=BB12_130 Depth=2
	v_and_b32_e32 v0, 0xffff, v1
	v_or_b32_e32 v68, 0x10000, v1
	s_delay_alu instid0(VALU_DEP_2) | instskip(NEXT) | instid1(VALU_DEP_1)
	v_cmp_eq_u32_e64 s10, 0, v0
	v_cndmask_b32_e64 v0, v68, v1, s10
; %bb.338:                              ;   in Loop: Header=BB12_130 Depth=2
	s_or_b32 exec_lo, exec_lo, s15
	v_and_b32_e32 v1, 0xffff0000, v69
	v_and_b32_e32 v65, 0xffff0000, v65
	s_delay_alu instid0(VALU_DEP_2) | instskip(NEXT) | instid1(VALU_DEP_2)
	v_max_num_f32_e32 v1, v1, v1
	v_max_num_f32_e32 v65, v65, v65
	s_delay_alu instid0(VALU_DEP_1) | instskip(NEXT) | instid1(VALU_DEP_1)
	v_dual_min_num_f32 v68, v65, v1 :: v_dual_max_num_f32 v1, v65, v1
	v_cndmask_b32_e32 v65, v1, v68, vcc_lo
	s_delay_alu instid0(VALU_DEP_1) | instskip(NEXT) | instid1(VALU_DEP_1)
	v_and_b32_e32 v1, 0x7f800000, v65
	v_cmp_ne_u32_e64 s10, 0x7f800000, v1
                                        ; implicit-def: $vgpr1
	s_and_saveexec_b32 s15, s10
	s_delay_alu instid0(SALU_CYCLE_1)
	s_xor_b32 s10, exec_lo, s15
; %bb.339:                              ;   in Loop: Header=BB12_130 Depth=2
	v_bfe_u32 v1, v65, 16, 1
	s_delay_alu instid0(VALU_DEP_1)
	v_add3_u32 v1, v65, v1, 0x7fff
                                        ; implicit-def: $vgpr65
; %bb.340:                              ;   in Loop: Header=BB12_130 Depth=2
	s_and_not1_saveexec_b32 s15, s10
; %bb.341:                              ;   in Loop: Header=BB12_130 Depth=2
	v_and_b32_e32 v1, 0xffff, v65
	v_or_b32_e32 v68, 0x10000, v65
	s_delay_alu instid0(VALU_DEP_2) | instskip(NEXT) | instid1(VALU_DEP_1)
	v_cmp_eq_u32_e64 s10, 0, v1
	v_cndmask_b32_e64 v1, v68, v65, s10
; %bb.342:                              ;   in Loop: Header=BB12_130 Depth=2
	s_or_b32 exec_lo, exec_lo, s15
	v_lshlrev_b32_e32 v68, 16, v66
	s_delay_alu instid0(VALU_DEP_1) | instskip(NEXT) | instid1(VALU_DEP_1)
	v_dual_max_num_f32 v68, v68, v68 :: v_dual_lshlrev_b32 v65, 16, v70
	v_max_num_f32_e32 v65, v65, v65
	s_delay_alu instid0(VALU_DEP_1) | instskip(NEXT) | instid1(VALU_DEP_1)
	v_dual_min_num_f32 v69, v68, v65 :: v_dual_max_num_f32 v65, v68, v65
	v_cndmask_b32_e32 v68, v65, v69, vcc_lo
	s_delay_alu instid0(VALU_DEP_1) | instskip(NEXT) | instid1(VALU_DEP_1)
	v_and_b32_e32 v65, 0x7f800000, v68
	v_cmp_ne_u32_e64 s10, 0x7f800000, v65
                                        ; implicit-def: $vgpr65
	s_and_saveexec_b32 s15, s10
	s_delay_alu instid0(SALU_CYCLE_1)
	s_xor_b32 s10, exec_lo, s15
; %bb.343:                              ;   in Loop: Header=BB12_130 Depth=2
	v_bfe_u32 v65, v68, 16, 1
	s_delay_alu instid0(VALU_DEP_1)
	v_add3_u32 v65, v68, v65, 0x7fff
                                        ; implicit-def: $vgpr68
; %bb.344:                              ;   in Loop: Header=BB12_130 Depth=2
	s_and_not1_saveexec_b32 s15, s10
; %bb.345:                              ;   in Loop: Header=BB12_130 Depth=2
	v_and_b32_e32 v65, 0xffff, v68
	v_or_b32_e32 v69, 0x10000, v68
	s_delay_alu instid0(VALU_DEP_2) | instskip(NEXT) | instid1(VALU_DEP_1)
	v_cmp_eq_u32_e64 s10, 0, v65
	v_cndmask_b32_e64 v65, v69, v68, s10
; %bb.346:                              ;   in Loop: Header=BB12_130 Depth=2
	s_or_b32 exec_lo, exec_lo, s15
	v_and_b32_e32 v68, 0xffff0000, v70
	v_and_b32_e32 v66, 0xffff0000, v66
	s_delay_alu instid0(VALU_DEP_1) | instskip(NEXT) | instid1(VALU_DEP_1)
	v_dual_max_num_f32 v68, v68, v68 :: v_dual_max_num_f32 v66, v66, v66
	v_dual_min_num_f32 v69, v66, v68 :: v_dual_max_num_f32 v66, v66, v68
	s_delay_alu instid0(VALU_DEP_1) | instskip(NEXT) | instid1(VALU_DEP_1)
	v_cndmask_b32_e32 v68, v66, v69, vcc_lo
	v_and_b32_e32 v66, 0x7f800000, v68
	s_delay_alu instid0(VALU_DEP_1) | instskip(SKIP_1) | instid1(SALU_CYCLE_1)
	v_cmp_ne_u32_e64 s10, 0x7f800000, v66
                                        ; implicit-def: $vgpr66
	s_and_saveexec_b32 s15, s10
	s_xor_b32 s10, exec_lo, s15
; %bb.347:                              ;   in Loop: Header=BB12_130 Depth=2
	v_bfe_u32 v66, v68, 16, 1
	s_delay_alu instid0(VALU_DEP_1)
	v_add3_u32 v66, v68, v66, 0x7fff
                                        ; implicit-def: $vgpr68
; %bb.348:                              ;   in Loop: Header=BB12_130 Depth=2
	s_and_not1_saveexec_b32 s15, s10
; %bb.349:                              ;   in Loop: Header=BB12_130 Depth=2
	v_and_b32_e32 v66, 0xffff, v68
	v_or_b32_e32 v69, 0x10000, v68
	s_delay_alu instid0(VALU_DEP_2) | instskip(NEXT) | instid1(VALU_DEP_1)
	v_cmp_eq_u32_e64 s10, 0, v66
	v_cndmask_b32_e64 v66, v69, v68, s10
; %bb.350:                              ;   in Loop: Header=BB12_130 Depth=2
	s_or_b32 exec_lo, exec_lo, s15
	v_lshlrev_b32_e32 v69, 16, v67
	s_delay_alu instid0(VALU_DEP_1) | instskip(NEXT) | instid1(VALU_DEP_1)
	v_dual_max_num_f32 v69, v69, v69 :: v_dual_lshlrev_b32 v68, 16, v71
	v_max_num_f32_e32 v68, v68, v68
	s_delay_alu instid0(VALU_DEP_1) | instskip(NEXT) | instid1(VALU_DEP_1)
	v_dual_min_num_f32 v70, v69, v68 :: v_dual_max_num_f32 v68, v69, v68
	v_cndmask_b32_e32 v69, v68, v70, vcc_lo
	s_delay_alu instid0(VALU_DEP_1) | instskip(NEXT) | instid1(VALU_DEP_1)
	v_and_b32_e32 v68, 0x7f800000, v69
	v_cmp_ne_u32_e64 s10, 0x7f800000, v68
                                        ; implicit-def: $vgpr68
	s_and_saveexec_b32 s15, s10
	s_delay_alu instid0(SALU_CYCLE_1)
	s_xor_b32 s10, exec_lo, s15
; %bb.351:                              ;   in Loop: Header=BB12_130 Depth=2
	v_bfe_u32 v68, v69, 16, 1
	s_delay_alu instid0(VALU_DEP_1)
	v_add3_u32 v68, v69, v68, 0x7fff
                                        ; implicit-def: $vgpr69
; %bb.352:                              ;   in Loop: Header=BB12_130 Depth=2
	s_and_not1_saveexec_b32 s15, s10
; %bb.353:                              ;   in Loop: Header=BB12_130 Depth=2
	v_and_b32_e32 v68, 0xffff, v69
	v_or_b32_e32 v70, 0x10000, v69
	s_delay_alu instid0(VALU_DEP_2) | instskip(NEXT) | instid1(VALU_DEP_1)
	v_cmp_eq_u32_e64 s10, 0, v68
	v_cndmask_b32_e64 v68, v70, v69, s10
; %bb.354:                              ;   in Loop: Header=BB12_130 Depth=2
	s_or_b32 exec_lo, exec_lo, s15
	v_and_b32_e32 v69, 0xffff0000, v71
	v_and_b32_e32 v67, 0xffff0000, v67
	s_delay_alu instid0(VALU_DEP_1) | instskip(NEXT) | instid1(VALU_DEP_1)
	v_dual_max_num_f32 v69, v69, v69 :: v_dual_max_num_f32 v67, v67, v67
	v_dual_min_num_f32 v70, v67, v69 :: v_dual_max_num_f32 v67, v67, v69
	s_delay_alu instid0(VALU_DEP_1) | instskip(NEXT) | instid1(VALU_DEP_1)
	v_cndmask_b32_e32 v69, v67, v70, vcc_lo
	v_and_b32_e32 v67, 0x7f800000, v69
	s_delay_alu instid0(VALU_DEP_1) | instskip(SKIP_1) | instid1(SALU_CYCLE_1)
	v_cmp_ne_u32_e64 s10, 0x7f800000, v67
                                        ; implicit-def: $vgpr67
	s_and_saveexec_b32 s15, s10
	s_xor_b32 s10, exec_lo, s15
; %bb.355:                              ;   in Loop: Header=BB12_130 Depth=2
	v_bfe_u32 v67, v69, 16, 1
	s_delay_alu instid0(VALU_DEP_1)
	v_add3_u32 v67, v69, v67, 0x7fff
                                        ; implicit-def: $vgpr69
; %bb.356:                              ;   in Loop: Header=BB12_130 Depth=2
	s_and_not1_saveexec_b32 s15, s10
; %bb.357:                              ;   in Loop: Header=BB12_130 Depth=2
	v_and_b32_e32 v67, 0xffff, v69
	v_or_b32_e32 v70, 0x10000, v69
	s_delay_alu instid0(VALU_DEP_2) | instskip(NEXT) | instid1(VALU_DEP_1)
	v_cmp_eq_u32_e64 s10, 0, v67
	v_cndmask_b32_e64 v67, v70, v69, s10
; %bb.358:                              ;   in Loop: Header=BB12_130 Depth=2
	s_or_b32 exec_lo, exec_lo, s15
	v_lshlrev_b32_e32 v70, 16, v48
	s_wait_loadcnt 0x0
	s_delay_alu instid0(VALU_DEP_1) | instskip(NEXT) | instid1(VALU_DEP_1)
	v_dual_max_num_f32 v70, v70, v70 :: v_dual_lshlrev_b32 v69, 16, v52
	v_max_num_f32_e32 v69, v69, v69
	s_delay_alu instid0(VALU_DEP_1) | instskip(NEXT) | instid1(VALU_DEP_1)
	v_dual_min_num_f32 v71, v70, v69 :: v_dual_max_num_f32 v69, v70, v69
	v_cndmask_b32_e32 v70, v69, v71, vcc_lo
	s_delay_alu instid0(VALU_DEP_1) | instskip(NEXT) | instid1(VALU_DEP_1)
	v_and_b32_e32 v69, 0x7f800000, v70
	v_cmp_ne_u32_e64 s10, 0x7f800000, v69
                                        ; implicit-def: $vgpr69
	s_and_saveexec_b32 s15, s10
	s_delay_alu instid0(SALU_CYCLE_1)
	s_xor_b32 s10, exec_lo, s15
; %bb.359:                              ;   in Loop: Header=BB12_130 Depth=2
	v_bfe_u32 v69, v70, 16, 1
	s_delay_alu instid0(VALU_DEP_1)
	v_add3_u32 v69, v70, v69, 0x7fff
                                        ; implicit-def: $vgpr70
; %bb.360:                              ;   in Loop: Header=BB12_130 Depth=2
	s_and_not1_saveexec_b32 s15, s10
; %bb.361:                              ;   in Loop: Header=BB12_130 Depth=2
	v_and_b32_e32 v69, 0xffff, v70
	v_or_b32_e32 v71, 0x10000, v70
	s_delay_alu instid0(VALU_DEP_2) | instskip(NEXT) | instid1(VALU_DEP_1)
	v_cmp_eq_u32_e64 s10, 0, v69
	v_cndmask_b32_e64 v69, v71, v70, s10
; %bb.362:                              ;   in Loop: Header=BB12_130 Depth=2
	s_or_b32 exec_lo, exec_lo, s15
	v_and_b32_e32 v52, 0xffff0000, v52
	v_and_b32_e32 v48, 0xffff0000, v48
	s_delay_alu instid0(VALU_DEP_2) | instskip(NEXT) | instid1(VALU_DEP_2)
	v_max_num_f32_e32 v52, v52, v52
	v_max_num_f32_e32 v48, v48, v48
	s_delay_alu instid0(VALU_DEP_1) | instskip(NEXT) | instid1(VALU_DEP_1)
	v_dual_min_num_f32 v70, v48, v52 :: v_dual_max_num_f32 v48, v48, v52
	v_cndmask_b32_e32 v52, v48, v70, vcc_lo
	s_delay_alu instid0(VALU_DEP_1) | instskip(NEXT) | instid1(VALU_DEP_1)
	v_and_b32_e32 v48, 0x7f800000, v52
	v_cmp_ne_u32_e64 s10, 0x7f800000, v48
                                        ; implicit-def: $vgpr48
	s_and_saveexec_b32 s15, s10
	s_delay_alu instid0(SALU_CYCLE_1)
	s_xor_b32 s10, exec_lo, s15
; %bb.363:                              ;   in Loop: Header=BB12_130 Depth=2
	v_bfe_u32 v48, v52, 16, 1
	s_delay_alu instid0(VALU_DEP_1)
	v_add3_u32 v48, v52, v48, 0x7fff
                                        ; implicit-def: $vgpr52
; %bb.364:                              ;   in Loop: Header=BB12_130 Depth=2
	s_and_not1_saveexec_b32 s15, s10
; %bb.365:                              ;   in Loop: Header=BB12_130 Depth=2
	v_and_b32_e32 v48, 0xffff, v52
	v_or_b32_e32 v70, 0x10000, v52
	s_delay_alu instid0(VALU_DEP_2) | instskip(NEXT) | instid1(VALU_DEP_1)
	v_cmp_eq_u32_e64 s10, 0, v48
	v_cndmask_b32_e64 v48, v70, v52, s10
; %bb.366:                              ;   in Loop: Header=BB12_130 Depth=2
	s_or_b32 exec_lo, exec_lo, s15
	v_lshlrev_b32_e32 v70, 16, v49
	s_delay_alu instid0(VALU_DEP_1) | instskip(NEXT) | instid1(VALU_DEP_1)
	v_dual_lshlrev_b32 v52, 16, v53 :: v_dual_max_num_f32 v70, v70, v70
	v_max_num_f32_e32 v52, v52, v52
	s_delay_alu instid0(VALU_DEP_1) | instskip(NEXT) | instid1(VALU_DEP_1)
	v_dual_min_num_f32 v71, v70, v52 :: v_dual_max_num_f32 v52, v70, v52
	v_cndmask_b32_e32 v70, v52, v71, vcc_lo
	s_delay_alu instid0(VALU_DEP_1) | instskip(NEXT) | instid1(VALU_DEP_1)
	v_and_b32_e32 v52, 0x7f800000, v70
	v_cmp_ne_u32_e64 s10, 0x7f800000, v52
                                        ; implicit-def: $vgpr52
	s_and_saveexec_b32 s15, s10
	s_delay_alu instid0(SALU_CYCLE_1)
	s_xor_b32 s10, exec_lo, s15
; %bb.367:                              ;   in Loop: Header=BB12_130 Depth=2
	v_bfe_u32 v52, v70, 16, 1
	s_delay_alu instid0(VALU_DEP_1)
	v_add3_u32 v52, v70, v52, 0x7fff
                                        ; implicit-def: $vgpr70
; %bb.368:                              ;   in Loop: Header=BB12_130 Depth=2
	s_and_not1_saveexec_b32 s15, s10
; %bb.369:                              ;   in Loop: Header=BB12_130 Depth=2
	v_and_b32_e32 v52, 0xffff, v70
	v_or_b32_e32 v71, 0x10000, v70
	s_delay_alu instid0(VALU_DEP_2) | instskip(NEXT) | instid1(VALU_DEP_1)
	v_cmp_eq_u32_e64 s10, 0, v52
	v_cndmask_b32_e64 v52, v71, v70, s10
; %bb.370:                              ;   in Loop: Header=BB12_130 Depth=2
	s_or_b32 exec_lo, exec_lo, s15
	v_and_b32_e32 v53, 0xffff0000, v53
	v_and_b32_e32 v49, 0xffff0000, v49
	s_delay_alu instid0(VALU_DEP_2) | instskip(NEXT) | instid1(VALU_DEP_2)
	v_max_num_f32_e32 v53, v53, v53
	v_max_num_f32_e32 v49, v49, v49
	s_delay_alu instid0(VALU_DEP_1) | instskip(NEXT) | instid1(VALU_DEP_1)
	v_dual_min_num_f32 v70, v49, v53 :: v_dual_max_num_f32 v49, v49, v53
	v_cndmask_b32_e32 v53, v49, v70, vcc_lo
	s_delay_alu instid0(VALU_DEP_1) | instskip(NEXT) | instid1(VALU_DEP_1)
	v_and_b32_e32 v49, 0x7f800000, v53
	v_cmp_ne_u32_e64 s10, 0x7f800000, v49
                                        ; implicit-def: $vgpr49
	s_and_saveexec_b32 s15, s10
	s_delay_alu instid0(SALU_CYCLE_1)
	s_xor_b32 s10, exec_lo, s15
; %bb.371:                              ;   in Loop: Header=BB12_130 Depth=2
	v_bfe_u32 v49, v53, 16, 1
	s_delay_alu instid0(VALU_DEP_1)
	v_add3_u32 v49, v53, v49, 0x7fff
                                        ; implicit-def: $vgpr53
; %bb.372:                              ;   in Loop: Header=BB12_130 Depth=2
	s_and_not1_saveexec_b32 s15, s10
; %bb.373:                              ;   in Loop: Header=BB12_130 Depth=2
	v_and_b32_e32 v49, 0xffff, v53
	v_or_b32_e32 v70, 0x10000, v53
	s_delay_alu instid0(VALU_DEP_2) | instskip(NEXT) | instid1(VALU_DEP_1)
	v_cmp_eq_u32_e64 s10, 0, v49
	v_cndmask_b32_e64 v49, v70, v53, s10
; %bb.374:                              ;   in Loop: Header=BB12_130 Depth=2
	s_or_b32 exec_lo, exec_lo, s15
	v_lshlrev_b32_e32 v53, 16, v54
	s_delay_alu instid0(VALU_DEP_1) | instskip(NEXT) | instid1(VALU_DEP_1)
	v_dual_max_num_f32 v53, v53, v53 :: v_dual_lshlrev_b32 v70, 16, v50
	v_max_num_f32_e32 v70, v70, v70
	s_delay_alu instid0(VALU_DEP_1) | instskip(NEXT) | instid1(VALU_DEP_1)
	v_dual_min_num_f32 v71, v70, v53 :: v_dual_max_num_f32 v53, v70, v53
	v_cndmask_b32_e32 v70, v53, v71, vcc_lo
	s_delay_alu instid0(VALU_DEP_1) | instskip(NEXT) | instid1(VALU_DEP_1)
	v_and_b32_e32 v53, 0x7f800000, v70
	v_cmp_ne_u32_e64 s10, 0x7f800000, v53
                                        ; implicit-def: $vgpr53
	s_and_saveexec_b32 s15, s10
	s_delay_alu instid0(SALU_CYCLE_1)
	s_xor_b32 s10, exec_lo, s15
; %bb.375:                              ;   in Loop: Header=BB12_130 Depth=2
	v_bfe_u32 v53, v70, 16, 1
	s_delay_alu instid0(VALU_DEP_1)
	v_add3_u32 v53, v70, v53, 0x7fff
                                        ; implicit-def: $vgpr70
; %bb.376:                              ;   in Loop: Header=BB12_130 Depth=2
	s_and_not1_saveexec_b32 s15, s10
; %bb.377:                              ;   in Loop: Header=BB12_130 Depth=2
	v_and_b32_e32 v53, 0xffff, v70
	v_or_b32_e32 v71, 0x10000, v70
	s_delay_alu instid0(VALU_DEP_2) | instskip(NEXT) | instid1(VALU_DEP_1)
	v_cmp_eq_u32_e64 s10, 0, v53
	v_cndmask_b32_e64 v53, v71, v70, s10
; %bb.378:                              ;   in Loop: Header=BB12_130 Depth=2
	s_or_b32 exec_lo, exec_lo, s15
	v_and_b32_e32 v54, 0xffff0000, v54
	v_and_b32_e32 v50, 0xffff0000, v50
	s_delay_alu instid0(VALU_DEP_2) | instskip(NEXT) | instid1(VALU_DEP_2)
	v_max_num_f32_e32 v54, v54, v54
	v_max_num_f32_e32 v50, v50, v50
	s_delay_alu instid0(VALU_DEP_1) | instskip(NEXT) | instid1(VALU_DEP_1)
	v_dual_min_num_f32 v70, v50, v54 :: v_dual_max_num_f32 v50, v50, v54
	v_cndmask_b32_e32 v54, v50, v70, vcc_lo
	s_delay_alu instid0(VALU_DEP_1) | instskip(NEXT) | instid1(VALU_DEP_1)
	v_and_b32_e32 v50, 0x7f800000, v54
	v_cmp_ne_u32_e64 s10, 0x7f800000, v50
                                        ; implicit-def: $vgpr50
	s_and_saveexec_b32 s15, s10
	s_delay_alu instid0(SALU_CYCLE_1)
	s_xor_b32 s10, exec_lo, s15
; %bb.379:                              ;   in Loop: Header=BB12_130 Depth=2
	v_bfe_u32 v50, v54, 16, 1
	s_delay_alu instid0(VALU_DEP_1)
	v_add3_u32 v50, v54, v50, 0x7fff
                                        ; implicit-def: $vgpr54
; %bb.380:                              ;   in Loop: Header=BB12_130 Depth=2
	s_and_not1_saveexec_b32 s15, s10
; %bb.381:                              ;   in Loop: Header=BB12_130 Depth=2
	v_and_b32_e32 v50, 0xffff, v54
	v_or_b32_e32 v70, 0x10000, v54
	s_delay_alu instid0(VALU_DEP_2) | instskip(NEXT) | instid1(VALU_DEP_1)
	v_cmp_eq_u32_e64 s10, 0, v50
	v_cndmask_b32_e64 v50, v70, v54, s10
; %bb.382:                              ;   in Loop: Header=BB12_130 Depth=2
	s_or_b32 exec_lo, exec_lo, s15
	v_lshlrev_b32_e32 v70, 16, v51
	s_delay_alu instid0(VALU_DEP_1) | instskip(NEXT) | instid1(VALU_DEP_1)
	v_dual_lshlrev_b32 v54, 16, v55 :: v_dual_max_num_f32 v70, v70, v70
	v_max_num_f32_e32 v54, v54, v54
	s_delay_alu instid0(VALU_DEP_1) | instskip(NEXT) | instid1(VALU_DEP_1)
	v_dual_min_num_f32 v71, v70, v54 :: v_dual_max_num_f32 v54, v70, v54
	v_cndmask_b32_e32 v70, v54, v71, vcc_lo
	s_delay_alu instid0(VALU_DEP_1) | instskip(NEXT) | instid1(VALU_DEP_1)
	v_and_b32_e32 v54, 0x7f800000, v70
	v_cmp_ne_u32_e64 s10, 0x7f800000, v54
                                        ; implicit-def: $vgpr54
	s_and_saveexec_b32 s15, s10
	s_delay_alu instid0(SALU_CYCLE_1)
	s_xor_b32 s10, exec_lo, s15
; %bb.383:                              ;   in Loop: Header=BB12_130 Depth=2
	v_bfe_u32 v54, v70, 16, 1
	s_delay_alu instid0(VALU_DEP_1)
	v_add3_u32 v54, v70, v54, 0x7fff
                                        ; implicit-def: $vgpr70
; %bb.384:                              ;   in Loop: Header=BB12_130 Depth=2
	s_and_not1_saveexec_b32 s15, s10
; %bb.385:                              ;   in Loop: Header=BB12_130 Depth=2
	v_and_b32_e32 v54, 0xffff, v70
	v_or_b32_e32 v71, 0x10000, v70
	s_delay_alu instid0(VALU_DEP_2) | instskip(NEXT) | instid1(VALU_DEP_1)
	v_cmp_eq_u32_e64 s10, 0, v54
	v_cndmask_b32_e64 v54, v71, v70, s10
; %bb.386:                              ;   in Loop: Header=BB12_130 Depth=2
	s_or_b32 exec_lo, exec_lo, s15
	v_and_b32_e32 v55, 0xffff0000, v55
	v_and_b32_e32 v51, 0xffff0000, v51
	s_delay_alu instid0(VALU_DEP_2) | instskip(NEXT) | instid1(VALU_DEP_2)
	v_max_num_f32_e32 v55, v55, v55
	v_max_num_f32_e32 v51, v51, v51
	s_delay_alu instid0(VALU_DEP_1) | instskip(NEXT) | instid1(VALU_DEP_1)
	v_dual_min_num_f32 v70, v51, v55 :: v_dual_max_num_f32 v51, v51, v55
	v_cndmask_b32_e32 v55, v51, v70, vcc_lo
	s_delay_alu instid0(VALU_DEP_1) | instskip(NEXT) | instid1(VALU_DEP_1)
	v_and_b32_e32 v51, 0x7f800000, v55
	v_cmp_ne_u32_e64 s10, 0x7f800000, v51
                                        ; implicit-def: $vgpr51
	s_and_saveexec_b32 s15, s10
	s_delay_alu instid0(SALU_CYCLE_1)
	s_xor_b32 s10, exec_lo, s15
; %bb.387:                              ;   in Loop: Header=BB12_130 Depth=2
	v_bfe_u32 v51, v55, 16, 1
	s_delay_alu instid0(VALU_DEP_1)
	v_add3_u32 v51, v55, v51, 0x7fff
                                        ; implicit-def: $vgpr55
; %bb.388:                              ;   in Loop: Header=BB12_130 Depth=2
	s_and_not1_saveexec_b32 s15, s10
	s_cbranch_execz .LBB12_129
; %bb.389:                              ;   in Loop: Header=BB12_130 Depth=2
	v_and_b32_e32 v51, 0xffff, v55
	v_or_b32_e32 v70, 0x10000, v55
	s_delay_alu instid0(VALU_DEP_2) | instskip(NEXT) | instid1(VALU_DEP_1)
	v_cmp_eq_u32_e64 s10, 0, v51
	v_cndmask_b32_e64 v51, v70, v55, s10
	s_branch .LBB12_129
.LBB12_390:                             ;   in Loop: Header=BB12_49 Depth=1
	v_dual_mov_b32 v0, v124 :: v_dual_mov_b32 v15, v117
	s_and_saveexec_b32 s13, s29
	s_cbranch_execnz .LBB12_638
	s_branch .LBB12_865
.LBB12_391:                             ;   in Loop: Header=BB12_49 Depth=1
	s_or_b32 exec_lo, exec_lo, s12
	s_clause 0x5
	scratch_load_b32 v124, off, s33 offset:312
	scratch_load_b32 v117, off, s33 offset:340
	;; [unrolled: 1-line block ×6, first 2 shown]
	v_dual_lshlrev_b32 v45, 9, v72 :: v_dual_mov_b32 v91, 1
	v_mov_b32_e32 v104, 0x90
	s_and_b32 s10, s13, exec_lo
.LBB12_392:                             ;   in Loop: Header=BB12_49 Depth=1
	s_wait_xcnt 0x0
	s_or_b32 exec_lo, exec_lo, s11
	s_and_saveexec_b32 s11, s10
	s_cbranch_execz .LBB12_522
; %bb.393:                              ;   in Loop: Header=BB12_49 Depth=1
	s_and_b32 s10, 0xffff, s28
	s_delay_alu instid0(SALU_CYCLE_1) | instskip(SKIP_2) | instid1(VALU_DEP_1)
	s_cmp_eq_u32 s10, 0
	s_cselect_b32 vcc_lo, -1, 0
	v_lshlrev_b32_e32 v1, 16, v80
	v_dual_max_num_f32 v1, v1, v1 :: v_dual_lshlrev_b32 v0, 16, v32
	s_delay_alu instid0(VALU_DEP_1) | instskip(NEXT) | instid1(VALU_DEP_1)
	v_max_num_f32_e32 v0, v0, v0
	v_dual_min_num_f32 v2, v1, v0 :: v_dual_max_num_f32 v0, v1, v0
	s_delay_alu instid0(VALU_DEP_1) | instskip(NEXT) | instid1(VALU_DEP_1)
	v_cndmask_b32_e32 v0, v0, v2, vcc_lo
                                        ; implicit-def: $vgpr2
	v_and_b32_e32 v1, 0x7f800000, v0
	s_delay_alu instid0(VALU_DEP_1) | instskip(SKIP_1) | instid1(SALU_CYCLE_1)
	v_cmp_ne_u32_e64 s10, 0x7f800000, v1
	s_and_saveexec_b32 s12, s10
	s_xor_b32 s10, exec_lo, s12
; %bb.394:                              ;   in Loop: Header=BB12_49 Depth=1
	v_bfe_u32 v1, v0, 16, 1
	s_delay_alu instid0(VALU_DEP_1)
	v_add3_u32 v2, v0, v1, 0x7fff
                                        ; implicit-def: $vgpr0
; %bb.395:                              ;   in Loop: Header=BB12_49 Depth=1
	s_and_not1_saveexec_b32 s12, s10
; %bb.396:                              ;   in Loop: Header=BB12_49 Depth=1
	v_and_b32_e32 v1, 0xffff, v0
	v_or_b32_e32 v2, 0x10000, v0
	s_delay_alu instid0(VALU_DEP_2) | instskip(NEXT) | instid1(VALU_DEP_1)
	v_cmp_eq_u32_e64 s10, 0, v1
	v_cndmask_b32_e64 v2, v2, v0, s10
; %bb.397:                              ;   in Loop: Header=BB12_49 Depth=1
	s_or_b32 exec_lo, exec_lo, s12
	v_and_b32_e32 v0, 0xffff0000, v32
	v_and_b32_e32 v1, 0xffff0000, v80
	s_delay_alu instid0(VALU_DEP_1) | instskip(NEXT) | instid1(VALU_DEP_1)
	v_dual_max_num_f32 v0, v0, v0 :: v_dual_max_num_f32 v1, v1, v1
	v_dual_min_num_f32 v3, v1, v0 :: v_dual_max_num_f32 v0, v1, v0
	s_delay_alu instid0(VALU_DEP_1) | instskip(NEXT) | instid1(VALU_DEP_1)
	v_cndmask_b32_e32 v0, v0, v3, vcc_lo
                                        ; implicit-def: $vgpr3
	v_and_b32_e32 v1, 0x7f800000, v0
	s_delay_alu instid0(VALU_DEP_1) | instskip(SKIP_1) | instid1(SALU_CYCLE_1)
	v_cmp_ne_u32_e64 s10, 0x7f800000, v1
	s_and_saveexec_b32 s12, s10
	s_xor_b32 s10, exec_lo, s12
; %bb.398:                              ;   in Loop: Header=BB12_49 Depth=1
	v_bfe_u32 v1, v0, 16, 1
	s_delay_alu instid0(VALU_DEP_1)
	v_add3_u32 v3, v0, v1, 0x7fff
                                        ; implicit-def: $vgpr0
; %bb.399:                              ;   in Loop: Header=BB12_49 Depth=1
	s_and_not1_saveexec_b32 s12, s10
; %bb.400:                              ;   in Loop: Header=BB12_49 Depth=1
	v_and_b32_e32 v1, 0xffff, v0
	v_or_b32_e32 v3, 0x10000, v0
	s_delay_alu instid0(VALU_DEP_2) | instskip(NEXT) | instid1(VALU_DEP_1)
	v_cmp_eq_u32_e64 s10, 0, v1
	v_cndmask_b32_e64 v3, v3, v0, s10
; %bb.401:                              ;   in Loop: Header=BB12_49 Depth=1
	s_or_b32 exec_lo, exec_lo, s12
	v_lshlrev_b32_e32 v0, 16, v33
	s_delay_alu instid0(VALU_DEP_1) | instskip(NEXT) | instid1(VALU_DEP_1)
	v_dual_max_num_f32 v0, v0, v0 :: v_dual_lshlrev_b32 v1, 16, v81
	v_max_num_f32_e32 v1, v1, v1
	s_delay_alu instid0(VALU_DEP_1) | instskip(NEXT) | instid1(VALU_DEP_1)
	v_dual_min_num_f32 v30, v1, v0 :: v_dual_max_num_f32 v0, v1, v0
	v_cndmask_b32_e32 v0, v0, v30, vcc_lo
                                        ; implicit-def: $vgpr30
	s_delay_alu instid0(VALU_DEP_1) | instskip(NEXT) | instid1(VALU_DEP_1)
	v_and_b32_e32 v1, 0x7f800000, v0
	v_cmp_ne_u32_e64 s10, 0x7f800000, v1
	s_and_saveexec_b32 s12, s10
	s_delay_alu instid0(SALU_CYCLE_1)
	s_xor_b32 s10, exec_lo, s12
; %bb.402:                              ;   in Loop: Header=BB12_49 Depth=1
	v_bfe_u32 v1, v0, 16, 1
	s_delay_alu instid0(VALU_DEP_1)
	v_add3_u32 v30, v0, v1, 0x7fff
                                        ; implicit-def: $vgpr0
; %bb.403:                              ;   in Loop: Header=BB12_49 Depth=1
	s_and_not1_saveexec_b32 s12, s10
; %bb.404:                              ;   in Loop: Header=BB12_49 Depth=1
	v_and_b32_e32 v1, 0xffff, v0
	v_or_b32_e32 v30, 0x10000, v0
	s_delay_alu instid0(VALU_DEP_2) | instskip(NEXT) | instid1(VALU_DEP_1)
	v_cmp_eq_u32_e64 s10, 0, v1
	v_cndmask_b32_e64 v30, v30, v0, s10
; %bb.405:                              ;   in Loop: Header=BB12_49 Depth=1
	s_or_b32 exec_lo, exec_lo, s12
	v_and_b32_e32 v0, 0xffff0000, v33
	v_and_b32_e32 v1, 0xffff0000, v81
	s_delay_alu instid0(VALU_DEP_1) | instskip(NEXT) | instid1(VALU_DEP_1)
	v_dual_max_num_f32 v0, v0, v0 :: v_dual_max_num_f32 v1, v1, v1
	v_dual_min_num_f32 v31, v1, v0 :: v_dual_max_num_f32 v0, v1, v0
	s_delay_alu instid0(VALU_DEP_1) | instskip(NEXT) | instid1(VALU_DEP_1)
	v_cndmask_b32_e32 v0, v0, v31, vcc_lo
                                        ; implicit-def: $vgpr31
	v_and_b32_e32 v1, 0x7f800000, v0
	s_delay_alu instid0(VALU_DEP_1) | instskip(SKIP_1) | instid1(SALU_CYCLE_1)
	v_cmp_ne_u32_e64 s10, 0x7f800000, v1
	s_and_saveexec_b32 s12, s10
	s_xor_b32 s10, exec_lo, s12
; %bb.406:                              ;   in Loop: Header=BB12_49 Depth=1
	v_bfe_u32 v1, v0, 16, 1
	s_delay_alu instid0(VALU_DEP_1)
	v_add3_u32 v31, v0, v1, 0x7fff
                                        ; implicit-def: $vgpr0
; %bb.407:                              ;   in Loop: Header=BB12_49 Depth=1
	s_and_not1_saveexec_b32 s12, s10
; %bb.408:                              ;   in Loop: Header=BB12_49 Depth=1
	v_and_b32_e32 v1, 0xffff, v0
	v_or_b32_e32 v31, 0x10000, v0
	s_delay_alu instid0(VALU_DEP_2) | instskip(NEXT) | instid1(VALU_DEP_1)
	v_cmp_eq_u32_e64 s10, 0, v1
	v_cndmask_b32_e64 v31, v31, v0, s10
; %bb.409:                              ;   in Loop: Header=BB12_49 Depth=1
	s_or_b32 exec_lo, exec_lo, s12
	v_lshlrev_b32_e32 v1, 16, v82
	s_delay_alu instid0(VALU_DEP_1) | instskip(NEXT) | instid1(VALU_DEP_1)
	v_dual_max_num_f32 v1, v1, v1 :: v_dual_lshlrev_b32 v0, 16, v34
	v_max_num_f32_e32 v0, v0, v0
	s_delay_alu instid0(VALU_DEP_1) | instskip(NEXT) | instid1(VALU_DEP_1)
	v_dual_min_num_f32 v32, v1, v0 :: v_dual_max_num_f32 v0, v1, v0
	v_cndmask_b32_e32 v0, v0, v32, vcc_lo
                                        ; implicit-def: $vgpr32
	s_delay_alu instid0(VALU_DEP_1) | instskip(NEXT) | instid1(VALU_DEP_1)
	v_and_b32_e32 v1, 0x7f800000, v0
	v_cmp_ne_u32_e64 s10, 0x7f800000, v1
	s_and_saveexec_b32 s12, s10
	s_delay_alu instid0(SALU_CYCLE_1)
	s_xor_b32 s10, exec_lo, s12
; %bb.410:                              ;   in Loop: Header=BB12_49 Depth=1
	v_bfe_u32 v1, v0, 16, 1
	s_delay_alu instid0(VALU_DEP_1)
	v_add3_u32 v32, v0, v1, 0x7fff
                                        ; implicit-def: $vgpr0
; %bb.411:                              ;   in Loop: Header=BB12_49 Depth=1
	s_and_not1_saveexec_b32 s12, s10
; %bb.412:                              ;   in Loop: Header=BB12_49 Depth=1
	v_and_b32_e32 v1, 0xffff, v0
	v_or_b32_e32 v32, 0x10000, v0
	s_delay_alu instid0(VALU_DEP_2) | instskip(NEXT) | instid1(VALU_DEP_1)
	v_cmp_eq_u32_e64 s10, 0, v1
	v_cndmask_b32_e64 v32, v32, v0, s10
; %bb.413:                              ;   in Loop: Header=BB12_49 Depth=1
	s_or_b32 exec_lo, exec_lo, s12
	v_and_b32_e32 v0, 0xffff0000, v34
	v_and_b32_e32 v1, 0xffff0000, v82
	s_delay_alu instid0(VALU_DEP_1) | instskip(NEXT) | instid1(VALU_DEP_1)
	v_dual_max_num_f32 v0, v0, v0 :: v_dual_max_num_f32 v1, v1, v1
	v_dual_min_num_f32 v33, v1, v0 :: v_dual_max_num_f32 v0, v1, v0
	s_delay_alu instid0(VALU_DEP_1) | instskip(NEXT) | instid1(VALU_DEP_1)
	v_cndmask_b32_e32 v0, v0, v33, vcc_lo
                                        ; implicit-def: $vgpr33
	v_and_b32_e32 v1, 0x7f800000, v0
	s_delay_alu instid0(VALU_DEP_1) | instskip(SKIP_1) | instid1(SALU_CYCLE_1)
	v_cmp_ne_u32_e64 s10, 0x7f800000, v1
	s_and_saveexec_b32 s12, s10
	s_xor_b32 s10, exec_lo, s12
; %bb.414:                              ;   in Loop: Header=BB12_49 Depth=1
	v_bfe_u32 v1, v0, 16, 1
	s_delay_alu instid0(VALU_DEP_1)
	v_add3_u32 v33, v0, v1, 0x7fff
                                        ; implicit-def: $vgpr0
; %bb.415:                              ;   in Loop: Header=BB12_49 Depth=1
	s_and_not1_saveexec_b32 s12, s10
; %bb.416:                              ;   in Loop: Header=BB12_49 Depth=1
	v_and_b32_e32 v1, 0xffff, v0
	v_or_b32_e32 v33, 0x10000, v0
	s_delay_alu instid0(VALU_DEP_2) | instskip(NEXT) | instid1(VALU_DEP_1)
	v_cmp_eq_u32_e64 s10, 0, v1
	v_cndmask_b32_e64 v33, v33, v0, s10
; %bb.417:                              ;   in Loop: Header=BB12_49 Depth=1
	s_or_b32 exec_lo, exec_lo, s12
	v_lshlrev_b32_e32 v1, 16, v83
	s_delay_alu instid0(VALU_DEP_1) | instskip(NEXT) | instid1(VALU_DEP_1)
	v_dual_max_num_f32 v1, v1, v1 :: v_dual_lshlrev_b32 v0, 16, v35
	v_max_num_f32_e32 v0, v0, v0
	s_delay_alu instid0(VALU_DEP_1) | instskip(NEXT) | instid1(VALU_DEP_1)
	v_dual_min_num_f32 v34, v1, v0 :: v_dual_max_num_f32 v0, v1, v0
	v_cndmask_b32_e32 v0, v0, v34, vcc_lo
                                        ; implicit-def: $vgpr34
	s_delay_alu instid0(VALU_DEP_1) | instskip(NEXT) | instid1(VALU_DEP_1)
	v_and_b32_e32 v1, 0x7f800000, v0
	v_cmp_ne_u32_e64 s10, 0x7f800000, v1
	s_and_saveexec_b32 s12, s10
	s_delay_alu instid0(SALU_CYCLE_1)
	s_xor_b32 s10, exec_lo, s12
; %bb.418:                              ;   in Loop: Header=BB12_49 Depth=1
	v_bfe_u32 v1, v0, 16, 1
	s_delay_alu instid0(VALU_DEP_1)
	v_add3_u32 v34, v0, v1, 0x7fff
                                        ; implicit-def: $vgpr0
; %bb.419:                              ;   in Loop: Header=BB12_49 Depth=1
	s_and_not1_saveexec_b32 s12, s10
; %bb.420:                              ;   in Loop: Header=BB12_49 Depth=1
	v_and_b32_e32 v1, 0xffff, v0
	v_or_b32_e32 v34, 0x10000, v0
	s_delay_alu instid0(VALU_DEP_2) | instskip(NEXT) | instid1(VALU_DEP_1)
	v_cmp_eq_u32_e64 s10, 0, v1
	v_cndmask_b32_e64 v34, v34, v0, s10
; %bb.421:                              ;   in Loop: Header=BB12_49 Depth=1
	s_or_b32 exec_lo, exec_lo, s12
	v_and_b32_e32 v0, 0xffff0000, v35
	v_and_b32_e32 v1, 0xffff0000, v83
	s_delay_alu instid0(VALU_DEP_1) | instskip(NEXT) | instid1(VALU_DEP_1)
	v_dual_max_num_f32 v0, v0, v0 :: v_dual_max_num_f32 v1, v1, v1
	v_dual_min_num_f32 v35, v1, v0 :: v_dual_max_num_f32 v0, v1, v0
	s_delay_alu instid0(VALU_DEP_1) | instskip(NEXT) | instid1(VALU_DEP_1)
	v_cndmask_b32_e32 v0, v0, v35, vcc_lo
                                        ; implicit-def: $vgpr35
	v_and_b32_e32 v1, 0x7f800000, v0
	s_delay_alu instid0(VALU_DEP_1) | instskip(SKIP_1) | instid1(SALU_CYCLE_1)
	v_cmp_ne_u32_e64 s10, 0x7f800000, v1
	s_and_saveexec_b32 s12, s10
	s_xor_b32 s10, exec_lo, s12
; %bb.422:                              ;   in Loop: Header=BB12_49 Depth=1
	v_bfe_u32 v1, v0, 16, 1
	s_delay_alu instid0(VALU_DEP_1)
	v_add3_u32 v35, v0, v1, 0x7fff
                                        ; implicit-def: $vgpr0
; %bb.423:                              ;   in Loop: Header=BB12_49 Depth=1
	s_and_not1_saveexec_b32 s12, s10
; %bb.424:                              ;   in Loop: Header=BB12_49 Depth=1
	v_and_b32_e32 v1, 0xffff, v0
	v_or_b32_e32 v35, 0x10000, v0
	s_delay_alu instid0(VALU_DEP_2) | instskip(NEXT) | instid1(VALU_DEP_1)
	v_cmp_eq_u32_e64 s10, 0, v1
	v_cndmask_b32_e64 v35, v35, v0, s10
; %bb.425:                              ;   in Loop: Header=BB12_49 Depth=1
	s_or_b32 exec_lo, exec_lo, s12
	v_dual_lshlrev_b32 v0, 16, v22 :: v_dual_lshlrev_b32 v1, 16, v36
	s_delay_alu instid0(VALU_DEP_1) | instskip(NEXT) | instid1(VALU_DEP_1)
	v_dual_max_num_f32 v0, v0, v0 :: v_dual_max_num_f32 v1, v1, v1
	v_dual_min_num_f32 v48, v1, v0 :: v_dual_max_num_f32 v0, v1, v0
	s_delay_alu instid0(VALU_DEP_1) | instskip(NEXT) | instid1(VALU_DEP_1)
	v_cndmask_b32_e32 v0, v0, v48, vcc_lo
                                        ; implicit-def: $vgpr48
	v_and_b32_e32 v1, 0x7f800000, v0
	s_delay_alu instid0(VALU_DEP_1) | instskip(SKIP_1) | instid1(SALU_CYCLE_1)
	v_cmp_ne_u32_e64 s10, 0x7f800000, v1
	s_and_saveexec_b32 s12, s10
	s_xor_b32 s10, exec_lo, s12
; %bb.426:                              ;   in Loop: Header=BB12_49 Depth=1
	v_bfe_u32 v1, v0, 16, 1
	s_delay_alu instid0(VALU_DEP_1)
	v_add3_u32 v48, v0, v1, 0x7fff
                                        ; implicit-def: $vgpr0
; %bb.427:                              ;   in Loop: Header=BB12_49 Depth=1
	s_and_not1_saveexec_b32 s12, s10
; %bb.428:                              ;   in Loop: Header=BB12_49 Depth=1
	v_and_b32_e32 v1, 0xffff, v0
	v_or_b32_e32 v48, 0x10000, v0
	s_delay_alu instid0(VALU_DEP_2) | instskip(NEXT) | instid1(VALU_DEP_1)
	v_cmp_eq_u32_e64 s10, 0, v1
	v_cndmask_b32_e64 v48, v48, v0, s10
; %bb.429:                              ;   in Loop: Header=BB12_49 Depth=1
	s_or_b32 exec_lo, exec_lo, s12
	v_and_b32_e32 v0, 0xffff0000, v22
	v_and_b32_e32 v1, 0xffff0000, v36
	s_delay_alu instid0(VALU_DEP_1) | instskip(NEXT) | instid1(VALU_DEP_1)
	v_dual_max_num_f32 v0, v0, v0 :: v_dual_max_num_f32 v1, v1, v1
	v_dual_min_num_f32 v22, v1, v0 :: v_dual_max_num_f32 v0, v1, v0
	s_delay_alu instid0(VALU_DEP_1) | instskip(NEXT) | instid1(VALU_DEP_1)
	v_cndmask_b32_e32 v0, v0, v22, vcc_lo
                                        ; implicit-def: $vgpr22
	v_and_b32_e32 v1, 0x7f800000, v0
	s_delay_alu instid0(VALU_DEP_1) | instskip(SKIP_1) | instid1(SALU_CYCLE_1)
	v_cmp_ne_u32_e64 s10, 0x7f800000, v1
	s_and_saveexec_b32 s12, s10
	s_xor_b32 s10, exec_lo, s12
; %bb.430:                              ;   in Loop: Header=BB12_49 Depth=1
	v_bfe_u32 v1, v0, 16, 1
	s_delay_alu instid0(VALU_DEP_1)
	v_add3_u32 v22, v0, v1, 0x7fff
                                        ; implicit-def: $vgpr0
; %bb.431:                              ;   in Loop: Header=BB12_49 Depth=1
	s_and_not1_saveexec_b32 s12, s10
; %bb.432:                              ;   in Loop: Header=BB12_49 Depth=1
	v_and_b32_e32 v1, 0xffff, v0
	v_or_b32_e32 v22, 0x10000, v0
	s_delay_alu instid0(VALU_DEP_2) | instskip(NEXT) | instid1(VALU_DEP_1)
	v_cmp_eq_u32_e64 s10, 0, v1
	v_cndmask_b32_e64 v22, v22, v0, s10
; %bb.433:                              ;   in Loop: Header=BB12_49 Depth=1
	s_or_b32 exec_lo, exec_lo, s12
	v_dual_lshlrev_b32 v0, 16, v23 :: v_dual_lshlrev_b32 v1, 16, v37
	s_delay_alu instid0(VALU_DEP_1) | instskip(NEXT) | instid1(VALU_DEP_1)
	v_dual_max_num_f32 v0, v0, v0 :: v_dual_max_num_f32 v1, v1, v1
	v_dual_min_num_f32 v36, v1, v0 :: v_dual_max_num_f32 v0, v1, v0
	s_delay_alu instid0(VALU_DEP_1) | instskip(NEXT) | instid1(VALU_DEP_1)
	v_cndmask_b32_e32 v0, v0, v36, vcc_lo
                                        ; implicit-def: $vgpr36
	v_and_b32_e32 v1, 0x7f800000, v0
	s_delay_alu instid0(VALU_DEP_1) | instskip(SKIP_1) | instid1(SALU_CYCLE_1)
	v_cmp_ne_u32_e64 s10, 0x7f800000, v1
	s_and_saveexec_b32 s12, s10
	s_xor_b32 s10, exec_lo, s12
; %bb.434:                              ;   in Loop: Header=BB12_49 Depth=1
	v_bfe_u32 v1, v0, 16, 1
	s_delay_alu instid0(VALU_DEP_1)
	v_add3_u32 v36, v0, v1, 0x7fff
                                        ; implicit-def: $vgpr0
; %bb.435:                              ;   in Loop: Header=BB12_49 Depth=1
	s_and_not1_saveexec_b32 s12, s10
; %bb.436:                              ;   in Loop: Header=BB12_49 Depth=1
	v_and_b32_e32 v1, 0xffff, v0
	v_or_b32_e32 v36, 0x10000, v0
	s_delay_alu instid0(VALU_DEP_2) | instskip(NEXT) | instid1(VALU_DEP_1)
	v_cmp_eq_u32_e64 s10, 0, v1
	v_cndmask_b32_e64 v36, v36, v0, s10
; %bb.437:                              ;   in Loop: Header=BB12_49 Depth=1
	s_or_b32 exec_lo, exec_lo, s12
	v_and_b32_e32 v0, 0xffff0000, v23
	v_and_b32_e32 v1, 0xffff0000, v37
	s_delay_alu instid0(VALU_DEP_1) | instskip(NEXT) | instid1(VALU_DEP_1)
	v_dual_max_num_f32 v0, v0, v0 :: v_dual_max_num_f32 v1, v1, v1
	v_dual_min_num_f32 v23, v1, v0 :: v_dual_max_num_f32 v0, v1, v0
	s_delay_alu instid0(VALU_DEP_1) | instskip(NEXT) | instid1(VALU_DEP_1)
	v_cndmask_b32_e32 v0, v0, v23, vcc_lo
                                        ; implicit-def: $vgpr23
	v_and_b32_e32 v1, 0x7f800000, v0
	s_delay_alu instid0(VALU_DEP_1) | instskip(SKIP_1) | instid1(SALU_CYCLE_1)
	v_cmp_ne_u32_e64 s10, 0x7f800000, v1
	s_and_saveexec_b32 s12, s10
	s_xor_b32 s10, exec_lo, s12
; %bb.438:                              ;   in Loop: Header=BB12_49 Depth=1
	v_bfe_u32 v1, v0, 16, 1
	s_delay_alu instid0(VALU_DEP_1)
	v_add3_u32 v23, v0, v1, 0x7fff
                                        ; implicit-def: $vgpr0
; %bb.439:                              ;   in Loop: Header=BB12_49 Depth=1
	s_and_not1_saveexec_b32 s12, s10
; %bb.440:                              ;   in Loop: Header=BB12_49 Depth=1
	v_and_b32_e32 v1, 0xffff, v0
	v_or_b32_e32 v23, 0x10000, v0
	s_delay_alu instid0(VALU_DEP_2) | instskip(NEXT) | instid1(VALU_DEP_1)
	v_cmp_eq_u32_e64 s10, 0, v1
	v_cndmask_b32_e64 v23, v23, v0, s10
; %bb.441:                              ;   in Loop: Header=BB12_49 Depth=1
	s_or_b32 exec_lo, exec_lo, s12
	v_dual_lshlrev_b32 v0, 16, v24 :: v_dual_lshlrev_b32 v1, 16, v38
	s_delay_alu instid0(VALU_DEP_1) | instskip(NEXT) | instid1(VALU_DEP_1)
	v_dual_max_num_f32 v0, v0, v0 :: v_dual_max_num_f32 v1, v1, v1
	v_dual_min_num_f32 v37, v1, v0 :: v_dual_max_num_f32 v0, v1, v0
	s_delay_alu instid0(VALU_DEP_1) | instskip(NEXT) | instid1(VALU_DEP_1)
	v_cndmask_b32_e32 v0, v0, v37, vcc_lo
                                        ; implicit-def: $vgpr37
	v_and_b32_e32 v1, 0x7f800000, v0
	s_delay_alu instid0(VALU_DEP_1) | instskip(SKIP_1) | instid1(SALU_CYCLE_1)
	v_cmp_ne_u32_e64 s10, 0x7f800000, v1
	s_and_saveexec_b32 s12, s10
	s_xor_b32 s10, exec_lo, s12
; %bb.442:                              ;   in Loop: Header=BB12_49 Depth=1
	v_bfe_u32 v1, v0, 16, 1
	s_delay_alu instid0(VALU_DEP_1)
	v_add3_u32 v37, v0, v1, 0x7fff
                                        ; implicit-def: $vgpr0
; %bb.443:                              ;   in Loop: Header=BB12_49 Depth=1
	s_and_not1_saveexec_b32 s12, s10
; %bb.444:                              ;   in Loop: Header=BB12_49 Depth=1
	v_and_b32_e32 v1, 0xffff, v0
	v_or_b32_e32 v37, 0x10000, v0
	s_delay_alu instid0(VALU_DEP_2) | instskip(NEXT) | instid1(VALU_DEP_1)
	v_cmp_eq_u32_e64 s10, 0, v1
	v_cndmask_b32_e64 v37, v37, v0, s10
; %bb.445:                              ;   in Loop: Header=BB12_49 Depth=1
	s_or_b32 exec_lo, exec_lo, s12
	v_and_b32_e32 v0, 0xffff0000, v24
	v_and_b32_e32 v1, 0xffff0000, v38
	s_delay_alu instid0(VALU_DEP_1) | instskip(NEXT) | instid1(VALU_DEP_1)
	v_dual_max_num_f32 v0, v0, v0 :: v_dual_max_num_f32 v1, v1, v1
	v_dual_min_num_f32 v24, v1, v0 :: v_dual_max_num_f32 v0, v1, v0
	s_delay_alu instid0(VALU_DEP_1) | instskip(NEXT) | instid1(VALU_DEP_1)
	v_cndmask_b32_e32 v0, v0, v24, vcc_lo
                                        ; implicit-def: $vgpr24
	v_and_b32_e32 v1, 0x7f800000, v0
	s_delay_alu instid0(VALU_DEP_1) | instskip(SKIP_1) | instid1(SALU_CYCLE_1)
	v_cmp_ne_u32_e64 s10, 0x7f800000, v1
	s_and_saveexec_b32 s12, s10
	s_xor_b32 s10, exec_lo, s12
; %bb.446:                              ;   in Loop: Header=BB12_49 Depth=1
	v_bfe_u32 v1, v0, 16, 1
	s_delay_alu instid0(VALU_DEP_1)
	v_add3_u32 v24, v0, v1, 0x7fff
                                        ; implicit-def: $vgpr0
; %bb.447:                              ;   in Loop: Header=BB12_49 Depth=1
	s_and_not1_saveexec_b32 s12, s10
; %bb.448:                              ;   in Loop: Header=BB12_49 Depth=1
	v_and_b32_e32 v1, 0xffff, v0
	v_or_b32_e32 v24, 0x10000, v0
	s_delay_alu instid0(VALU_DEP_2) | instskip(NEXT) | instid1(VALU_DEP_1)
	v_cmp_eq_u32_e64 s10, 0, v1
	v_cndmask_b32_e64 v24, v24, v0, s10
; %bb.449:                              ;   in Loop: Header=BB12_49 Depth=1
	s_or_b32 exec_lo, exec_lo, s12
	v_dual_lshlrev_b32 v0, 16, v25 :: v_dual_lshlrev_b32 v1, 16, v39
	s_delay_alu instid0(VALU_DEP_1) | instskip(NEXT) | instid1(VALU_DEP_1)
	v_dual_max_num_f32 v0, v0, v0 :: v_dual_max_num_f32 v1, v1, v1
	v_dual_min_num_f32 v38, v1, v0 :: v_dual_max_num_f32 v0, v1, v0
	s_delay_alu instid0(VALU_DEP_1) | instskip(NEXT) | instid1(VALU_DEP_1)
	v_cndmask_b32_e32 v0, v0, v38, vcc_lo
                                        ; implicit-def: $vgpr38
	v_and_b32_e32 v1, 0x7f800000, v0
	s_delay_alu instid0(VALU_DEP_1) | instskip(SKIP_1) | instid1(SALU_CYCLE_1)
	v_cmp_ne_u32_e64 s10, 0x7f800000, v1
	s_and_saveexec_b32 s12, s10
	s_xor_b32 s10, exec_lo, s12
; %bb.450:                              ;   in Loop: Header=BB12_49 Depth=1
	v_bfe_u32 v1, v0, 16, 1
	s_delay_alu instid0(VALU_DEP_1)
	v_add3_u32 v38, v0, v1, 0x7fff
                                        ; implicit-def: $vgpr0
; %bb.451:                              ;   in Loop: Header=BB12_49 Depth=1
	s_and_not1_saveexec_b32 s12, s10
; %bb.452:                              ;   in Loop: Header=BB12_49 Depth=1
	v_and_b32_e32 v1, 0xffff, v0
	v_or_b32_e32 v38, 0x10000, v0
	s_delay_alu instid0(VALU_DEP_2) | instskip(NEXT) | instid1(VALU_DEP_1)
	v_cmp_eq_u32_e64 s10, 0, v1
	v_cndmask_b32_e64 v38, v38, v0, s10
; %bb.453:                              ;   in Loop: Header=BB12_49 Depth=1
	s_or_b32 exec_lo, exec_lo, s12
	v_and_b32_e32 v0, 0xffff0000, v25
	v_and_b32_e32 v1, 0xffff0000, v39
	s_delay_alu instid0(VALU_DEP_1) | instskip(NEXT) | instid1(VALU_DEP_1)
	v_dual_max_num_f32 v0, v0, v0 :: v_dual_max_num_f32 v1, v1, v1
	v_dual_min_num_f32 v25, v1, v0 :: v_dual_max_num_f32 v0, v1, v0
	s_delay_alu instid0(VALU_DEP_1) | instskip(NEXT) | instid1(VALU_DEP_1)
	v_cndmask_b32_e32 v0, v0, v25, vcc_lo
                                        ; implicit-def: $vgpr25
	v_and_b32_e32 v1, 0x7f800000, v0
	s_delay_alu instid0(VALU_DEP_1) | instskip(SKIP_1) | instid1(SALU_CYCLE_1)
	v_cmp_ne_u32_e64 s10, 0x7f800000, v1
	s_and_saveexec_b32 s12, s10
	s_xor_b32 s10, exec_lo, s12
; %bb.454:                              ;   in Loop: Header=BB12_49 Depth=1
	v_bfe_u32 v1, v0, 16, 1
	s_delay_alu instid0(VALU_DEP_1)
	v_add3_u32 v25, v0, v1, 0x7fff
                                        ; implicit-def: $vgpr0
; %bb.455:                              ;   in Loop: Header=BB12_49 Depth=1
	s_and_not1_saveexec_b32 s12, s10
; %bb.456:                              ;   in Loop: Header=BB12_49 Depth=1
	v_and_b32_e32 v1, 0xffff, v0
	v_or_b32_e32 v25, 0x10000, v0
	s_delay_alu instid0(VALU_DEP_2) | instskip(NEXT) | instid1(VALU_DEP_1)
	v_cmp_eq_u32_e64 s10, 0, v1
	v_cndmask_b32_e64 v25, v25, v0, s10
; %bb.457:                              ;   in Loop: Header=BB12_49 Depth=1
	s_or_b32 exec_lo, exec_lo, s12
	v_lshlrev_b32_e32 v1, 16, v26
	s_delay_alu instid0(VALU_DEP_1) | instskip(NEXT) | instid1(VALU_DEP_1)
	v_dual_max_num_f32 v1, v1, v1 :: v_dual_lshlrev_b32 v0, 16, v18
	v_max_num_f32_e32 v0, v0, v0
	s_delay_alu instid0(VALU_DEP_1) | instskip(NEXT) | instid1(VALU_DEP_1)
	v_dual_min_num_f32 v39, v1, v0 :: v_dual_max_num_f32 v0, v1, v0
	v_cndmask_b32_e32 v0, v0, v39, vcc_lo
                                        ; implicit-def: $vgpr39
	s_delay_alu instid0(VALU_DEP_1) | instskip(NEXT) | instid1(VALU_DEP_1)
	v_and_b32_e32 v1, 0x7f800000, v0
	v_cmp_ne_u32_e64 s10, 0x7f800000, v1
	s_and_saveexec_b32 s12, s10
	s_delay_alu instid0(SALU_CYCLE_1)
	s_xor_b32 s10, exec_lo, s12
; %bb.458:                              ;   in Loop: Header=BB12_49 Depth=1
	v_bfe_u32 v1, v0, 16, 1
	s_delay_alu instid0(VALU_DEP_1)
	v_add3_u32 v39, v0, v1, 0x7fff
                                        ; implicit-def: $vgpr0
; %bb.459:                              ;   in Loop: Header=BB12_49 Depth=1
	s_and_not1_saveexec_b32 s12, s10
; %bb.460:                              ;   in Loop: Header=BB12_49 Depth=1
	v_and_b32_e32 v1, 0xffff, v0
	v_or_b32_e32 v39, 0x10000, v0
	s_delay_alu instid0(VALU_DEP_2) | instskip(NEXT) | instid1(VALU_DEP_1)
	v_cmp_eq_u32_e64 s10, 0, v1
	v_cndmask_b32_e64 v39, v39, v0, s10
; %bb.461:                              ;   in Loop: Header=BB12_49 Depth=1
	s_or_b32 exec_lo, exec_lo, s12
	v_and_b32_e32 v0, 0xffff0000, v18
	v_and_b32_e32 v1, 0xffff0000, v26
	s_delay_alu instid0(VALU_DEP_1) | instskip(NEXT) | instid1(VALU_DEP_1)
	v_dual_max_num_f32 v0, v0, v0 :: v_dual_max_num_f32 v1, v1, v1
	v_dual_min_num_f32 v18, v1, v0 :: v_dual_max_num_f32 v0, v1, v0
	s_delay_alu instid0(VALU_DEP_1) | instskip(NEXT) | instid1(VALU_DEP_1)
	v_cndmask_b32_e32 v0, v0, v18, vcc_lo
                                        ; implicit-def: $vgpr18
	v_and_b32_e32 v1, 0x7f800000, v0
	s_delay_alu instid0(VALU_DEP_1) | instskip(SKIP_1) | instid1(SALU_CYCLE_1)
	v_cmp_ne_u32_e64 s10, 0x7f800000, v1
	s_and_saveexec_b32 s12, s10
	s_xor_b32 s10, exec_lo, s12
; %bb.462:                              ;   in Loop: Header=BB12_49 Depth=1
	v_bfe_u32 v1, v0, 16, 1
	s_delay_alu instid0(VALU_DEP_1)
	v_add3_u32 v18, v0, v1, 0x7fff
                                        ; implicit-def: $vgpr0
; %bb.463:                              ;   in Loop: Header=BB12_49 Depth=1
	s_and_not1_saveexec_b32 s12, s10
; %bb.464:                              ;   in Loop: Header=BB12_49 Depth=1
	v_and_b32_e32 v1, 0xffff, v0
	v_or_b32_e32 v18, 0x10000, v0
	s_delay_alu instid0(VALU_DEP_2) | instskip(NEXT) | instid1(VALU_DEP_1)
	v_cmp_eq_u32_e64 s10, 0, v1
	v_cndmask_b32_e64 v18, v18, v0, s10
; %bb.465:                              ;   in Loop: Header=BB12_49 Depth=1
	s_or_b32 exec_lo, exec_lo, s12
	v_lshlrev_b32_e32 v1, 16, v27
	s_delay_alu instid0(VALU_DEP_1) | instskip(NEXT) | instid1(VALU_DEP_1)
	v_dual_max_num_f32 v1, v1, v1 :: v_dual_lshlrev_b32 v0, 16, v19
	v_max_num_f32_e32 v0, v0, v0
	s_delay_alu instid0(VALU_DEP_1) | instskip(NEXT) | instid1(VALU_DEP_1)
	v_dual_min_num_f32 v26, v1, v0 :: v_dual_max_num_f32 v0, v1, v0
	v_cndmask_b32_e32 v1, v0, v26, vcc_lo
	s_delay_alu instid0(VALU_DEP_1) | instskip(NEXT) | instid1(VALU_DEP_1)
	v_and_b32_e32 v0, 0x7f800000, v1
	v_cmp_ne_u32_e64 s10, 0x7f800000, v0
                                        ; implicit-def: $vgpr0
	s_and_saveexec_b32 s12, s10
	s_delay_alu instid0(SALU_CYCLE_1)
	s_xor_b32 s10, exec_lo, s12
; %bb.466:                              ;   in Loop: Header=BB12_49 Depth=1
	v_bfe_u32 v0, v1, 16, 1
	s_delay_alu instid0(VALU_DEP_1)
	v_add3_u32 v0, v1, v0, 0x7fff
                                        ; implicit-def: $vgpr1
; %bb.467:                              ;   in Loop: Header=BB12_49 Depth=1
	s_and_not1_saveexec_b32 s12, s10
; %bb.468:                              ;   in Loop: Header=BB12_49 Depth=1
	v_and_b32_e32 v0, 0xffff, v1
	v_or_b32_e32 v26, 0x10000, v1
	s_delay_alu instid0(VALU_DEP_2) | instskip(NEXT) | instid1(VALU_DEP_1)
	v_cmp_eq_u32_e64 s10, 0, v0
	v_cndmask_b32_e64 v0, v26, v1, s10
; %bb.469:                              ;   in Loop: Header=BB12_49 Depth=1
	s_or_b32 exec_lo, exec_lo, s12
	v_and_b32_e32 v1, 0xffff0000, v19
	v_and_b32_e32 v19, 0xffff0000, v27
	s_delay_alu instid0(VALU_DEP_1) | instskip(NEXT) | instid1(VALU_DEP_1)
	v_dual_max_num_f32 v1, v1, v1 :: v_dual_max_num_f32 v19, v19, v19
	v_dual_min_num_f32 v26, v19, v1 :: v_dual_max_num_f32 v1, v19, v1
	s_delay_alu instid0(VALU_DEP_1) | instskip(NEXT) | instid1(VALU_DEP_1)
	v_cndmask_b32_e32 v19, v1, v26, vcc_lo
	v_and_b32_e32 v1, 0x7f800000, v19
	s_delay_alu instid0(VALU_DEP_1) | instskip(SKIP_1) | instid1(SALU_CYCLE_1)
	v_cmp_ne_u32_e64 s10, 0x7f800000, v1
                                        ; implicit-def: $vgpr1
	s_and_saveexec_b32 s12, s10
	s_xor_b32 s10, exec_lo, s12
; %bb.470:                              ;   in Loop: Header=BB12_49 Depth=1
	v_bfe_u32 v1, v19, 16, 1
	s_delay_alu instid0(VALU_DEP_1)
	v_add3_u32 v1, v19, v1, 0x7fff
                                        ; implicit-def: $vgpr19
; %bb.471:                              ;   in Loop: Header=BB12_49 Depth=1
	s_and_not1_saveexec_b32 s12, s10
; %bb.472:                              ;   in Loop: Header=BB12_49 Depth=1
	v_and_b32_e32 v1, 0xffff, v19
	v_or_b32_e32 v26, 0x10000, v19
	s_delay_alu instid0(VALU_DEP_2) | instskip(NEXT) | instid1(VALU_DEP_1)
	v_cmp_eq_u32_e64 s10, 0, v1
	v_cndmask_b32_e64 v1, v26, v19, s10
; %bb.473:                              ;   in Loop: Header=BB12_49 Depth=1
	s_or_b32 exec_lo, exec_lo, s12
	v_lshlrev_b32_e32 v26, 16, v28
	s_delay_alu instid0(VALU_DEP_1) | instskip(NEXT) | instid1(VALU_DEP_1)
	v_dual_max_num_f32 v26, v26, v26 :: v_dual_lshlrev_b32 v19, 16, v20
	v_max_num_f32_e32 v19, v19, v19
	s_delay_alu instid0(VALU_DEP_1) | instskip(NEXT) | instid1(VALU_DEP_1)
	v_dual_min_num_f32 v27, v26, v19 :: v_dual_max_num_f32 v19, v26, v19
	v_cndmask_b32_e32 v26, v19, v27, vcc_lo
	s_delay_alu instid0(VALU_DEP_1) | instskip(NEXT) | instid1(VALU_DEP_1)
	v_and_b32_e32 v19, 0x7f800000, v26
	v_cmp_ne_u32_e64 s10, 0x7f800000, v19
                                        ; implicit-def: $vgpr19
	s_and_saveexec_b32 s12, s10
	s_delay_alu instid0(SALU_CYCLE_1)
	s_xor_b32 s10, exec_lo, s12
; %bb.474:                              ;   in Loop: Header=BB12_49 Depth=1
	v_bfe_u32 v19, v26, 16, 1
	s_delay_alu instid0(VALU_DEP_1)
	v_add3_u32 v19, v26, v19, 0x7fff
                                        ; implicit-def: $vgpr26
; %bb.475:                              ;   in Loop: Header=BB12_49 Depth=1
	s_and_not1_saveexec_b32 s12, s10
; %bb.476:                              ;   in Loop: Header=BB12_49 Depth=1
	v_and_b32_e32 v19, 0xffff, v26
	v_or_b32_e32 v27, 0x10000, v26
	s_delay_alu instid0(VALU_DEP_2) | instskip(NEXT) | instid1(VALU_DEP_1)
	v_cmp_eq_u32_e64 s10, 0, v19
	v_cndmask_b32_e64 v19, v27, v26, s10
; %bb.477:                              ;   in Loop: Header=BB12_49 Depth=1
	s_or_b32 exec_lo, exec_lo, s12
	v_and_b32_e32 v20, 0xffff0000, v20
	v_and_b32_e32 v26, 0xffff0000, v28
	s_delay_alu instid0(VALU_DEP_1) | instskip(NEXT) | instid1(VALU_DEP_1)
	v_dual_max_num_f32 v20, v20, v20 :: v_dual_max_num_f32 v26, v26, v26
	v_dual_min_num_f32 v27, v26, v20 :: v_dual_max_num_f32 v20, v26, v20
	s_delay_alu instid0(VALU_DEP_1) | instskip(NEXT) | instid1(VALU_DEP_1)
	v_cndmask_b32_e32 v26, v20, v27, vcc_lo
	v_and_b32_e32 v20, 0x7f800000, v26
	s_delay_alu instid0(VALU_DEP_1) | instskip(SKIP_1) | instid1(SALU_CYCLE_1)
	v_cmp_ne_u32_e64 s10, 0x7f800000, v20
                                        ; implicit-def: $vgpr20
	s_and_saveexec_b32 s12, s10
	s_xor_b32 s10, exec_lo, s12
; %bb.478:                              ;   in Loop: Header=BB12_49 Depth=1
	v_bfe_u32 v20, v26, 16, 1
	s_delay_alu instid0(VALU_DEP_1)
	v_add3_u32 v20, v26, v20, 0x7fff
                                        ; implicit-def: $vgpr26
; %bb.479:                              ;   in Loop: Header=BB12_49 Depth=1
	s_and_not1_saveexec_b32 s12, s10
; %bb.480:                              ;   in Loop: Header=BB12_49 Depth=1
	v_and_b32_e32 v20, 0xffff, v26
	v_or_b32_e32 v27, 0x10000, v26
	s_delay_alu instid0(VALU_DEP_2) | instskip(NEXT) | instid1(VALU_DEP_1)
	v_cmp_eq_u32_e64 s10, 0, v20
	v_cndmask_b32_e64 v20, v27, v26, s10
; %bb.481:                              ;   in Loop: Header=BB12_49 Depth=1
	s_or_b32 exec_lo, exec_lo, s12
	v_lshlrev_b32_e32 v27, 16, v29
	s_delay_alu instid0(VALU_DEP_1) | instskip(NEXT) | instid1(VALU_DEP_1)
	v_dual_max_num_f32 v27, v27, v27 :: v_dual_lshlrev_b32 v26, 16, v21
	v_max_num_f32_e32 v26, v26, v26
	s_delay_alu instid0(VALU_DEP_1) | instskip(NEXT) | instid1(VALU_DEP_1)
	v_dual_min_num_f32 v28, v27, v26 :: v_dual_max_num_f32 v26, v27, v26
	v_cndmask_b32_e32 v27, v26, v28, vcc_lo
	s_delay_alu instid0(VALU_DEP_1) | instskip(NEXT) | instid1(VALU_DEP_1)
	v_and_b32_e32 v26, 0x7f800000, v27
	v_cmp_ne_u32_e64 s10, 0x7f800000, v26
                                        ; implicit-def: $vgpr26
	s_and_saveexec_b32 s12, s10
	s_delay_alu instid0(SALU_CYCLE_1)
	s_xor_b32 s10, exec_lo, s12
; %bb.482:                              ;   in Loop: Header=BB12_49 Depth=1
	v_bfe_u32 v26, v27, 16, 1
	s_delay_alu instid0(VALU_DEP_1)
	v_add3_u32 v26, v27, v26, 0x7fff
                                        ; implicit-def: $vgpr27
; %bb.483:                              ;   in Loop: Header=BB12_49 Depth=1
	s_and_not1_saveexec_b32 s12, s10
; %bb.484:                              ;   in Loop: Header=BB12_49 Depth=1
	v_and_b32_e32 v26, 0xffff, v27
	v_or_b32_e32 v28, 0x10000, v27
	s_delay_alu instid0(VALU_DEP_2) | instskip(NEXT) | instid1(VALU_DEP_1)
	v_cmp_eq_u32_e64 s10, 0, v26
	v_cndmask_b32_e64 v26, v28, v27, s10
; %bb.485:                              ;   in Loop: Header=BB12_49 Depth=1
	s_or_b32 exec_lo, exec_lo, s12
	v_and_b32_e32 v21, 0xffff0000, v21
	v_and_b32_e32 v27, 0xffff0000, v29
	s_delay_alu instid0(VALU_DEP_1) | instskip(NEXT) | instid1(VALU_DEP_1)
	v_dual_max_num_f32 v21, v21, v21 :: v_dual_max_num_f32 v27, v27, v27
	v_dual_min_num_f32 v28, v27, v21 :: v_dual_max_num_f32 v21, v27, v21
	s_delay_alu instid0(VALU_DEP_1) | instskip(NEXT) | instid1(VALU_DEP_1)
	v_cndmask_b32_e32 v27, v21, v28, vcc_lo
	v_and_b32_e32 v21, 0x7f800000, v27
	s_delay_alu instid0(VALU_DEP_1) | instskip(SKIP_1) | instid1(SALU_CYCLE_1)
	v_cmp_ne_u32_e64 s10, 0x7f800000, v21
                                        ; implicit-def: $vgpr21
	s_and_saveexec_b32 s12, s10
	s_xor_b32 s10, exec_lo, s12
; %bb.486:                              ;   in Loop: Header=BB12_49 Depth=1
	v_bfe_u32 v21, v27, 16, 1
	s_delay_alu instid0(VALU_DEP_1)
	v_add3_u32 v21, v27, v21, 0x7fff
                                        ; implicit-def: $vgpr27
; %bb.487:                              ;   in Loop: Header=BB12_49 Depth=1
	s_and_not1_saveexec_b32 s12, s10
; %bb.488:                              ;   in Loop: Header=BB12_49 Depth=1
	v_and_b32_e32 v21, 0xffff, v27
	v_or_b32_e32 v28, 0x10000, v27
	s_delay_alu instid0(VALU_DEP_2) | instskip(NEXT) | instid1(VALU_DEP_1)
	v_cmp_eq_u32_e64 s10, 0, v21
	v_cndmask_b32_e64 v21, v28, v27, s10
; %bb.489:                              ;   in Loop: Header=BB12_49 Depth=1
	s_or_b32 exec_lo, exec_lo, s12
	v_lshlrev_b32_e32 v28, 16, v14
	s_delay_alu instid0(VALU_DEP_1) | instskip(NEXT) | instid1(VALU_DEP_1)
	v_dual_max_num_f32 v28, v28, v28 :: v_dual_lshlrev_b32 v27, 16, v10
	v_max_num_f32_e32 v27, v27, v27
	s_delay_alu instid0(VALU_DEP_1) | instskip(NEXT) | instid1(VALU_DEP_1)
	v_dual_min_num_f32 v29, v28, v27 :: v_dual_max_num_f32 v27, v28, v27
	v_cndmask_b32_e32 v28, v27, v29, vcc_lo
	s_delay_alu instid0(VALU_DEP_1) | instskip(NEXT) | instid1(VALU_DEP_1)
	v_and_b32_e32 v27, 0x7f800000, v28
	v_cmp_ne_u32_e64 s10, 0x7f800000, v27
                                        ; implicit-def: $vgpr27
	s_and_saveexec_b32 s12, s10
	s_delay_alu instid0(SALU_CYCLE_1)
	s_xor_b32 s10, exec_lo, s12
; %bb.490:                              ;   in Loop: Header=BB12_49 Depth=1
	v_bfe_u32 v27, v28, 16, 1
	s_delay_alu instid0(VALU_DEP_1)
	v_add3_u32 v27, v28, v27, 0x7fff
                                        ; implicit-def: $vgpr28
; %bb.491:                              ;   in Loop: Header=BB12_49 Depth=1
	s_and_not1_saveexec_b32 s12, s10
; %bb.492:                              ;   in Loop: Header=BB12_49 Depth=1
	v_and_b32_e32 v27, 0xffff, v28
	v_or_b32_e32 v29, 0x10000, v28
	s_delay_alu instid0(VALU_DEP_2) | instskip(NEXT) | instid1(VALU_DEP_1)
	v_cmp_eq_u32_e64 s10, 0, v27
	v_cndmask_b32_e64 v27, v29, v28, s10
; %bb.493:                              ;   in Loop: Header=BB12_49 Depth=1
	s_or_b32 exec_lo, exec_lo, s12
	v_and_b32_e32 v10, 0xffff0000, v10
	v_and_b32_e32 v14, 0xffff0000, v14
	s_delay_alu instid0(VALU_DEP_2) | instskip(NEXT) | instid1(VALU_DEP_2)
	v_max_num_f32_e32 v10, v10, v10
	v_max_num_f32_e32 v14, v14, v14
	s_delay_alu instid0(VALU_DEP_1) | instskip(NEXT) | instid1(VALU_DEP_1)
	v_dual_min_num_f32 v28, v14, v10 :: v_dual_max_num_f32 v10, v14, v10
	v_cndmask_b32_e32 v14, v10, v28, vcc_lo
	s_delay_alu instid0(VALU_DEP_1) | instskip(NEXT) | instid1(VALU_DEP_1)
	v_and_b32_e32 v10, 0x7f800000, v14
	v_cmp_ne_u32_e64 s10, 0x7f800000, v10
                                        ; implicit-def: $vgpr10
	s_and_saveexec_b32 s12, s10
	s_delay_alu instid0(SALU_CYCLE_1)
	s_xor_b32 s10, exec_lo, s12
; %bb.494:                              ;   in Loop: Header=BB12_49 Depth=1
	v_bfe_u32 v10, v14, 16, 1
	s_delay_alu instid0(VALU_DEP_1)
	v_add3_u32 v10, v14, v10, 0x7fff
                                        ; implicit-def: $vgpr14
; %bb.495:                              ;   in Loop: Header=BB12_49 Depth=1
	s_and_not1_saveexec_b32 s12, s10
; %bb.496:                              ;   in Loop: Header=BB12_49 Depth=1
	v_and_b32_e32 v10, 0xffff, v14
	v_or_b32_e32 v28, 0x10000, v14
	s_delay_alu instid0(VALU_DEP_2) | instskip(NEXT) | instid1(VALU_DEP_1)
	v_cmp_eq_u32_e64 s10, 0, v10
	v_cndmask_b32_e64 v10, v28, v14, s10
; %bb.497:                              ;   in Loop: Header=BB12_49 Depth=1
	s_or_b32 exec_lo, exec_lo, s12
	v_lshlrev_b32_e32 v28, 16, v15
	s_delay_alu instid0(VALU_DEP_1) | instskip(NEXT) | instid1(VALU_DEP_1)
	v_dual_lshlrev_b32 v14, 16, v11 :: v_dual_max_num_f32 v28, v28, v28
	v_max_num_f32_e32 v14, v14, v14
	s_delay_alu instid0(VALU_DEP_1) | instskip(NEXT) | instid1(VALU_DEP_1)
	v_dual_min_num_f32 v29, v28, v14 :: v_dual_max_num_f32 v14, v28, v14
	v_cndmask_b32_e32 v28, v14, v29, vcc_lo
	s_delay_alu instid0(VALU_DEP_1) | instskip(NEXT) | instid1(VALU_DEP_1)
	v_and_b32_e32 v14, 0x7f800000, v28
	v_cmp_ne_u32_e64 s10, 0x7f800000, v14
                                        ; implicit-def: $vgpr14
	s_and_saveexec_b32 s12, s10
	s_delay_alu instid0(SALU_CYCLE_1)
	s_xor_b32 s10, exec_lo, s12
; %bb.498:                              ;   in Loop: Header=BB12_49 Depth=1
	v_bfe_u32 v14, v28, 16, 1
	s_delay_alu instid0(VALU_DEP_1)
	v_add3_u32 v14, v28, v14, 0x7fff
                                        ; implicit-def: $vgpr28
; %bb.499:                              ;   in Loop: Header=BB12_49 Depth=1
	s_and_not1_saveexec_b32 s12, s10
; %bb.500:                              ;   in Loop: Header=BB12_49 Depth=1
	v_and_b32_e32 v14, 0xffff, v28
	v_or_b32_e32 v29, 0x10000, v28
	s_delay_alu instid0(VALU_DEP_2) | instskip(NEXT) | instid1(VALU_DEP_1)
	v_cmp_eq_u32_e64 s10, 0, v14
	v_cndmask_b32_e64 v14, v29, v28, s10
; %bb.501:                              ;   in Loop: Header=BB12_49 Depth=1
	s_or_b32 exec_lo, exec_lo, s12
	v_and_b32_e32 v11, 0xffff0000, v11
	v_and_b32_e32 v15, 0xffff0000, v15
	s_delay_alu instid0(VALU_DEP_2) | instskip(NEXT) | instid1(VALU_DEP_2)
	v_max_num_f32_e32 v11, v11, v11
	v_max_num_f32_e32 v15, v15, v15
	s_delay_alu instid0(VALU_DEP_1) | instskip(NEXT) | instid1(VALU_DEP_1)
	v_dual_min_num_f32 v28, v15, v11 :: v_dual_max_num_f32 v11, v15, v11
	v_cndmask_b32_e32 v15, v11, v28, vcc_lo
	s_delay_alu instid0(VALU_DEP_1) | instskip(NEXT) | instid1(VALU_DEP_1)
	v_and_b32_e32 v11, 0x7f800000, v15
	v_cmp_ne_u32_e64 s10, 0x7f800000, v11
                                        ; implicit-def: $vgpr11
	s_and_saveexec_b32 s12, s10
	s_delay_alu instid0(SALU_CYCLE_1)
	s_xor_b32 s10, exec_lo, s12
; %bb.502:                              ;   in Loop: Header=BB12_49 Depth=1
	v_bfe_u32 v11, v15, 16, 1
	s_delay_alu instid0(VALU_DEP_1)
	v_add3_u32 v11, v15, v11, 0x7fff
                                        ; implicit-def: $vgpr15
; %bb.503:                              ;   in Loop: Header=BB12_49 Depth=1
	s_and_not1_saveexec_b32 s12, s10
; %bb.504:                              ;   in Loop: Header=BB12_49 Depth=1
	v_and_b32_e32 v11, 0xffff, v15
	v_or_b32_e32 v28, 0x10000, v15
	s_delay_alu instid0(VALU_DEP_2) | instskip(NEXT) | instid1(VALU_DEP_1)
	v_cmp_eq_u32_e64 s10, 0, v11
	v_cndmask_b32_e64 v11, v28, v15, s10
; %bb.505:                              ;   in Loop: Header=BB12_49 Depth=1
	s_or_b32 exec_lo, exec_lo, s12
	v_lshlrev_b32_e32 v15, 16, v12
	s_delay_alu instid0(VALU_DEP_1) | instskip(NEXT) | instid1(VALU_DEP_1)
	v_dual_max_num_f32 v15, v15, v15 :: v_dual_lshlrev_b32 v28, 16, v16
	v_max_num_f32_e32 v28, v28, v28
	s_delay_alu instid0(VALU_DEP_1) | instskip(NEXT) | instid1(VALU_DEP_1)
	v_dual_min_num_f32 v29, v28, v15 :: v_dual_max_num_f32 v15, v28, v15
	v_cndmask_b32_e32 v28, v15, v29, vcc_lo
	s_delay_alu instid0(VALU_DEP_1) | instskip(NEXT) | instid1(VALU_DEP_1)
	v_and_b32_e32 v15, 0x7f800000, v28
	v_cmp_ne_u32_e64 s10, 0x7f800000, v15
                                        ; implicit-def: $vgpr15
	s_and_saveexec_b32 s12, s10
	s_delay_alu instid0(SALU_CYCLE_1)
	s_xor_b32 s10, exec_lo, s12
; %bb.506:                              ;   in Loop: Header=BB12_49 Depth=1
	v_bfe_u32 v15, v28, 16, 1
	s_delay_alu instid0(VALU_DEP_1)
	v_add3_u32 v15, v28, v15, 0x7fff
                                        ; implicit-def: $vgpr28
; %bb.507:                              ;   in Loop: Header=BB12_49 Depth=1
	s_and_not1_saveexec_b32 s12, s10
; %bb.508:                              ;   in Loop: Header=BB12_49 Depth=1
	v_and_b32_e32 v15, 0xffff, v28
	v_or_b32_e32 v29, 0x10000, v28
	s_delay_alu instid0(VALU_DEP_2) | instskip(NEXT) | instid1(VALU_DEP_1)
	v_cmp_eq_u32_e64 s10, 0, v15
	v_cndmask_b32_e64 v15, v29, v28, s10
; %bb.509:                              ;   in Loop: Header=BB12_49 Depth=1
	s_or_b32 exec_lo, exec_lo, s12
	v_and_b32_e32 v12, 0xffff0000, v12
	v_and_b32_e32 v16, 0xffff0000, v16
	s_delay_alu instid0(VALU_DEP_2) | instskip(NEXT) | instid1(VALU_DEP_2)
	v_max_num_f32_e32 v12, v12, v12
	v_max_num_f32_e32 v16, v16, v16
	s_delay_alu instid0(VALU_DEP_1) | instskip(NEXT) | instid1(VALU_DEP_1)
	v_dual_min_num_f32 v28, v16, v12 :: v_dual_max_num_f32 v12, v16, v12
	v_cndmask_b32_e32 v16, v12, v28, vcc_lo
	s_delay_alu instid0(VALU_DEP_1) | instskip(NEXT) | instid1(VALU_DEP_1)
	v_and_b32_e32 v12, 0x7f800000, v16
	v_cmp_ne_u32_e64 s10, 0x7f800000, v12
                                        ; implicit-def: $vgpr12
	s_and_saveexec_b32 s12, s10
	s_delay_alu instid0(SALU_CYCLE_1)
	s_xor_b32 s10, exec_lo, s12
; %bb.510:                              ;   in Loop: Header=BB12_49 Depth=1
	v_bfe_u32 v12, v16, 16, 1
	s_delay_alu instid0(VALU_DEP_1)
	v_add3_u32 v12, v16, v12, 0x7fff
                                        ; implicit-def: $vgpr16
; %bb.511:                              ;   in Loop: Header=BB12_49 Depth=1
	s_and_not1_saveexec_b32 s12, s10
; %bb.512:                              ;   in Loop: Header=BB12_49 Depth=1
	v_and_b32_e32 v12, 0xffff, v16
	v_or_b32_e32 v28, 0x10000, v16
	s_delay_alu instid0(VALU_DEP_2) | instskip(NEXT) | instid1(VALU_DEP_1)
	v_cmp_eq_u32_e64 s10, 0, v12
	v_cndmask_b32_e64 v12, v28, v16, s10
; %bb.513:                              ;   in Loop: Header=BB12_49 Depth=1
	s_or_b32 exec_lo, exec_lo, s12
	v_lshlrev_b32_e32 v28, 16, v17
	s_delay_alu instid0(VALU_DEP_1) | instskip(NEXT) | instid1(VALU_DEP_1)
	v_dual_lshlrev_b32 v16, 16, v13 :: v_dual_max_num_f32 v28, v28, v28
	v_max_num_f32_e32 v16, v16, v16
	s_delay_alu instid0(VALU_DEP_1) | instskip(NEXT) | instid1(VALU_DEP_1)
	v_dual_min_num_f32 v29, v28, v16 :: v_dual_max_num_f32 v16, v28, v16
	v_cndmask_b32_e32 v28, v16, v29, vcc_lo
	s_delay_alu instid0(VALU_DEP_1) | instskip(NEXT) | instid1(VALU_DEP_1)
	v_and_b32_e32 v16, 0x7f800000, v28
	v_cmp_ne_u32_e64 s10, 0x7f800000, v16
                                        ; implicit-def: $vgpr16
	s_and_saveexec_b32 s12, s10
	s_delay_alu instid0(SALU_CYCLE_1)
	s_xor_b32 s10, exec_lo, s12
; %bb.514:                              ;   in Loop: Header=BB12_49 Depth=1
	v_bfe_u32 v16, v28, 16, 1
	s_delay_alu instid0(VALU_DEP_1)
	v_add3_u32 v16, v28, v16, 0x7fff
                                        ; implicit-def: $vgpr28
; %bb.515:                              ;   in Loop: Header=BB12_49 Depth=1
	s_and_not1_saveexec_b32 s12, s10
; %bb.516:                              ;   in Loop: Header=BB12_49 Depth=1
	v_and_b32_e32 v16, 0xffff, v28
	v_or_b32_e32 v29, 0x10000, v28
	s_delay_alu instid0(VALU_DEP_2) | instskip(NEXT) | instid1(VALU_DEP_1)
	v_cmp_eq_u32_e64 s10, 0, v16
	v_cndmask_b32_e64 v16, v29, v28, s10
; %bb.517:                              ;   in Loop: Header=BB12_49 Depth=1
	s_or_b32 exec_lo, exec_lo, s12
	v_and_b32_e32 v13, 0xffff0000, v13
	v_and_b32_e32 v17, 0xffff0000, v17
	s_delay_alu instid0(VALU_DEP_2) | instskip(NEXT) | instid1(VALU_DEP_2)
	v_max_num_f32_e32 v13, v13, v13
	v_max_num_f32_e32 v17, v17, v17
	s_delay_alu instid0(VALU_DEP_1) | instskip(NEXT) | instid1(VALU_DEP_1)
	v_dual_min_num_f32 v28, v17, v13 :: v_dual_max_num_f32 v13, v17, v13
	v_cndmask_b32_e32 v17, v13, v28, vcc_lo
	s_delay_alu instid0(VALU_DEP_1) | instskip(NEXT) | instid1(VALU_DEP_1)
	v_and_b32_e32 v13, 0x7f800000, v17
	v_cmp_ne_u32_e32 vcc_lo, 0x7f800000, v13
                                        ; implicit-def: $vgpr13
	s_and_saveexec_b32 s10, vcc_lo
	s_delay_alu instid0(SALU_CYCLE_1)
	s_xor_b32 s10, exec_lo, s10
; %bb.518:                              ;   in Loop: Header=BB12_49 Depth=1
	v_bfe_u32 v13, v17, 16, 1
	s_delay_alu instid0(VALU_DEP_1)
	v_add3_u32 v13, v17, v13, 0x7fff
                                        ; implicit-def: $vgpr17
; %bb.519:                              ;   in Loop: Header=BB12_49 Depth=1
	s_and_not1_saveexec_b32 s10, s10
; %bb.520:                              ;   in Loop: Header=BB12_49 Depth=1
	v_and_b32_e32 v13, 0xffff, v17
	v_or_b32_e32 v28, 0x10000, v17
	s_delay_alu instid0(VALU_DEP_2) | instskip(NEXT) | instid1(VALU_DEP_2)
	v_cmp_eq_u32_e32 vcc_lo, 0, v13
	v_cndmask_b32_e32 v13, v28, v17, vcc_lo
; %bb.521:                              ;   in Loop: Header=BB12_49 Depth=1
	s_or_b32 exec_lo, exec_lo, s10
	v_dual_lshrrev_b32 v0, 16, v0 :: v_dual_lshrrev_b32 v17, 16, v39
	v_dual_lshrrev_b32 v28, 16, v19 :: v_dual_lshrrev_b32 v26, 16, v26
	v_lshrrev_b32_e32 v29, 16, v36
	s_delay_alu instid0(VALU_DEP_3) | instskip(SKIP_4) | instid1(VALU_DEP_4)
	v_and_or_b32 v19, 0xffff0000, v1, v0
	v_dual_lshrrev_b32 v0, 16, v48 :: v_dual_lshrrev_b32 v1, 16, v38
	v_and_or_b32 v18, 0xffff0000, v18, v17
	v_lshrrev_b32_e32 v17, 16, v30
	v_lshrrev_b32_e32 v2, 16, v2
	v_and_or_b32 v22, 0xffff0000, v22, v0
	v_lshrrev_b32_e32 v0, 16, v37
	v_and_or_b32 v21, 0xffff0000, v21, v26
	;; [unrolled: 2-line block ×3, first 2 shown]
	v_and_or_b32 v1, 0xffff0000, v31, v17
	v_and_or_b32 v24, 0xffff0000, v24, v0
	v_lshrrev_b32_e32 v17, 16, v27
	v_and_or_b32 v0, 0xffff0000, v3, v2
	v_dual_lshrrev_b32 v3, 16, v34 :: v_dual_lshrrev_b32 v15, 16, v15
	v_dual_lshrrev_b32 v14, 16, v14 :: v_dual_lshrrev_b32 v16, 16, v16
	v_and_or_b32 v2, 0xffff0000, v33, v26
	s_delay_alu instid0(VALU_DEP_3)
	v_and_or_b32 v3, 0xffff0000, v35, v3
	v_and_or_b32 v23, 0xffff0000, v23, v29
	;; [unrolled: 1-line block ×7, first 2 shown]
	s_clause 0x3
	global_store_b128 v[122:123], v[0:3], off th:TH_STORE_NT
	global_store_b128 v[122:123], v[22:25], off offset:512 th:TH_STORE_NT
	global_store_b128 v[122:123], v[18:21], off offset:1024 th:TH_STORE_NT
	;; [unrolled: 1-line block ×3, first 2 shown]
.LBB12_522:                             ;   in Loop: Header=BB12_49 Depth=1
	s_wait_xcnt 0x0
	s_or_b32 exec_lo, exec_lo, s11
	s_wait_loadcnt 0x0
	v_lshlrev_b32_e32 v22, 11, v49
	s_mov_b32 s40, exec_lo
                                        ; implicit-def: $vgpr14
                                        ; implicit-def: $vgpr0
                                        ; implicit-def: $vgpr15
	s_delay_alu instid0(VALU_DEP_1)
	v_cmpx_ne_u32_e64 v105, v22
	s_cbranch_execz .LBB12_637
; %bb.523:                              ;   in Loop: Header=BB12_49 Depth=1
	v_lshlrev_b32_e32 v0, 5, v90
	v_sub_nc_u32_e32 v2, v105, v22
	s_mov_b32 s11, 0
	s_mov_b32 s41, exec_lo
	s_delay_alu instid0(VALU_DEP_1) | instskip(NEXT) | instid1(VALU_DEP_1)
	v_dual_sub_nc_u32 v0, v117, v0 :: v_dual_ashrrev_i32 v10, 31, v2
	v_ashrrev_i32_e32 v1, 31, v0
	s_delay_alu instid0(VALU_DEP_1) | instskip(NEXT) | instid1(VALU_DEP_1)
	v_lshrrev_b32_e32 v1, 27, v1
	v_add_nc_u32_e32 v1, v0, v1
	s_delay_alu instid0(VALU_DEP_1) | instskip(NEXT) | instid1(VALU_DEP_1)
	v_and_b32_e32 v3, 0xffffffe0, v1
	v_dual_sub_nc_u32 v23, v0, v3 :: v_dual_lshrrev_b32 v0, 23, v10
	s_delay_alu instid0(VALU_DEP_1) | instskip(NEXT) | instid1(VALU_DEP_2)
	v_dual_ashrrev_i32 v1, 5, v1 :: v_dual_lshlrev_b32 v3, 4, v23
	v_add_nc_u32_e32 v0, v2, v0
	s_delay_alu instid0(VALU_DEP_2) | instskip(NEXT) | instid1(VALU_DEP_2)
	v_lshl_add_u32 v3, v1, 9, v3
	v_and_b32_e32 v24, 0xfffffe00, v0
	s_delay_alu instid0(VALU_DEP_1) | instskip(NEXT) | instid1(VALU_DEP_1)
	v_dual_add_nc_u32 v10, v3, v22 :: v_dual_sub_nc_u32 v25, v2, v24
	v_dual_ashrrev_i32 v0, 9, v0 :: v_dual_ashrrev_i32 v11, 31, v10
	s_delay_alu instid0(VALU_DEP_2) | instskip(NEXT) | instid1(VALU_DEP_1)
	v_cmp_lt_i32_e64 s10, 15, v25
	v_add_co_ci_u32_e64 v0, null, 0, v0, s10
	v_sub_nc_u32_e32 v27, v2, v3
	s_delay_alu instid0(VALU_DEP_4) | instskip(NEXT) | instid1(VALU_DEP_3)
	v_add_nc_u64_e32 v[2:3], v[10:11], v[120:121]
	v_sub_nc_u32_e32 v26, v0, v1
	s_delay_alu instid0(VALU_DEP_3)
	v_cmpx_lt_i32_e32 15, v27
	s_cbranch_execz .LBB12_600
; %bb.524:                              ;   in Loop: Header=BB12_49 Depth=1
	s_trap 2
	ds_load_b64 v[0:1], v0
	v_add_nc_u64_e32 v[18:19], v[10:11], v[110:111]
	s_and_b32 s11, 0xffff, s28
	s_mov_b32 s44, 0
	s_cmp_eq_u32 s11, 0
	s_mov_b32 s42, 0
	s_cselect_b32 s11, -1, 0
                                        ; implicit-def: $sgpr43
	s_wait_dscnt 0x0
	v_add_nc_u64_e32 v[20:21], v[0:1], v[10:11]
	s_branch .LBB12_526
.LBB12_525:                             ;   in Loop: Header=BB12_526 Depth=2
	s_or_b32 exec_lo, exec_lo, s12
	s_delay_alu instid0(VALU_DEP_1) | instskip(SKIP_3) | instid1(SALU_CYCLE_1)
	v_cmp_gt_i32_e32 vcc_lo, 16, v27
	s_or_b32 s42, vcc_lo, s42
	s_and_not1_b32 s12, s43, exec_lo
	s_and_b32 s13, s44, exec_lo
	s_or_b32 s43, s12, s13
	s_and_not1_b32 exec_lo, exec_lo, s42
	s_cbranch_execz .LBB12_599
.LBB12_526:                             ;   Parent Loop BB12_49 Depth=1
                                        ; =>  This Loop Header: Depth=2
                                        ;       Child Loop BB12_527 Depth 3
                                        ;       Child Loop BB12_564 Depth 3
	s_add_co_i32 s12, s33, 0xc0
	s_mov_b64 s[14:15], 0
	s_mov_b32 s45, s12
	s_mov_b32 s46, -1
.LBB12_527:                             ;   Parent Loop BB12_49 Depth=1
                                        ;     Parent Loop BB12_526 Depth=2
                                        ; =>    This Inner Loop Header: Depth=3
	s_cmp_eq_u32 s14, 1
	s_cselect_b32 vcc_lo, -1, 0
	s_cmp_eq_u32 s14, 0
	v_dual_cndmask_b32 v1, v19, v21 :: v_dual_cndmask_b32 v0, v18, v20
	s_cselect_b32 s12, -1, 0
	s_and_b32 s13, exec_lo, s46
	s_mov_b64 s[14:15], 1
	s_mov_b32 s46, 0
	global_load_b128 v[10:13], v[0:1], off th:TH_LOAD_NT
	s_wait_xcnt 0x0
	v_add_nc_u64_e32 v[0:1], 0x200, v[0:1]
	s_delay_alu instid0(VALU_DEP_1)
	v_dual_cndmask_b32 v19, v19, v1, s12 :: v_dual_cndmask_b32 v18, v18, v0, s12
	v_dual_cndmask_b32 v21, v21, v1 :: v_dual_cndmask_b32 v20, v20, v0
	s_mov_b32 vcc_lo, s13
	s_wait_loadcnt 0x0
	scratch_store_b128 off, v[10:13], s45
	s_wait_xcnt 0x0
	s_mov_b32 s45, s24
	s_cbranch_vccnz .LBB12_527
; %bb.528:                              ;   in Loop: Header=BB12_526 Depth=2
	s_and_saveexec_b32 s12, s44
	s_cbranch_execz .LBB12_562
; %bb.529:                              ;   in Loop: Header=BB12_526 Depth=2
	s_clause 0x1
	scratch_load_b128 v[14:17], off, s33 offset:240
	scratch_load_b128 v[10:13], off, s33 offset:224
	s_wait_loadcnt 0x0
	v_lshlrev_b32_e32 v1, 16, v10
	s_delay_alu instid0(VALU_DEP_1) | instskip(NEXT) | instid1(VALU_DEP_1)
	v_dual_max_num_f32 v1, v1, v1 :: v_dual_lshlrev_b32 v0, 16, v14
	v_max_num_f32_e32 v0, v0, v0
	s_delay_alu instid0(VALU_DEP_1) | instskip(NEXT) | instid1(VALU_DEP_1)
	v_dual_min_num_f32 v28, v1, v0 :: v_dual_max_num_f32 v0, v1, v0
	v_cndmask_b32_e64 v1, v0, v28, s11
	s_delay_alu instid0(VALU_DEP_1) | instskip(NEXT) | instid1(VALU_DEP_1)
	v_and_b32_e32 v0, 0x7f800000, v1
	v_cmp_ne_u32_e32 vcc_lo, 0x7f800000, v0
                                        ; implicit-def: $vgpr0
	s_wait_xcnt 0x0
	s_and_saveexec_b32 s13, vcc_lo
	s_delay_alu instid0(SALU_CYCLE_1)
	s_xor_b32 s13, exec_lo, s13
; %bb.530:                              ;   in Loop: Header=BB12_526 Depth=2
	v_bfe_u32 v0, v1, 16, 1
	s_delay_alu instid0(VALU_DEP_1)
	v_add3_u32 v0, v1, v0, 0x7fff
                                        ; implicit-def: $vgpr1
; %bb.531:                              ;   in Loop: Header=BB12_526 Depth=2
	s_and_not1_saveexec_b32 s13, s13
; %bb.532:                              ;   in Loop: Header=BB12_526 Depth=2
	v_and_b32_e32 v0, 0xffff, v1
	v_or_b32_e32 v28, 0x10000, v1
	s_delay_alu instid0(VALU_DEP_2) | instskip(NEXT) | instid1(VALU_DEP_2)
	v_cmp_eq_u32_e32 vcc_lo, 0, v0
	v_cndmask_b32_e32 v0, v28, v1, vcc_lo
; %bb.533:                              ;   in Loop: Header=BB12_526 Depth=2
	s_or_b32 exec_lo, exec_lo, s13
	v_and_b32_e32 v1, 0xffff0000, v14
	v_and_b32_e32 v10, 0xffff0000, v10
	s_delay_alu instid0(VALU_DEP_1) | instskip(NEXT) | instid1(VALU_DEP_1)
	v_dual_max_num_f32 v1, v1, v1 :: v_dual_max_num_f32 v10, v10, v10
	v_dual_min_num_f32 v14, v10, v1 :: v_dual_max_num_f32 v1, v10, v1
	s_delay_alu instid0(VALU_DEP_1) | instskip(NEXT) | instid1(VALU_DEP_1)
	v_cndmask_b32_e64 v10, v1, v14, s11
	v_and_b32_e32 v1, 0x7f800000, v10
	s_delay_alu instid0(VALU_DEP_1) | instskip(SKIP_1) | instid1(SALU_CYCLE_1)
	v_cmp_ne_u32_e32 vcc_lo, 0x7f800000, v1
                                        ; implicit-def: $vgpr1
	s_and_saveexec_b32 s13, vcc_lo
	s_xor_b32 s13, exec_lo, s13
; %bb.534:                              ;   in Loop: Header=BB12_526 Depth=2
	v_bfe_u32 v1, v10, 16, 1
	s_delay_alu instid0(VALU_DEP_1)
	v_add3_u32 v1, v10, v1, 0x7fff
                                        ; implicit-def: $vgpr10
; %bb.535:                              ;   in Loop: Header=BB12_526 Depth=2
	s_and_not1_saveexec_b32 s13, s13
; %bb.536:                              ;   in Loop: Header=BB12_526 Depth=2
	v_and_b32_e32 v1, 0xffff, v10
	v_or_b32_e32 v14, 0x10000, v10
	s_delay_alu instid0(VALU_DEP_2) | instskip(NEXT) | instid1(VALU_DEP_2)
	v_cmp_eq_u32_e32 vcc_lo, 0, v1
	v_cndmask_b32_e32 v1, v14, v10, vcc_lo
; %bb.537:                              ;   in Loop: Header=BB12_526 Depth=2
	s_or_b32 exec_lo, exec_lo, s13
	v_lshlrev_b32_e32 v14, 16, v11
	s_delay_alu instid0(VALU_DEP_1) | instskip(NEXT) | instid1(VALU_DEP_1)
	v_dual_lshlrev_b32 v10, 16, v15 :: v_dual_max_num_f32 v14, v14, v14
	v_max_num_f32_e32 v10, v10, v10
	s_delay_alu instid0(VALU_DEP_1) | instskip(NEXT) | instid1(VALU_DEP_1)
	v_dual_min_num_f32 v28, v14, v10 :: v_dual_max_num_f32 v10, v14, v10
	v_cndmask_b32_e64 v14, v10, v28, s11
	s_delay_alu instid0(VALU_DEP_1) | instskip(NEXT) | instid1(VALU_DEP_1)
	v_and_b32_e32 v10, 0x7f800000, v14
	v_cmp_ne_u32_e32 vcc_lo, 0x7f800000, v10
                                        ; implicit-def: $vgpr10
	s_and_saveexec_b32 s13, vcc_lo
	s_delay_alu instid0(SALU_CYCLE_1)
	s_xor_b32 s13, exec_lo, s13
; %bb.538:                              ;   in Loop: Header=BB12_526 Depth=2
	v_bfe_u32 v10, v14, 16, 1
	s_delay_alu instid0(VALU_DEP_1)
	v_add3_u32 v10, v14, v10, 0x7fff
                                        ; implicit-def: $vgpr14
; %bb.539:                              ;   in Loop: Header=BB12_526 Depth=2
	s_and_not1_saveexec_b32 s13, s13
; %bb.540:                              ;   in Loop: Header=BB12_526 Depth=2
	v_and_b32_e32 v10, 0xffff, v14
	v_or_b32_e32 v28, 0x10000, v14
	s_delay_alu instid0(VALU_DEP_2) | instskip(NEXT) | instid1(VALU_DEP_2)
	v_cmp_eq_u32_e32 vcc_lo, 0, v10
	v_cndmask_b32_e32 v10, v28, v14, vcc_lo
; %bb.541:                              ;   in Loop: Header=BB12_526 Depth=2
	s_or_b32 exec_lo, exec_lo, s13
	v_and_b32_e32 v14, 0xffff0000, v15
	v_and_b32_e32 v11, 0xffff0000, v11
	s_delay_alu instid0(VALU_DEP_1) | instskip(NEXT) | instid1(VALU_DEP_1)
	v_dual_max_num_f32 v14, v14, v14 :: v_dual_max_num_f32 v11, v11, v11
	v_dual_min_num_f32 v15, v11, v14 :: v_dual_max_num_f32 v11, v11, v14
	s_delay_alu instid0(VALU_DEP_1) | instskip(NEXT) | instid1(VALU_DEP_1)
	v_cndmask_b32_e64 v14, v11, v15, s11
	v_and_b32_e32 v11, 0x7f800000, v14
	s_delay_alu instid0(VALU_DEP_1) | instskip(SKIP_1) | instid1(SALU_CYCLE_1)
	v_cmp_ne_u32_e32 vcc_lo, 0x7f800000, v11
                                        ; implicit-def: $vgpr11
	s_and_saveexec_b32 s13, vcc_lo
	s_xor_b32 s13, exec_lo, s13
; %bb.542:                              ;   in Loop: Header=BB12_526 Depth=2
	v_bfe_u32 v11, v14, 16, 1
	s_delay_alu instid0(VALU_DEP_1)
	v_add3_u32 v11, v14, v11, 0x7fff
                                        ; implicit-def: $vgpr14
; %bb.543:                              ;   in Loop: Header=BB12_526 Depth=2
	s_and_not1_saveexec_b32 s13, s13
; %bb.544:                              ;   in Loop: Header=BB12_526 Depth=2
	v_and_b32_e32 v11, 0xffff, v14
	v_or_b32_e32 v15, 0x10000, v14
	s_delay_alu instid0(VALU_DEP_2) | instskip(NEXT) | instid1(VALU_DEP_2)
	v_cmp_eq_u32_e32 vcc_lo, 0, v11
	v_cndmask_b32_e32 v11, v15, v14, vcc_lo
; %bb.545:                              ;   in Loop: Header=BB12_526 Depth=2
	s_or_b32 exec_lo, exec_lo, s13
	v_lshlrev_b32_e32 v15, 16, v12
	s_delay_alu instid0(VALU_DEP_1) | instskip(NEXT) | instid1(VALU_DEP_1)
	v_dual_max_num_f32 v15, v15, v15 :: v_dual_lshlrev_b32 v14, 16, v16
	v_max_num_f32_e32 v14, v14, v14
	s_delay_alu instid0(VALU_DEP_1) | instskip(NEXT) | instid1(VALU_DEP_1)
	v_dual_min_num_f32 v28, v15, v14 :: v_dual_max_num_f32 v14, v15, v14
	v_cndmask_b32_e64 v15, v14, v28, s11
	s_delay_alu instid0(VALU_DEP_1) | instskip(NEXT) | instid1(VALU_DEP_1)
	v_and_b32_e32 v14, 0x7f800000, v15
	v_cmp_ne_u32_e32 vcc_lo, 0x7f800000, v14
                                        ; implicit-def: $vgpr14
	s_and_saveexec_b32 s13, vcc_lo
	s_delay_alu instid0(SALU_CYCLE_1)
	s_xor_b32 s13, exec_lo, s13
; %bb.546:                              ;   in Loop: Header=BB12_526 Depth=2
	v_bfe_u32 v14, v15, 16, 1
	s_delay_alu instid0(VALU_DEP_1)
	v_add3_u32 v14, v15, v14, 0x7fff
                                        ; implicit-def: $vgpr15
; %bb.547:                              ;   in Loop: Header=BB12_526 Depth=2
	s_and_not1_saveexec_b32 s13, s13
; %bb.548:                              ;   in Loop: Header=BB12_526 Depth=2
	v_and_b32_e32 v14, 0xffff, v15
	v_or_b32_e32 v28, 0x10000, v15
	s_delay_alu instid0(VALU_DEP_2) | instskip(NEXT) | instid1(VALU_DEP_2)
	v_cmp_eq_u32_e32 vcc_lo, 0, v14
	v_cndmask_b32_e32 v14, v28, v15, vcc_lo
; %bb.549:                              ;   in Loop: Header=BB12_526 Depth=2
	s_or_b32 exec_lo, exec_lo, s13
	v_and_b32_e32 v15, 0xffff0000, v16
	v_and_b32_e32 v12, 0xffff0000, v12
	s_delay_alu instid0(VALU_DEP_1) | instskip(NEXT) | instid1(VALU_DEP_1)
	v_dual_max_num_f32 v15, v15, v15 :: v_dual_max_num_f32 v12, v12, v12
	v_dual_min_num_f32 v16, v12, v15 :: v_dual_max_num_f32 v12, v12, v15
	s_delay_alu instid0(VALU_DEP_1) | instskip(NEXT) | instid1(VALU_DEP_1)
	v_cndmask_b32_e64 v15, v12, v16, s11
	v_and_b32_e32 v12, 0x7f800000, v15
	s_delay_alu instid0(VALU_DEP_1) | instskip(SKIP_1) | instid1(SALU_CYCLE_1)
	v_cmp_ne_u32_e32 vcc_lo, 0x7f800000, v12
                                        ; implicit-def: $vgpr12
	s_and_saveexec_b32 s13, vcc_lo
	s_xor_b32 s13, exec_lo, s13
; %bb.550:                              ;   in Loop: Header=BB12_526 Depth=2
	v_bfe_u32 v12, v15, 16, 1
	s_delay_alu instid0(VALU_DEP_1)
	v_add3_u32 v12, v15, v12, 0x7fff
                                        ; implicit-def: $vgpr15
; %bb.551:                              ;   in Loop: Header=BB12_526 Depth=2
	s_and_not1_saveexec_b32 s13, s13
; %bb.552:                              ;   in Loop: Header=BB12_526 Depth=2
	v_and_b32_e32 v12, 0xffff, v15
	v_or_b32_e32 v16, 0x10000, v15
	s_delay_alu instid0(VALU_DEP_2) | instskip(NEXT) | instid1(VALU_DEP_2)
	v_cmp_eq_u32_e32 vcc_lo, 0, v12
	v_cndmask_b32_e32 v12, v16, v15, vcc_lo
; %bb.553:                              ;   in Loop: Header=BB12_526 Depth=2
	s_or_b32 exec_lo, exec_lo, s13
	v_lshlrev_b32_e32 v16, 16, v13
	s_delay_alu instid0(VALU_DEP_1) | instskip(NEXT) | instid1(VALU_DEP_1)
	v_dual_max_num_f32 v16, v16, v16 :: v_dual_lshlrev_b32 v15, 16, v17
	v_max_num_f32_e32 v15, v15, v15
	s_delay_alu instid0(VALU_DEP_1) | instskip(NEXT) | instid1(VALU_DEP_1)
	v_dual_min_num_f32 v28, v16, v15 :: v_dual_max_num_f32 v15, v16, v15
	v_cndmask_b32_e64 v16, v15, v28, s11
	s_delay_alu instid0(VALU_DEP_1) | instskip(NEXT) | instid1(VALU_DEP_1)
	v_and_b32_e32 v15, 0x7f800000, v16
	v_cmp_ne_u32_e32 vcc_lo, 0x7f800000, v15
                                        ; implicit-def: $vgpr15
	s_and_saveexec_b32 s13, vcc_lo
	s_delay_alu instid0(SALU_CYCLE_1)
	s_xor_b32 s13, exec_lo, s13
; %bb.554:                              ;   in Loop: Header=BB12_526 Depth=2
	v_bfe_u32 v15, v16, 16, 1
	s_delay_alu instid0(VALU_DEP_1)
	v_add3_u32 v15, v16, v15, 0x7fff
                                        ; implicit-def: $vgpr16
; %bb.555:                              ;   in Loop: Header=BB12_526 Depth=2
	s_and_not1_saveexec_b32 s13, s13
; %bb.556:                              ;   in Loop: Header=BB12_526 Depth=2
	v_and_b32_e32 v15, 0xffff, v16
	v_or_b32_e32 v28, 0x10000, v16
	s_delay_alu instid0(VALU_DEP_2) | instskip(NEXT) | instid1(VALU_DEP_2)
	v_cmp_eq_u32_e32 vcc_lo, 0, v15
	v_cndmask_b32_e32 v15, v28, v16, vcc_lo
; %bb.557:                              ;   in Loop: Header=BB12_526 Depth=2
	s_or_b32 exec_lo, exec_lo, s13
	v_and_b32_e32 v16, 0xffff0000, v17
	v_and_b32_e32 v13, 0xffff0000, v13
	s_delay_alu instid0(VALU_DEP_1) | instskip(NEXT) | instid1(VALU_DEP_1)
	v_dual_max_num_f32 v16, v16, v16 :: v_dual_max_num_f32 v13, v13, v13
	v_dual_min_num_f32 v17, v13, v16 :: v_dual_max_num_f32 v13, v13, v16
	s_delay_alu instid0(VALU_DEP_1) | instskip(NEXT) | instid1(VALU_DEP_1)
	v_cndmask_b32_e64 v16, v13, v17, s11
	v_and_b32_e32 v13, 0x7f800000, v16
	s_delay_alu instid0(VALU_DEP_1) | instskip(SKIP_1) | instid1(SALU_CYCLE_1)
	v_cmp_ne_u32_e32 vcc_lo, 0x7f800000, v13
                                        ; implicit-def: $vgpr13
	s_and_saveexec_b32 s13, vcc_lo
	s_xor_b32 s13, exec_lo, s13
; %bb.558:                              ;   in Loop: Header=BB12_526 Depth=2
	v_bfe_u32 v13, v16, 16, 1
	s_delay_alu instid0(VALU_DEP_1)
	v_add3_u32 v13, v16, v13, 0x7fff
                                        ; implicit-def: $vgpr16
; %bb.559:                              ;   in Loop: Header=BB12_526 Depth=2
	s_and_not1_saveexec_b32 s13, s13
; %bb.560:                              ;   in Loop: Header=BB12_526 Depth=2
	v_and_b32_e32 v13, 0xffff, v16
	v_or_b32_e32 v17, 0x10000, v16
	s_delay_alu instid0(VALU_DEP_2) | instskip(NEXT) | instid1(VALU_DEP_2)
	v_cmp_eq_u32_e32 vcc_lo, 0, v13
	v_cndmask_b32_e32 v13, v17, v16, vcc_lo
; %bb.561:                              ;   in Loop: Header=BB12_526 Depth=2
	s_or_b32 exec_lo, exec_lo, s13
	v_dual_lshrrev_b32 v10, 16, v10 :: v_dual_lshrrev_b32 v0, 16, v0
	v_dual_lshrrev_b32 v14, 16, v14 :: v_dual_lshrrev_b32 v15, 16, v15
	s_delay_alu instid0(VALU_DEP_2) | instskip(NEXT) | instid1(VALU_DEP_3)
	v_and_or_b32 v11, 0xffff0000, v11, v10
	v_and_or_b32 v10, 0xffff0000, v1, v0
	v_add_nc_u64_e32 v[0:1], 0x200, v[76:77]
	s_delay_alu instid0(VALU_DEP_4)
	v_and_or_b32 v12, 0xffff0000, v12, v14
	v_and_or_b32 v13, 0xffff0000, v13, v15
	global_store_b128 v[2:3], v[10:13], off th:TH_STORE_NT
	s_wait_xcnt 0x0
	v_add_nc_u64_e32 v[2:3], v[0:1], v[2:3]
	scratch_store_b128 off, v[10:13], s33 offset:224
.LBB12_562:                             ;   in Loop: Header=BB12_526 Depth=2
	s_wait_xcnt 0x0
	s_or_b32 exec_lo, exec_lo, s12
	v_sub_nc_u32_e32 v27, v27, v45
	v_add_nc_u64_e32 v[18:19], v[18:19], v[76:77]
	v_add_nc_u64_e32 v[20:21], v[20:21], v[76:77]
	s_delay_alu instid0(VALU_DEP_3)
	v_cmp_lt_i32_e64 s44, 15, v27
	s_and_saveexec_b32 s45, s44
	s_cbranch_execz .LBB12_565
; %bb.563:                              ;   in Loop: Header=BB12_526 Depth=2
	s_add_co_i32 s12, s33, 0xe0
	s_mov_b64 s[14:15], 0
	s_mov_b32 s46, s12
	s_mov_b32 s47, -1
.LBB12_564:                             ;   Parent Loop BB12_49 Depth=1
                                        ;     Parent Loop BB12_526 Depth=2
                                        ; =>    This Inner Loop Header: Depth=3
	s_cmp_eq_u32 s14, 1
	s_cselect_b32 vcc_lo, -1, 0
	s_cmp_eq_u32 s14, 0
	v_dual_cndmask_b32 v1, v19, v21 :: v_dual_cndmask_b32 v0, v18, v20
	s_cselect_b32 s12, -1, 0
	s_and_b32 s13, exec_lo, s47
	s_mov_b64 s[14:15], 1
	s_mov_b32 s47, 0
	global_load_b128 v[10:13], v[0:1], off th:TH_LOAD_NT
	s_wait_xcnt 0x0
	v_add_nc_u64_e32 v[0:1], 0x200, v[0:1]
	s_delay_alu instid0(VALU_DEP_1)
	v_dual_cndmask_b32 v19, v19, v1, s12 :: v_dual_cndmask_b32 v18, v18, v0, s12
	v_dual_cndmask_b32 v21, v21, v1 :: v_dual_cndmask_b32 v20, v20, v0
	s_mov_b32 vcc_lo, s13
	s_wait_loadcnt 0x0
	scratch_store_b128 off, v[10:13], s46
	s_wait_xcnt 0x0
	s_mov_b32 s46, s23
	s_cbranch_vccnz .LBB12_564
.LBB12_565:                             ;   in Loop: Header=BB12_526 Depth=2
	s_or_b32 exec_lo, exec_lo, s45
	s_clause 0x1
	scratch_load_b128 v[14:17], off, s33 offset:208
	scratch_load_b128 v[10:13], off, s33 offset:192
	s_wait_loadcnt 0x0
	v_lshlrev_b32_e32 v1, 16, v10
	s_delay_alu instid0(VALU_DEP_1) | instskip(NEXT) | instid1(VALU_DEP_1)
	v_dual_max_num_f32 v1, v1, v1 :: v_dual_lshlrev_b32 v0, 16, v14
	v_max_num_f32_e32 v0, v0, v0
	s_delay_alu instid0(VALU_DEP_1) | instskip(NEXT) | instid1(VALU_DEP_1)
	v_dual_min_num_f32 v28, v1, v0 :: v_dual_max_num_f32 v0, v1, v0
	v_cndmask_b32_e64 v1, v0, v28, s11
	s_delay_alu instid0(VALU_DEP_1) | instskip(NEXT) | instid1(VALU_DEP_1)
	v_and_b32_e32 v0, 0x7f800000, v1
	v_cmp_ne_u32_e32 vcc_lo, 0x7f800000, v0
                                        ; implicit-def: $vgpr0
	s_wait_xcnt 0x0
	s_and_saveexec_b32 s12, vcc_lo
	s_delay_alu instid0(SALU_CYCLE_1)
	s_xor_b32 s12, exec_lo, s12
; %bb.566:                              ;   in Loop: Header=BB12_526 Depth=2
	v_bfe_u32 v0, v1, 16, 1
	s_delay_alu instid0(VALU_DEP_1)
	v_add3_u32 v0, v1, v0, 0x7fff
                                        ; implicit-def: $vgpr1
; %bb.567:                              ;   in Loop: Header=BB12_526 Depth=2
	s_and_not1_saveexec_b32 s12, s12
; %bb.568:                              ;   in Loop: Header=BB12_526 Depth=2
	v_and_b32_e32 v0, 0xffff, v1
	v_or_b32_e32 v28, 0x10000, v1
	s_delay_alu instid0(VALU_DEP_2) | instskip(NEXT) | instid1(VALU_DEP_2)
	v_cmp_eq_u32_e32 vcc_lo, 0, v0
	v_cndmask_b32_e32 v0, v28, v1, vcc_lo
; %bb.569:                              ;   in Loop: Header=BB12_526 Depth=2
	s_or_b32 exec_lo, exec_lo, s12
	v_and_b32_e32 v1, 0xffff0000, v14
	v_and_b32_e32 v10, 0xffff0000, v10
	s_delay_alu instid0(VALU_DEP_1) | instskip(NEXT) | instid1(VALU_DEP_1)
	v_dual_max_num_f32 v1, v1, v1 :: v_dual_max_num_f32 v10, v10, v10
	v_dual_min_num_f32 v14, v10, v1 :: v_dual_max_num_f32 v1, v10, v1
	s_delay_alu instid0(VALU_DEP_1) | instskip(NEXT) | instid1(VALU_DEP_1)
	v_cndmask_b32_e64 v10, v1, v14, s11
	v_and_b32_e32 v1, 0x7f800000, v10
	s_delay_alu instid0(VALU_DEP_1) | instskip(SKIP_1) | instid1(SALU_CYCLE_1)
	v_cmp_ne_u32_e32 vcc_lo, 0x7f800000, v1
                                        ; implicit-def: $vgpr1
	s_and_saveexec_b32 s12, vcc_lo
	s_xor_b32 s12, exec_lo, s12
; %bb.570:                              ;   in Loop: Header=BB12_526 Depth=2
	v_bfe_u32 v1, v10, 16, 1
	s_delay_alu instid0(VALU_DEP_1)
	v_add3_u32 v1, v10, v1, 0x7fff
                                        ; implicit-def: $vgpr10
; %bb.571:                              ;   in Loop: Header=BB12_526 Depth=2
	s_and_not1_saveexec_b32 s12, s12
; %bb.572:                              ;   in Loop: Header=BB12_526 Depth=2
	v_and_b32_e32 v1, 0xffff, v10
	v_or_b32_e32 v14, 0x10000, v10
	s_delay_alu instid0(VALU_DEP_2) | instskip(NEXT) | instid1(VALU_DEP_2)
	v_cmp_eq_u32_e32 vcc_lo, 0, v1
	v_cndmask_b32_e32 v1, v14, v10, vcc_lo
; %bb.573:                              ;   in Loop: Header=BB12_526 Depth=2
	s_or_b32 exec_lo, exec_lo, s12
	v_lshlrev_b32_e32 v14, 16, v11
	s_delay_alu instid0(VALU_DEP_1) | instskip(NEXT) | instid1(VALU_DEP_1)
	v_dual_lshlrev_b32 v10, 16, v15 :: v_dual_max_num_f32 v14, v14, v14
	v_max_num_f32_e32 v10, v10, v10
	s_delay_alu instid0(VALU_DEP_1) | instskip(NEXT) | instid1(VALU_DEP_1)
	v_dual_min_num_f32 v28, v14, v10 :: v_dual_max_num_f32 v10, v14, v10
	v_cndmask_b32_e64 v14, v10, v28, s11
	s_delay_alu instid0(VALU_DEP_1) | instskip(NEXT) | instid1(VALU_DEP_1)
	v_and_b32_e32 v10, 0x7f800000, v14
	v_cmp_ne_u32_e32 vcc_lo, 0x7f800000, v10
                                        ; implicit-def: $vgpr10
	s_and_saveexec_b32 s12, vcc_lo
	s_delay_alu instid0(SALU_CYCLE_1)
	s_xor_b32 s12, exec_lo, s12
; %bb.574:                              ;   in Loop: Header=BB12_526 Depth=2
	v_bfe_u32 v10, v14, 16, 1
	s_delay_alu instid0(VALU_DEP_1)
	v_add3_u32 v10, v14, v10, 0x7fff
                                        ; implicit-def: $vgpr14
; %bb.575:                              ;   in Loop: Header=BB12_526 Depth=2
	s_and_not1_saveexec_b32 s12, s12
; %bb.576:                              ;   in Loop: Header=BB12_526 Depth=2
	v_and_b32_e32 v10, 0xffff, v14
	v_or_b32_e32 v28, 0x10000, v14
	s_delay_alu instid0(VALU_DEP_2) | instskip(NEXT) | instid1(VALU_DEP_2)
	v_cmp_eq_u32_e32 vcc_lo, 0, v10
	v_cndmask_b32_e32 v10, v28, v14, vcc_lo
; %bb.577:                              ;   in Loop: Header=BB12_526 Depth=2
	s_or_b32 exec_lo, exec_lo, s12
	v_and_b32_e32 v14, 0xffff0000, v15
	v_and_b32_e32 v11, 0xffff0000, v11
	s_delay_alu instid0(VALU_DEP_1) | instskip(NEXT) | instid1(VALU_DEP_1)
	v_dual_max_num_f32 v14, v14, v14 :: v_dual_max_num_f32 v11, v11, v11
	v_dual_min_num_f32 v15, v11, v14 :: v_dual_max_num_f32 v11, v11, v14
	s_delay_alu instid0(VALU_DEP_1) | instskip(NEXT) | instid1(VALU_DEP_1)
	v_cndmask_b32_e64 v14, v11, v15, s11
	v_and_b32_e32 v11, 0x7f800000, v14
	s_delay_alu instid0(VALU_DEP_1) | instskip(SKIP_1) | instid1(SALU_CYCLE_1)
	v_cmp_ne_u32_e32 vcc_lo, 0x7f800000, v11
                                        ; implicit-def: $vgpr11
	s_and_saveexec_b32 s12, vcc_lo
	s_xor_b32 s12, exec_lo, s12
; %bb.578:                              ;   in Loop: Header=BB12_526 Depth=2
	v_bfe_u32 v11, v14, 16, 1
	s_delay_alu instid0(VALU_DEP_1)
	v_add3_u32 v11, v14, v11, 0x7fff
                                        ; implicit-def: $vgpr14
; %bb.579:                              ;   in Loop: Header=BB12_526 Depth=2
	s_and_not1_saveexec_b32 s12, s12
; %bb.580:                              ;   in Loop: Header=BB12_526 Depth=2
	v_and_b32_e32 v11, 0xffff, v14
	v_or_b32_e32 v15, 0x10000, v14
	s_delay_alu instid0(VALU_DEP_2) | instskip(NEXT) | instid1(VALU_DEP_2)
	v_cmp_eq_u32_e32 vcc_lo, 0, v11
	v_cndmask_b32_e32 v11, v15, v14, vcc_lo
; %bb.581:                              ;   in Loop: Header=BB12_526 Depth=2
	s_or_b32 exec_lo, exec_lo, s12
	v_lshlrev_b32_e32 v15, 16, v12
	s_delay_alu instid0(VALU_DEP_1) | instskip(NEXT) | instid1(VALU_DEP_1)
	v_dual_max_num_f32 v15, v15, v15 :: v_dual_lshlrev_b32 v14, 16, v16
	v_max_num_f32_e32 v14, v14, v14
	s_delay_alu instid0(VALU_DEP_1) | instskip(NEXT) | instid1(VALU_DEP_1)
	v_dual_min_num_f32 v28, v15, v14 :: v_dual_max_num_f32 v14, v15, v14
	v_cndmask_b32_e64 v15, v14, v28, s11
	s_delay_alu instid0(VALU_DEP_1) | instskip(NEXT) | instid1(VALU_DEP_1)
	v_and_b32_e32 v14, 0x7f800000, v15
	v_cmp_ne_u32_e32 vcc_lo, 0x7f800000, v14
                                        ; implicit-def: $vgpr14
	s_and_saveexec_b32 s12, vcc_lo
	s_delay_alu instid0(SALU_CYCLE_1)
	s_xor_b32 s12, exec_lo, s12
; %bb.582:                              ;   in Loop: Header=BB12_526 Depth=2
	v_bfe_u32 v14, v15, 16, 1
	s_delay_alu instid0(VALU_DEP_1)
	v_add3_u32 v14, v15, v14, 0x7fff
                                        ; implicit-def: $vgpr15
; %bb.583:                              ;   in Loop: Header=BB12_526 Depth=2
	s_and_not1_saveexec_b32 s12, s12
; %bb.584:                              ;   in Loop: Header=BB12_526 Depth=2
	v_and_b32_e32 v14, 0xffff, v15
	v_or_b32_e32 v28, 0x10000, v15
	s_delay_alu instid0(VALU_DEP_2) | instskip(NEXT) | instid1(VALU_DEP_2)
	v_cmp_eq_u32_e32 vcc_lo, 0, v14
	v_cndmask_b32_e32 v14, v28, v15, vcc_lo
; %bb.585:                              ;   in Loop: Header=BB12_526 Depth=2
	s_or_b32 exec_lo, exec_lo, s12
	v_and_b32_e32 v15, 0xffff0000, v16
	v_and_b32_e32 v12, 0xffff0000, v12
	s_delay_alu instid0(VALU_DEP_1) | instskip(NEXT) | instid1(VALU_DEP_1)
	v_dual_max_num_f32 v15, v15, v15 :: v_dual_max_num_f32 v12, v12, v12
	v_dual_min_num_f32 v16, v12, v15 :: v_dual_max_num_f32 v12, v12, v15
	s_delay_alu instid0(VALU_DEP_1) | instskip(NEXT) | instid1(VALU_DEP_1)
	v_cndmask_b32_e64 v15, v12, v16, s11
	v_and_b32_e32 v12, 0x7f800000, v15
	s_delay_alu instid0(VALU_DEP_1) | instskip(SKIP_1) | instid1(SALU_CYCLE_1)
	v_cmp_ne_u32_e32 vcc_lo, 0x7f800000, v12
                                        ; implicit-def: $vgpr12
	s_and_saveexec_b32 s12, vcc_lo
	s_xor_b32 s12, exec_lo, s12
; %bb.586:                              ;   in Loop: Header=BB12_526 Depth=2
	v_bfe_u32 v12, v15, 16, 1
	s_delay_alu instid0(VALU_DEP_1)
	v_add3_u32 v12, v15, v12, 0x7fff
                                        ; implicit-def: $vgpr15
; %bb.587:                              ;   in Loop: Header=BB12_526 Depth=2
	s_and_not1_saveexec_b32 s12, s12
; %bb.588:                              ;   in Loop: Header=BB12_526 Depth=2
	v_and_b32_e32 v12, 0xffff, v15
	v_or_b32_e32 v16, 0x10000, v15
	s_delay_alu instid0(VALU_DEP_2) | instskip(NEXT) | instid1(VALU_DEP_2)
	v_cmp_eq_u32_e32 vcc_lo, 0, v12
	v_cndmask_b32_e32 v12, v16, v15, vcc_lo
; %bb.589:                              ;   in Loop: Header=BB12_526 Depth=2
	s_or_b32 exec_lo, exec_lo, s12
	v_lshlrev_b32_e32 v16, 16, v13
	s_delay_alu instid0(VALU_DEP_1) | instskip(NEXT) | instid1(VALU_DEP_1)
	v_dual_max_num_f32 v16, v16, v16 :: v_dual_lshlrev_b32 v15, 16, v17
	v_max_num_f32_e32 v15, v15, v15
	s_delay_alu instid0(VALU_DEP_1) | instskip(NEXT) | instid1(VALU_DEP_1)
	v_dual_min_num_f32 v28, v16, v15 :: v_dual_max_num_f32 v15, v16, v15
	v_cndmask_b32_e64 v16, v15, v28, s11
	s_delay_alu instid0(VALU_DEP_1) | instskip(NEXT) | instid1(VALU_DEP_1)
	v_and_b32_e32 v15, 0x7f800000, v16
	v_cmp_ne_u32_e32 vcc_lo, 0x7f800000, v15
                                        ; implicit-def: $vgpr15
	s_and_saveexec_b32 s12, vcc_lo
	s_delay_alu instid0(SALU_CYCLE_1)
	s_xor_b32 s12, exec_lo, s12
; %bb.590:                              ;   in Loop: Header=BB12_526 Depth=2
	v_bfe_u32 v15, v16, 16, 1
	s_delay_alu instid0(VALU_DEP_1)
	v_add3_u32 v15, v16, v15, 0x7fff
                                        ; implicit-def: $vgpr16
; %bb.591:                              ;   in Loop: Header=BB12_526 Depth=2
	s_and_not1_saveexec_b32 s12, s12
; %bb.592:                              ;   in Loop: Header=BB12_526 Depth=2
	v_and_b32_e32 v15, 0xffff, v16
	v_or_b32_e32 v28, 0x10000, v16
	s_delay_alu instid0(VALU_DEP_2) | instskip(NEXT) | instid1(VALU_DEP_2)
	v_cmp_eq_u32_e32 vcc_lo, 0, v15
	v_cndmask_b32_e32 v15, v28, v16, vcc_lo
; %bb.593:                              ;   in Loop: Header=BB12_526 Depth=2
	s_or_b32 exec_lo, exec_lo, s12
	v_and_b32_e32 v16, 0xffff0000, v17
	v_and_b32_e32 v13, 0xffff0000, v13
	s_delay_alu instid0(VALU_DEP_1) | instskip(NEXT) | instid1(VALU_DEP_1)
	v_dual_max_num_f32 v16, v16, v16 :: v_dual_max_num_f32 v13, v13, v13
	v_dual_min_num_f32 v17, v13, v16 :: v_dual_max_num_f32 v13, v13, v16
	s_delay_alu instid0(VALU_DEP_1) | instskip(NEXT) | instid1(VALU_DEP_1)
	v_cndmask_b32_e64 v16, v13, v17, s11
	v_and_b32_e32 v13, 0x7f800000, v16
	s_delay_alu instid0(VALU_DEP_1) | instskip(SKIP_1) | instid1(SALU_CYCLE_1)
	v_cmp_ne_u32_e32 vcc_lo, 0x7f800000, v13
                                        ; implicit-def: $vgpr13
	s_and_saveexec_b32 s12, vcc_lo
	s_xor_b32 s12, exec_lo, s12
; %bb.594:                              ;   in Loop: Header=BB12_526 Depth=2
	v_bfe_u32 v13, v16, 16, 1
	s_delay_alu instid0(VALU_DEP_1)
	v_add3_u32 v13, v16, v13, 0x7fff
                                        ; implicit-def: $vgpr16
; %bb.595:                              ;   in Loop: Header=BB12_526 Depth=2
	s_and_not1_saveexec_b32 s12, s12
; %bb.596:                              ;   in Loop: Header=BB12_526 Depth=2
	v_and_b32_e32 v13, 0xffff, v16
	v_or_b32_e32 v17, 0x10000, v16
	s_delay_alu instid0(VALU_DEP_2) | instskip(NEXT) | instid1(VALU_DEP_2)
	v_cmp_eq_u32_e32 vcc_lo, 0, v13
	v_cndmask_b32_e32 v13, v17, v16, vcc_lo
; %bb.597:                              ;   in Loop: Header=BB12_526 Depth=2
	s_or_b32 exec_lo, exec_lo, s12
	v_dual_lshrrev_b32 v10, 16, v10 :: v_dual_lshrrev_b32 v0, 16, v0
	v_dual_lshrrev_b32 v14, 16, v14 :: v_dual_lshrrev_b32 v15, 16, v15
	v_sub_nc_u32_e32 v26, v26, v72
	s_delay_alu instid0(VALU_DEP_3) | instskip(NEXT) | instid1(VALU_DEP_4)
	v_and_or_b32 v11, 0xffff0000, v11, v10
	v_and_or_b32 v10, 0xffff0000, v1, v0
	s_delay_alu instid0(VALU_DEP_4)
	v_and_or_b32 v12, 0xffff0000, v12, v14
	v_and_or_b32 v13, 0xffff0000, v13, v15
	global_store_b128 v[2:3], v[10:13], off th:TH_STORE_NT
	s_wait_xcnt 0x0
	v_add_nc_u64_e32 v[2:3], 0x200, v[2:3]
	scratch_store_b128 off, v[10:13], s33 offset:192
	s_wait_xcnt 0x0
	s_and_saveexec_b32 s12, s44
	s_cbranch_execz .LBB12_525
; %bb.598:                              ;   in Loop: Header=BB12_526 Depth=2
	v_add_nc_u64_e32 v[18:19], v[18:19], v[76:77]
	v_add_nc_u64_e32 v[20:21], v[20:21], v[76:77]
	;; [unrolled: 1-line block ×3, first 2 shown]
	v_dual_sub_nc_u32 v27, v27, v45 :: v_dual_sub_nc_u32 v26, v26, v72
	s_branch .LBB12_525
.LBB12_599:                             ;   in Loop: Header=BB12_49 Depth=1
	s_or_b32 exec_lo, exec_lo, s42
	s_delay_alu instid0(SALU_CYCLE_1)
	s_and_b32 s11, s43, exec_lo
.LBB12_600:                             ;   in Loop: Header=BB12_49 Depth=1
	s_or_b32 exec_lo, exec_lo, s41
	s_and_saveexec_b32 s12, s11
	s_cbranch_execz .LBB12_634
; %bb.601:                              ;   in Loop: Header=BB12_49 Depth=1
	s_clause 0x1
	scratch_load_b128 v[14:17], off, s33 offset:240
	scratch_load_b128 v[10:13], off, s33 offset:224
	s_and_b32 s11, 0xffff, s28
	s_delay_alu instid0(SALU_CYCLE_1) | instskip(SKIP_3) | instid1(VALU_DEP_1)
	s_cmp_eq_u32 s11, 0
	s_cselect_b32 vcc_lo, -1, 0
	s_wait_loadcnt 0x0
	v_lshlrev_b32_e32 v1, 16, v10
	v_dual_max_num_f32 v1, v1, v1 :: v_dual_lshlrev_b32 v0, 16, v14
	s_delay_alu instid0(VALU_DEP_1) | instskip(NEXT) | instid1(VALU_DEP_1)
	v_max_num_f32_e32 v0, v0, v0
	v_dual_min_num_f32 v18, v1, v0 :: v_dual_max_num_f32 v0, v1, v0
	s_delay_alu instid0(VALU_DEP_1) | instskip(NEXT) | instid1(VALU_DEP_1)
	v_cndmask_b32_e32 v1, v0, v18, vcc_lo
	v_and_b32_e32 v0, 0x7f800000, v1
	s_delay_alu instid0(VALU_DEP_1) | instskip(SKIP_2) | instid1(SALU_CYCLE_1)
	v_cmp_ne_u32_e64 s11, 0x7f800000, v0
                                        ; implicit-def: $vgpr0
	s_wait_xcnt 0x0
	s_and_saveexec_b32 s13, s11
	s_xor_b32 s11, exec_lo, s13
; %bb.602:                              ;   in Loop: Header=BB12_49 Depth=1
	v_bfe_u32 v0, v1, 16, 1
	s_delay_alu instid0(VALU_DEP_1)
	v_add3_u32 v0, v1, v0, 0x7fff
                                        ; implicit-def: $vgpr1
; %bb.603:                              ;   in Loop: Header=BB12_49 Depth=1
	s_and_not1_saveexec_b32 s13, s11
; %bb.604:                              ;   in Loop: Header=BB12_49 Depth=1
	v_and_b32_e32 v0, 0xffff, v1
	v_or_b32_e32 v18, 0x10000, v1
	s_delay_alu instid0(VALU_DEP_2) | instskip(NEXT) | instid1(VALU_DEP_1)
	v_cmp_eq_u32_e64 s11, 0, v0
	v_cndmask_b32_e64 v0, v18, v1, s11
; %bb.605:                              ;   in Loop: Header=BB12_49 Depth=1
	s_or_b32 exec_lo, exec_lo, s13
	v_and_b32_e32 v1, 0xffff0000, v14
	v_and_b32_e32 v10, 0xffff0000, v10
	s_delay_alu instid0(VALU_DEP_1) | instskip(NEXT) | instid1(VALU_DEP_1)
	v_dual_max_num_f32 v1, v1, v1 :: v_dual_max_num_f32 v10, v10, v10
	v_dual_min_num_f32 v14, v10, v1 :: v_dual_max_num_f32 v1, v10, v1
	s_delay_alu instid0(VALU_DEP_1) | instskip(NEXT) | instid1(VALU_DEP_1)
	v_cndmask_b32_e32 v10, v1, v14, vcc_lo
	v_and_b32_e32 v1, 0x7f800000, v10
	s_delay_alu instid0(VALU_DEP_1) | instskip(SKIP_1) | instid1(SALU_CYCLE_1)
	v_cmp_ne_u32_e64 s11, 0x7f800000, v1
                                        ; implicit-def: $vgpr1
	s_and_saveexec_b32 s13, s11
	s_xor_b32 s11, exec_lo, s13
; %bb.606:                              ;   in Loop: Header=BB12_49 Depth=1
	v_bfe_u32 v1, v10, 16, 1
	s_delay_alu instid0(VALU_DEP_1)
	v_add3_u32 v1, v10, v1, 0x7fff
                                        ; implicit-def: $vgpr10
; %bb.607:                              ;   in Loop: Header=BB12_49 Depth=1
	s_and_not1_saveexec_b32 s13, s11
; %bb.608:                              ;   in Loop: Header=BB12_49 Depth=1
	v_and_b32_e32 v1, 0xffff, v10
	v_or_b32_e32 v14, 0x10000, v10
	s_delay_alu instid0(VALU_DEP_2) | instskip(NEXT) | instid1(VALU_DEP_1)
	v_cmp_eq_u32_e64 s11, 0, v1
	v_cndmask_b32_e64 v1, v14, v10, s11
; %bb.609:                              ;   in Loop: Header=BB12_49 Depth=1
	s_or_b32 exec_lo, exec_lo, s13
	v_lshlrev_b32_e32 v14, 16, v11
	s_delay_alu instid0(VALU_DEP_1) | instskip(NEXT) | instid1(VALU_DEP_1)
	v_dual_lshlrev_b32 v10, 16, v15 :: v_dual_max_num_f32 v14, v14, v14
	v_max_num_f32_e32 v10, v10, v10
	s_delay_alu instid0(VALU_DEP_1) | instskip(NEXT) | instid1(VALU_DEP_1)
	v_dual_min_num_f32 v18, v14, v10 :: v_dual_max_num_f32 v10, v14, v10
	v_cndmask_b32_e32 v14, v10, v18, vcc_lo
	s_delay_alu instid0(VALU_DEP_1) | instskip(NEXT) | instid1(VALU_DEP_1)
	v_and_b32_e32 v10, 0x7f800000, v14
	v_cmp_ne_u32_e64 s11, 0x7f800000, v10
                                        ; implicit-def: $vgpr10
	s_and_saveexec_b32 s13, s11
	s_delay_alu instid0(SALU_CYCLE_1)
	s_xor_b32 s11, exec_lo, s13
; %bb.610:                              ;   in Loop: Header=BB12_49 Depth=1
	v_bfe_u32 v10, v14, 16, 1
	s_delay_alu instid0(VALU_DEP_1)
	v_add3_u32 v10, v14, v10, 0x7fff
                                        ; implicit-def: $vgpr14
; %bb.611:                              ;   in Loop: Header=BB12_49 Depth=1
	s_and_not1_saveexec_b32 s13, s11
; %bb.612:                              ;   in Loop: Header=BB12_49 Depth=1
	v_and_b32_e32 v10, 0xffff, v14
	v_or_b32_e32 v18, 0x10000, v14
	s_delay_alu instid0(VALU_DEP_2) | instskip(NEXT) | instid1(VALU_DEP_1)
	v_cmp_eq_u32_e64 s11, 0, v10
	v_cndmask_b32_e64 v10, v18, v14, s11
; %bb.613:                              ;   in Loop: Header=BB12_49 Depth=1
	s_or_b32 exec_lo, exec_lo, s13
	v_and_b32_e32 v14, 0xffff0000, v15
	v_and_b32_e32 v11, 0xffff0000, v11
	s_delay_alu instid0(VALU_DEP_1) | instskip(NEXT) | instid1(VALU_DEP_1)
	v_dual_max_num_f32 v14, v14, v14 :: v_dual_max_num_f32 v11, v11, v11
	v_dual_min_num_f32 v15, v11, v14 :: v_dual_max_num_f32 v11, v11, v14
	s_delay_alu instid0(VALU_DEP_1) | instskip(NEXT) | instid1(VALU_DEP_1)
	v_cndmask_b32_e32 v14, v11, v15, vcc_lo
	v_and_b32_e32 v11, 0x7f800000, v14
	s_delay_alu instid0(VALU_DEP_1) | instskip(SKIP_1) | instid1(SALU_CYCLE_1)
	v_cmp_ne_u32_e64 s11, 0x7f800000, v11
                                        ; implicit-def: $vgpr11
	s_and_saveexec_b32 s13, s11
	s_xor_b32 s11, exec_lo, s13
; %bb.614:                              ;   in Loop: Header=BB12_49 Depth=1
	v_bfe_u32 v11, v14, 16, 1
	s_delay_alu instid0(VALU_DEP_1)
	v_add3_u32 v11, v14, v11, 0x7fff
                                        ; implicit-def: $vgpr14
; %bb.615:                              ;   in Loop: Header=BB12_49 Depth=1
	s_and_not1_saveexec_b32 s13, s11
; %bb.616:                              ;   in Loop: Header=BB12_49 Depth=1
	v_and_b32_e32 v11, 0xffff, v14
	v_or_b32_e32 v15, 0x10000, v14
	s_delay_alu instid0(VALU_DEP_2) | instskip(NEXT) | instid1(VALU_DEP_1)
	v_cmp_eq_u32_e64 s11, 0, v11
	v_cndmask_b32_e64 v11, v15, v14, s11
; %bb.617:                              ;   in Loop: Header=BB12_49 Depth=1
	s_or_b32 exec_lo, exec_lo, s13
	v_lshlrev_b32_e32 v15, 16, v12
	s_delay_alu instid0(VALU_DEP_1) | instskip(NEXT) | instid1(VALU_DEP_1)
	v_dual_max_num_f32 v15, v15, v15 :: v_dual_lshlrev_b32 v14, 16, v16
	v_max_num_f32_e32 v14, v14, v14
	s_delay_alu instid0(VALU_DEP_1) | instskip(NEXT) | instid1(VALU_DEP_1)
	v_dual_min_num_f32 v18, v15, v14 :: v_dual_max_num_f32 v14, v15, v14
	v_cndmask_b32_e32 v15, v14, v18, vcc_lo
	s_delay_alu instid0(VALU_DEP_1) | instskip(NEXT) | instid1(VALU_DEP_1)
	v_and_b32_e32 v14, 0x7f800000, v15
	v_cmp_ne_u32_e64 s11, 0x7f800000, v14
                                        ; implicit-def: $vgpr14
	s_and_saveexec_b32 s13, s11
	s_delay_alu instid0(SALU_CYCLE_1)
	s_xor_b32 s11, exec_lo, s13
; %bb.618:                              ;   in Loop: Header=BB12_49 Depth=1
	v_bfe_u32 v14, v15, 16, 1
	s_delay_alu instid0(VALU_DEP_1)
	v_add3_u32 v14, v15, v14, 0x7fff
                                        ; implicit-def: $vgpr15
; %bb.619:                              ;   in Loop: Header=BB12_49 Depth=1
	s_and_not1_saveexec_b32 s13, s11
; %bb.620:                              ;   in Loop: Header=BB12_49 Depth=1
	v_and_b32_e32 v14, 0xffff, v15
	v_or_b32_e32 v18, 0x10000, v15
	s_delay_alu instid0(VALU_DEP_2) | instskip(NEXT) | instid1(VALU_DEP_1)
	v_cmp_eq_u32_e64 s11, 0, v14
	v_cndmask_b32_e64 v14, v18, v15, s11
; %bb.621:                              ;   in Loop: Header=BB12_49 Depth=1
	s_or_b32 exec_lo, exec_lo, s13
	v_and_b32_e32 v15, 0xffff0000, v16
	v_and_b32_e32 v12, 0xffff0000, v12
	s_delay_alu instid0(VALU_DEP_1) | instskip(NEXT) | instid1(VALU_DEP_1)
	v_dual_max_num_f32 v15, v15, v15 :: v_dual_max_num_f32 v12, v12, v12
	v_dual_min_num_f32 v16, v12, v15 :: v_dual_max_num_f32 v12, v12, v15
	s_delay_alu instid0(VALU_DEP_1) | instskip(NEXT) | instid1(VALU_DEP_1)
	v_cndmask_b32_e32 v15, v12, v16, vcc_lo
	v_and_b32_e32 v12, 0x7f800000, v15
	s_delay_alu instid0(VALU_DEP_1) | instskip(SKIP_1) | instid1(SALU_CYCLE_1)
	v_cmp_ne_u32_e64 s11, 0x7f800000, v12
                                        ; implicit-def: $vgpr12
	s_and_saveexec_b32 s13, s11
	s_xor_b32 s11, exec_lo, s13
; %bb.622:                              ;   in Loop: Header=BB12_49 Depth=1
	v_bfe_u32 v12, v15, 16, 1
	s_delay_alu instid0(VALU_DEP_1)
	v_add3_u32 v12, v15, v12, 0x7fff
                                        ; implicit-def: $vgpr15
; %bb.623:                              ;   in Loop: Header=BB12_49 Depth=1
	s_and_not1_saveexec_b32 s13, s11
; %bb.624:                              ;   in Loop: Header=BB12_49 Depth=1
	v_and_b32_e32 v12, 0xffff, v15
	v_or_b32_e32 v16, 0x10000, v15
	s_delay_alu instid0(VALU_DEP_2) | instskip(NEXT) | instid1(VALU_DEP_1)
	v_cmp_eq_u32_e64 s11, 0, v12
	v_cndmask_b32_e64 v12, v16, v15, s11
; %bb.625:                              ;   in Loop: Header=BB12_49 Depth=1
	s_or_b32 exec_lo, exec_lo, s13
	v_lshlrev_b32_e32 v16, 16, v13
	s_delay_alu instid0(VALU_DEP_1) | instskip(NEXT) | instid1(VALU_DEP_1)
	v_dual_max_num_f32 v16, v16, v16 :: v_dual_lshlrev_b32 v15, 16, v17
	v_max_num_f32_e32 v15, v15, v15
	s_delay_alu instid0(VALU_DEP_1) | instskip(NEXT) | instid1(VALU_DEP_1)
	v_dual_min_num_f32 v18, v16, v15 :: v_dual_max_num_f32 v15, v16, v15
	v_cndmask_b32_e32 v16, v15, v18, vcc_lo
	s_delay_alu instid0(VALU_DEP_1) | instskip(NEXT) | instid1(VALU_DEP_1)
	v_and_b32_e32 v15, 0x7f800000, v16
	v_cmp_ne_u32_e64 s11, 0x7f800000, v15
                                        ; implicit-def: $vgpr15
	s_and_saveexec_b32 s13, s11
	s_delay_alu instid0(SALU_CYCLE_1)
	s_xor_b32 s11, exec_lo, s13
; %bb.626:                              ;   in Loop: Header=BB12_49 Depth=1
	v_bfe_u32 v15, v16, 16, 1
	s_delay_alu instid0(VALU_DEP_1)
	v_add3_u32 v15, v16, v15, 0x7fff
                                        ; implicit-def: $vgpr16
; %bb.627:                              ;   in Loop: Header=BB12_49 Depth=1
	s_and_not1_saveexec_b32 s13, s11
; %bb.628:                              ;   in Loop: Header=BB12_49 Depth=1
	v_and_b32_e32 v15, 0xffff, v16
	v_or_b32_e32 v18, 0x10000, v16
	s_delay_alu instid0(VALU_DEP_2) | instskip(NEXT) | instid1(VALU_DEP_1)
	v_cmp_eq_u32_e64 s11, 0, v15
	v_cndmask_b32_e64 v15, v18, v16, s11
; %bb.629:                              ;   in Loop: Header=BB12_49 Depth=1
	s_or_b32 exec_lo, exec_lo, s13
	v_and_b32_e32 v16, 0xffff0000, v17
	v_and_b32_e32 v13, 0xffff0000, v13
	s_delay_alu instid0(VALU_DEP_1) | instskip(NEXT) | instid1(VALU_DEP_1)
	v_dual_max_num_f32 v16, v16, v16 :: v_dual_max_num_f32 v13, v13, v13
	v_dual_min_num_f32 v17, v13, v16 :: v_dual_max_num_f32 v13, v13, v16
	s_delay_alu instid0(VALU_DEP_1) | instskip(NEXT) | instid1(VALU_DEP_1)
	v_cndmask_b32_e32 v16, v13, v17, vcc_lo
	v_and_b32_e32 v13, 0x7f800000, v16
	s_delay_alu instid0(VALU_DEP_1) | instskip(SKIP_1) | instid1(SALU_CYCLE_1)
	v_cmp_ne_u32_e32 vcc_lo, 0x7f800000, v13
                                        ; implicit-def: $vgpr13
	s_and_saveexec_b32 s11, vcc_lo
	s_xor_b32 s11, exec_lo, s11
; %bb.630:                              ;   in Loop: Header=BB12_49 Depth=1
	v_bfe_u32 v13, v16, 16, 1
	s_delay_alu instid0(VALU_DEP_1)
	v_add3_u32 v13, v16, v13, 0x7fff
                                        ; implicit-def: $vgpr16
; %bb.631:                              ;   in Loop: Header=BB12_49 Depth=1
	s_and_not1_saveexec_b32 s11, s11
; %bb.632:                              ;   in Loop: Header=BB12_49 Depth=1
	v_and_b32_e32 v13, 0xffff, v16
	v_or_b32_e32 v17, 0x10000, v16
	s_delay_alu instid0(VALU_DEP_2) | instskip(NEXT) | instid1(VALU_DEP_2)
	v_cmp_eq_u32_e32 vcc_lo, 0, v13
	v_cndmask_b32_e32 v13, v17, v16, vcc_lo
; %bb.633:                              ;   in Loop: Header=BB12_49 Depth=1
	s_or_b32 exec_lo, exec_lo, s11
	v_dual_lshrrev_b32 v10, 16, v10 :: v_dual_lshrrev_b32 v0, 16, v0
	v_dual_lshrrev_b32 v14, 16, v14 :: v_dual_lshrrev_b32 v15, 16, v15
	s_delay_alu instid0(VALU_DEP_2) | instskip(NEXT) | instid1(VALU_DEP_3)
	v_and_or_b32 v11, 0xffff0000, v11, v10
	v_and_or_b32 v10, 0xffff0000, v1, v0
	s_delay_alu instid0(VALU_DEP_3) | instskip(NEXT) | instid1(VALU_DEP_4)
	v_and_or_b32 v12, 0xffff0000, v12, v14
	v_and_or_b32 v13, 0xffff0000, v13, v15
	global_store_b128 v[2:3], v[10:13], off th:TH_STORE_NT
.LBB12_634:                             ;   in Loop: Header=BB12_49 Depth=1
	s_wait_xcnt 0x0
	s_or_b32 exec_lo, exec_lo, s12
	v_and_b32_e32 v1, 14, v105
	s_mov_b32 s12, s29
	s_mov_b32 s11, exec_lo
                                        ; implicit-def: $vgpr14
                                        ; implicit-def: $vgpr0
                                        ; implicit-def: $vgpr15
	s_delay_alu instid0(VALU_DEP_1) | instskip(NEXT) | instid1(VALU_DEP_1)
	v_cndmask_b32_e64 v105, v25, v1, s10
	v_cmpx_ne_u32_e32 0, v105
	s_cbranch_execz .LBB12_636
; %bb.635:                              ;   in Loop: Header=BB12_49 Depth=1
	v_cmp_lt_i32_e32 vcc_lo, 0, v26
	s_or_b32 s12, s29, exec_lo
	v_dual_cndmask_b32 v0, 0, v72 :: v_dual_sub_nc_u32 v1, v25, v1
	s_delay_alu instid0(VALU_DEP_1) | instskip(NEXT) | instid1(VALU_DEP_1)
	v_dual_cndmask_b32 v1, 0, v1, s10 :: v_dual_sub_nc_u32 v0, v0, v26
	v_add3_u32 v14, v24, v22, v1
	s_delay_alu instid0(VALU_DEP_2) | instskip(NEXT) | instid1(VALU_DEP_1)
	v_lshl_add_u32 v0, v0, 5, v23
	v_ashrrev_i32_e32 v2, 31, v0
	s_delay_alu instid0(VALU_DEP_1) | instskip(NEXT) | instid1(VALU_DEP_1)
	v_lshrrev_b32_e32 v2, 27, v2
	v_add_nc_u32_e32 v2, v0, v2
	s_delay_alu instid0(VALU_DEP_1) | instskip(NEXT) | instid1(VALU_DEP_1)
	v_and_b32_e32 v2, 0xffffffe0, v2
	v_sub_nc_u32_e32 v15, v0, v2
.LBB12_636:                             ;   in Loop: Header=BB12_49 Depth=1
	s_or_b32 exec_lo, exec_lo, s11
	s_delay_alu instid0(SALU_CYCLE_1) | instskip(SKIP_1) | instid1(SALU_CYCLE_1)
	s_and_not1_b32 s10, s29, exec_lo
	s_and_b32 s11, s12, exec_lo
	s_or_b32 s29, s10, s11
.LBB12_637:                             ;   in Loop: Header=BB12_49 Depth=1
	s_or_b32 exec_lo, exec_lo, s40
	s_and_saveexec_b32 s13, s29
	s_cbranch_execz .LBB12_865
.LBB12_638:                             ;   in Loop: Header=BB12_49 Depth=1
	s_delay_alu instid0(VALU_DEP_1) | instskip(SKIP_1) | instid1(VALU_DEP_2)
	v_dual_ashrrev_i32 v1, 31, v0 :: v_dual_lshlrev_b32 v2, 1, v15
	v_dual_mov_b32 v86, 0 :: v_dual_ashrrev_i32 v3, 31, v105
	v_dual_mov_b32 v97, 0 :: v_dual_lshrrev_b32 v1, 27, v1
	v_dual_mov_b32 v83, 0 :: v_dual_mov_b32 v80, 0
	v_dual_mov_b32 v69, 0 :: v_dual_mov_b32 v67, 0
	s_delay_alu instid0(VALU_DEP_3) | instskip(SKIP_1) | instid1(VALU_DEP_2)
	v_dual_add_nc_u32 v0, v0, v1 :: v_dual_mov_b32 v64, 0
	v_dual_lshrrev_b32 v1, 22, v3 :: v_dual_mov_b32 v53, 0
	v_dual_mov_b32 v50, 0 :: v_dual_ashrrev_i32 v3, 5, v0
	s_delay_alu instid0(VALU_DEP_2) | instskip(SKIP_1) | instid1(VALU_DEP_3)
	v_dual_mov_b32 v0, 0 :: v_dual_add_nc_u32 v1, v105, v1
	v_dual_mov_b32 v39, 0 :: v_dual_mov_b32 v24, 0
	v_dual_mov_b32 v21, 0 :: v_dual_lshlrev_b32 v10, 10, v3
	s_delay_alu instid0(VALU_DEP_3) | instskip(SKIP_1) | instid1(VALU_DEP_3)
	v_dual_mov_b32 v19, 0 :: v_dual_ashrrev_i32 v16, 10, v1
	v_mov_b32_e32 v17, 0
	v_add3_u32 v12, v14, v2, v10
	s_wait_loadcnt 0x0
	s_delay_alu instid0(VALU_DEP_3) | instskip(SKIP_1) | instid1(VALU_DEP_3)
	v_dual_mov_b32 v2, 0 :: v_dual_sub_nc_u32 v33, v16, v3
	v_dual_mov_b32 v98, 0 :: v_dual_mov_b32 v87, 0
	v_dual_ashrrev_i32 v13, 31, v12 :: v_dual_mov_b32 v85, 0
	v_dual_mov_b32 v82, 0 :: v_dual_mov_b32 v71, 0
	v_mov_b32_e32 v68, 0
	s_delay_alu instid0(VALU_DEP_3)
	v_add_nc_u64_e32 v[10:11], v[120:121], v[12:13]
	v_dual_mov_b32 v65, 0 :: v_dual_mov_b32 v54, 0
	v_dual_mov_b32 v51, 0 :: v_dual_mov_b32 v48, 0
	;; [unrolled: 1-line block ×5, first 2 shown]
	s_mov_b32 s10, 0
	s_mov_b32 s11, exec_lo
	v_cmpx_lt_i32_e32 0, v33
	s_cbranch_execz .LBB12_774
; %bb.639:                              ;   in Loop: Header=BB12_49 Depth=1
	s_trap 2
	ds_load_b64 v[0:1], v0
	v_add_nc_u64_e32 v[2:3], v[12:13], v[110:111]
	s_and_b32 s10, s28, 0xff
	s_mov_b32 s15, 0
	s_cmp_eq_u32 s10, 0
	s_mov_b32 s14, 0
	s_cselect_b32 vcc_lo, -1, 0
                                        ; implicit-def: $sgpr12
                                        ; implicit-def: $vgpr113
                                        ; implicit-def: $vgpr102
                                        ; implicit-def: $vgpr99
                                        ; implicit-def: $vgpr96
                                        ; implicit-def: $vgpr84
                                        ; implicit-def: $vgpr81
                                        ; implicit-def: $vgpr70
                                        ; implicit-def: $vgpr66
                                        ; implicit-def: $vgpr55
                                        ; implicit-def: $vgpr52
                                        ; implicit-def: $vgpr49
                                        ; implicit-def: $vgpr38
                                        ; implicit-def: $vgpr37
                                        ; implicit-def: $vgpr36
                                        ; implicit-def: $vgpr35
                                        ; implicit-def: $vgpr34
                                        ; implicit-def: $vgpr17
                                        ; implicit-def: $vgpr18
                                        ; implicit-def: $vgpr19
                                        ; implicit-def: $vgpr20
                                        ; implicit-def: $vgpr21
                                        ; implicit-def: $vgpr22
                                        ; implicit-def: $vgpr23
                                        ; implicit-def: $vgpr24
                                        ; implicit-def: $vgpr25
                                        ; implicit-def: $vgpr26
                                        ; implicit-def: $vgpr27
                                        ; implicit-def: $vgpr28
                                        ; implicit-def: $vgpr29
                                        ; implicit-def: $vgpr30
                                        ; implicit-def: $vgpr31
                                        ; implicit-def: $vgpr32
	s_wait_dscnt 0x0
	v_add_nc_u64_e32 v[12:13], v[0:1], v[12:13]
	s_branch .LBB12_641
.LBB12_640:                             ;   in Loop: Header=BB12_641 Depth=2
	s_or_b32 exec_lo, exec_lo, s29
	v_dual_cndmask_b32 v48, 0, v72, s15 :: v_dual_cndmask_b32 v101, 0, v95, s15
	s_clause 0x7
	flat_store_d16_hi_b16 v[10:11], v118 th:TH_STORE_NT
	flat_store_d16_hi_b16 v[10:11], v119 offset:64 th:TH_STORE_NT
	flat_store_d16_hi_b16 v[10:11], v42 offset:128 th:TH_STORE_NT
	flat_store_d16_hi_b16 v[10:11], v0 offset:192 th:TH_STORE_NT
	flat_store_d16_hi_b16 v[10:11], v1 offset:256 th:TH_STORE_NT
	flat_store_d16_hi_b16 v[10:11], v100 offset:320 th:TH_STORE_NT
	flat_store_d16_hi_b16 v[10:11], v97 offset:384 th:TH_STORE_NT
	flat_store_d16_hi_b16 v[10:11], v86 offset:448 th:TH_STORE_NT
	s_wait_xcnt 0x3
	v_add_nc_u64_e32 v[0:1], v[2:3], v[78:79]
	s_wait_xcnt 0x0
	v_add_nc_u64_e32 v[86:87], v[12:13], v[78:79]
	v_sub_nc_u32_e32 v33, v33, v48
	v_cndmask_b32_e64 v100, 0x400, v94, s15
	s_clause 0x7
	flat_store_d16_hi_b16 v[10:11], v83 offset:512 th:TH_STORE_NT
	flat_store_d16_hi_b16 v[10:11], v80 offset:576 th:TH_STORE_NT
	;; [unrolled: 1-line block ×8, first 2 shown]
	v_cndmask_b32_e64 v3, v3, v1, s15
	v_cmp_gt_i32_e64 s10, 1, v33
	s_wait_xcnt 0x0
	v_add_nc_u64_e32 v[10:11], v[10:11], v[100:101]
	v_dual_cndmask_b32 v2, v2, v0, s15 :: v_dual_cndmask_b32 v13, v13, v87, s15
	v_cndmask_b32_e64 v12, v12, v86, s15
	s_or_b32 s14, s10, s14
	s_and_not1_b32 s10, s12, exec_lo
	s_and_b32 s12, s15, exec_lo
	s_delay_alu instid0(SALU_CYCLE_1)
	s_or_b32 s12, s10, s12
	s_and_not1_b32 exec_lo, exec_lo, s14
	s_cbranch_execz .LBB12_773
.LBB12_641:                             ;   Parent Loop BB12_49 Depth=1
                                        ; =>  This Inner Loop Header: Depth=2
	s_clause 0xf
	flat_load_u16 v90, v[2:3] th:TH_LOAD_NT
	flat_load_u16 v60, v[2:3] offset:64 th:TH_LOAD_NT
	flat_load_u16 v42, v[2:3] offset:128 th:TH_LOAD_NT
	;; [unrolled: 1-line block ×15, first 2 shown]
	s_clause 0xf
	flat_load_u16 v122, v[12:13] th:TH_LOAD_NT
	flat_load_u16 v61, v[12:13] offset:64 th:TH_LOAD_NT
	flat_load_u16 v43, v[12:13] offset:128 th:TH_LOAD_NT
	flat_load_u16 v115, v[12:13] offset:192 th:TH_LOAD_NT
	flat_load_u16 v112, v[12:13] offset:256 th:TH_LOAD_NT
	flat_load_u16 v101, v[12:13] offset:320 th:TH_LOAD_NT
	flat_load_u16 v98, v[12:13] offset:384 th:TH_LOAD_NT
	flat_load_u16 v87, v[12:13] offset:448 th:TH_LOAD_NT
	flat_load_u16 v85, v[12:13] offset:512 th:TH_LOAD_NT
	flat_load_u16 v82, v[12:13] offset:576 th:TH_LOAD_NT
	flat_load_u16 v71, v[12:13] offset:640 th:TH_LOAD_NT
	flat_load_u16 v68, v[12:13] offset:704 th:TH_LOAD_NT
	flat_load_u16 v65, v[12:13] offset:768 th:TH_LOAD_NT
	flat_load_u16 v54, v[12:13] offset:832 th:TH_LOAD_NT
	flat_load_u16 v51, v[12:13] offset:896 th:TH_LOAD_NT
	flat_load_u16 v48, v[12:13] offset:960 th:TH_LOAD_NT
	s_wait_xcnt 0x0
	s_and_saveexec_b32 s29, s15
	s_cbranch_execz .LBB12_707
; %bb.642:                              ;   in Loop: Header=BB12_641 Depth=2
	v_lshlrev_b32_e32 v0, 16, v17
	s_delay_alu instid0(VALU_DEP_1) | instskip(NEXT) | instid1(VALU_DEP_1)
	v_dual_max_num_f32 v0, v0, v0 :: v_dual_lshlrev_b32 v1, 16, v113
	v_max_num_f32_e32 v1, v1, v1
	s_delay_alu instid0(VALU_DEP_1) | instskip(NEXT) | instid1(VALU_DEP_1)
	v_dual_min_num_f32 v113, v1, v0 :: v_dual_max_num_f32 v0, v1, v0
	v_cndmask_b32_e32 v0, v0, v113, vcc_lo
                                        ; implicit-def: $vgpr113
	s_delay_alu instid0(VALU_DEP_1) | instskip(NEXT) | instid1(VALU_DEP_1)
	v_and_b32_e32 v1, 0x7f800000, v0
	v_cmp_ne_u32_e64 s10, 0x7f800000, v1
	s_and_saveexec_b32 s15, s10
	s_delay_alu instid0(SALU_CYCLE_1)
	s_xor_b32 s10, exec_lo, s15
; %bb.643:                              ;   in Loop: Header=BB12_641 Depth=2
	v_bfe_u32 v1, v0, 16, 1
	s_delay_alu instid0(VALU_DEP_1)
	v_add3_u32 v113, v0, v1, 0x7fff
                                        ; implicit-def: $vgpr0
; %bb.644:                              ;   in Loop: Header=BB12_641 Depth=2
	s_and_not1_saveexec_b32 s15, s10
; %bb.645:                              ;   in Loop: Header=BB12_641 Depth=2
	v_and_b32_e32 v1, 0xffff, v0
	v_or_b32_e32 v113, 0x10000, v0
	s_delay_alu instid0(VALU_DEP_2) | instskip(NEXT) | instid1(VALU_DEP_1)
	v_cmp_eq_u32_e64 s10, 0, v1
	v_cndmask_b32_e64 v113, v113, v0, s10
; %bb.646:                              ;   in Loop: Header=BB12_641 Depth=2
	s_or_b32 exec_lo, exec_lo, s15
	v_lshlrev_b32_e32 v1, 16, v102
	s_delay_alu instid0(VALU_DEP_1) | instskip(NEXT) | instid1(VALU_DEP_1)
	v_dual_max_num_f32 v1, v1, v1 :: v_dual_lshlrev_b32 v0, 16, v18
	v_max_num_f32_e32 v0, v0, v0
	s_delay_alu instid0(VALU_DEP_1) | instskip(NEXT) | instid1(VALU_DEP_1)
	v_dual_min_num_f32 v102, v1, v0 :: v_dual_max_num_f32 v0, v1, v0
	v_cndmask_b32_e32 v0, v0, v102, vcc_lo
                                        ; implicit-def: $vgpr102
	s_delay_alu instid0(VALU_DEP_1) | instskip(NEXT) | instid1(VALU_DEP_1)
	v_and_b32_e32 v1, 0x7f800000, v0
	v_cmp_ne_u32_e64 s10, 0x7f800000, v1
	s_and_saveexec_b32 s15, s10
	s_delay_alu instid0(SALU_CYCLE_1)
	s_xor_b32 s10, exec_lo, s15
; %bb.647:                              ;   in Loop: Header=BB12_641 Depth=2
	v_bfe_u32 v1, v0, 16, 1
	s_delay_alu instid0(VALU_DEP_1)
	v_add3_u32 v102, v0, v1, 0x7fff
                                        ; implicit-def: $vgpr0
; %bb.648:                              ;   in Loop: Header=BB12_641 Depth=2
	s_and_not1_saveexec_b32 s15, s10
; %bb.649:                              ;   in Loop: Header=BB12_641 Depth=2
	v_and_b32_e32 v1, 0xffff, v0
	v_or_b32_e32 v102, 0x10000, v0
	s_delay_alu instid0(VALU_DEP_2) | instskip(NEXT) | instid1(VALU_DEP_1)
	v_cmp_eq_u32_e64 s10, 0, v1
	v_cndmask_b32_e64 v102, v102, v0, s10
; %bb.650:                              ;   in Loop: Header=BB12_641 Depth=2
	s_or_b32 exec_lo, exec_lo, s15
	v_lshlrev_b32_e32 v1, 16, v99
	s_delay_alu instid0(VALU_DEP_1) | instskip(NEXT) | instid1(VALU_DEP_1)
	v_dual_max_num_f32 v1, v1, v1 :: v_dual_lshlrev_b32 v0, 16, v19
	v_max_num_f32_e32 v0, v0, v0
	s_delay_alu instid0(VALU_DEP_1) | instskip(NEXT) | instid1(VALU_DEP_1)
	v_dual_min_num_f32 v99, v1, v0 :: v_dual_max_num_f32 v0, v1, v0
	v_cndmask_b32_e32 v0, v0, v99, vcc_lo
                                        ; implicit-def: $vgpr99
	s_delay_alu instid0(VALU_DEP_1) | instskip(NEXT) | instid1(VALU_DEP_1)
	v_and_b32_e32 v1, 0x7f800000, v0
	v_cmp_ne_u32_e64 s10, 0x7f800000, v1
	s_and_saveexec_b32 s15, s10
	s_delay_alu instid0(SALU_CYCLE_1)
	s_xor_b32 s10, exec_lo, s15
; %bb.651:                              ;   in Loop: Header=BB12_641 Depth=2
	v_bfe_u32 v1, v0, 16, 1
	s_delay_alu instid0(VALU_DEP_1)
	v_add3_u32 v99, v0, v1, 0x7fff
                                        ; implicit-def: $vgpr0
; %bb.652:                              ;   in Loop: Header=BB12_641 Depth=2
	s_and_not1_saveexec_b32 s15, s10
; %bb.653:                              ;   in Loop: Header=BB12_641 Depth=2
	v_and_b32_e32 v1, 0xffff, v0
	v_or_b32_e32 v99, 0x10000, v0
	s_delay_alu instid0(VALU_DEP_2) | instskip(NEXT) | instid1(VALU_DEP_1)
	v_cmp_eq_u32_e64 s10, 0, v1
	v_cndmask_b32_e64 v99, v99, v0, s10
; %bb.654:                              ;   in Loop: Header=BB12_641 Depth=2
	s_or_b32 exec_lo, exec_lo, s15
	v_lshlrev_b32_e32 v1, 16, v96
	s_delay_alu instid0(VALU_DEP_1) | instskip(NEXT) | instid1(VALU_DEP_1)
	v_dual_max_num_f32 v1, v1, v1 :: v_dual_lshlrev_b32 v0, 16, v20
	v_max_num_f32_e32 v0, v0, v0
	s_delay_alu instid0(VALU_DEP_1) | instskip(NEXT) | instid1(VALU_DEP_1)
	v_dual_min_num_f32 v96, v1, v0 :: v_dual_max_num_f32 v0, v1, v0
	v_cndmask_b32_e32 v1, v0, v96, vcc_lo
	s_delay_alu instid0(VALU_DEP_1) | instskip(NEXT) | instid1(VALU_DEP_1)
	v_and_b32_e32 v0, 0x7f800000, v1
	v_cmp_ne_u32_e64 s10, 0x7f800000, v0
                                        ; implicit-def: $vgpr0
	s_and_saveexec_b32 s15, s10
	s_delay_alu instid0(SALU_CYCLE_1)
	s_xor_b32 s10, exec_lo, s15
; %bb.655:                              ;   in Loop: Header=BB12_641 Depth=2
	v_bfe_u32 v0, v1, 16, 1
	s_delay_alu instid0(VALU_DEP_1)
	v_add3_u32 v0, v1, v0, 0x7fff
                                        ; implicit-def: $vgpr1
; %bb.656:                              ;   in Loop: Header=BB12_641 Depth=2
	s_and_not1_saveexec_b32 s15, s10
; %bb.657:                              ;   in Loop: Header=BB12_641 Depth=2
	v_and_b32_e32 v0, 0xffff, v1
	v_or_b32_e32 v96, 0x10000, v1
	s_delay_alu instid0(VALU_DEP_2) | instskip(NEXT) | instid1(VALU_DEP_1)
	v_cmp_eq_u32_e64 s10, 0, v0
	v_cndmask_b32_e64 v0, v96, v1, s10
; %bb.658:                              ;   in Loop: Header=BB12_641 Depth=2
	s_or_b32 exec_lo, exec_lo, s15
	v_dual_lshlrev_b32 v1, 16, v21 :: v_dual_lshlrev_b32 v84, 16, v84
	s_delay_alu instid0(VALU_DEP_1) | instskip(NEXT) | instid1(VALU_DEP_1)
	v_dual_max_num_f32 v1, v1, v1 :: v_dual_max_num_f32 v84, v84, v84
	v_dual_min_num_f32 v96, v84, v1 :: v_dual_max_num_f32 v1, v84, v1
	s_delay_alu instid0(VALU_DEP_1) | instskip(NEXT) | instid1(VALU_DEP_1)
	v_cndmask_b32_e32 v84, v1, v96, vcc_lo
	v_and_b32_e32 v1, 0x7f800000, v84
	s_delay_alu instid0(VALU_DEP_1) | instskip(SKIP_1) | instid1(SALU_CYCLE_1)
	v_cmp_ne_u32_e64 s10, 0x7f800000, v1
                                        ; implicit-def: $vgpr1
	s_and_saveexec_b32 s15, s10
	s_xor_b32 s10, exec_lo, s15
; %bb.659:                              ;   in Loop: Header=BB12_641 Depth=2
	v_bfe_u32 v1, v84, 16, 1
	s_delay_alu instid0(VALU_DEP_1)
	v_add3_u32 v1, v84, v1, 0x7fff
                                        ; implicit-def: $vgpr84
; %bb.660:                              ;   in Loop: Header=BB12_641 Depth=2
	s_and_not1_saveexec_b32 s15, s10
; %bb.661:                              ;   in Loop: Header=BB12_641 Depth=2
	v_and_b32_e32 v1, 0xffff, v84
	v_or_b32_e32 v96, 0x10000, v84
	s_delay_alu instid0(VALU_DEP_2) | instskip(NEXT) | instid1(VALU_DEP_1)
	v_cmp_eq_u32_e64 s10, 0, v1
	v_cndmask_b32_e64 v1, v96, v84, s10
; %bb.662:                              ;   in Loop: Header=BB12_641 Depth=2
	s_or_b32 exec_lo, exec_lo, s15
	v_dual_lshlrev_b32 v84, 16, v22 :: v_dual_lshlrev_b32 v81, 16, v81
	s_delay_alu instid0(VALU_DEP_1) | instskip(NEXT) | instid1(VALU_DEP_1)
	v_dual_max_num_f32 v84, v84, v84 :: v_dual_max_num_f32 v81, v81, v81
	v_dual_min_num_f32 v96, v81, v84 :: v_dual_max_num_f32 v81, v81, v84
	s_delay_alu instid0(VALU_DEP_1) | instskip(NEXT) | instid1(VALU_DEP_1)
	v_cndmask_b32_e32 v84, v81, v96, vcc_lo
	v_and_b32_e32 v81, 0x7f800000, v84
	s_delay_alu instid0(VALU_DEP_1) | instskip(SKIP_1) | instid1(SALU_CYCLE_1)
	v_cmp_ne_u32_e64 s10, 0x7f800000, v81
                                        ; implicit-def: $vgpr81
	s_and_saveexec_b32 s15, s10
	s_xor_b32 s10, exec_lo, s15
; %bb.663:                              ;   in Loop: Header=BB12_641 Depth=2
	v_bfe_u32 v81, v84, 16, 1
	s_delay_alu instid0(VALU_DEP_1)
	v_add3_u32 v81, v84, v81, 0x7fff
                                        ; implicit-def: $vgpr84
; %bb.664:                              ;   in Loop: Header=BB12_641 Depth=2
	s_and_not1_saveexec_b32 s15, s10
; %bb.665:                              ;   in Loop: Header=BB12_641 Depth=2
	v_and_b32_e32 v81, 0xffff, v84
	v_or_b32_e32 v96, 0x10000, v84
	s_delay_alu instid0(VALU_DEP_2) | instskip(NEXT) | instid1(VALU_DEP_1)
	v_cmp_eq_u32_e64 s10, 0, v81
	v_cndmask_b32_e64 v81, v96, v84, s10
; %bb.666:                              ;   in Loop: Header=BB12_641 Depth=2
	s_or_b32 exec_lo, exec_lo, s15
	v_dual_lshlrev_b32 v84, 16, v23 :: v_dual_lshlrev_b32 v70, 16, v70
	s_delay_alu instid0(VALU_DEP_1) | instskip(NEXT) | instid1(VALU_DEP_1)
	v_dual_max_num_f32 v84, v84, v84 :: v_dual_max_num_f32 v70, v70, v70
	v_dual_min_num_f32 v96, v70, v84 :: v_dual_max_num_f32 v70, v70, v84
	s_delay_alu instid0(VALU_DEP_1) | instskip(NEXT) | instid1(VALU_DEP_1)
	v_cndmask_b32_e32 v84, v70, v96, vcc_lo
	v_and_b32_e32 v70, 0x7f800000, v84
	s_delay_alu instid0(VALU_DEP_1) | instskip(SKIP_1) | instid1(SALU_CYCLE_1)
	v_cmp_ne_u32_e64 s10, 0x7f800000, v70
                                        ; implicit-def: $vgpr70
	s_and_saveexec_b32 s15, s10
	s_xor_b32 s10, exec_lo, s15
; %bb.667:                              ;   in Loop: Header=BB12_641 Depth=2
	v_bfe_u32 v70, v84, 16, 1
	s_delay_alu instid0(VALU_DEP_1)
	v_add3_u32 v70, v84, v70, 0x7fff
                                        ; implicit-def: $vgpr84
; %bb.668:                              ;   in Loop: Header=BB12_641 Depth=2
	s_and_not1_saveexec_b32 s15, s10
; %bb.669:                              ;   in Loop: Header=BB12_641 Depth=2
	v_and_b32_e32 v70, 0xffff, v84
	v_or_b32_e32 v96, 0x10000, v84
	s_delay_alu instid0(VALU_DEP_2) | instskip(NEXT) | instid1(VALU_DEP_1)
	v_cmp_eq_u32_e64 s10, 0, v70
	v_cndmask_b32_e64 v70, v96, v84, s10
; %bb.670:                              ;   in Loop: Header=BB12_641 Depth=2
	s_or_b32 exec_lo, exec_lo, s15
	v_dual_lshlrev_b32 v84, 16, v24 :: v_dual_lshlrev_b32 v66, 16, v66
	s_delay_alu instid0(VALU_DEP_1) | instskip(NEXT) | instid1(VALU_DEP_1)
	v_dual_max_num_f32 v84, v84, v84 :: v_dual_max_num_f32 v66, v66, v66
	v_dual_min_num_f32 v96, v66, v84 :: v_dual_max_num_f32 v66, v66, v84
	s_delay_alu instid0(VALU_DEP_1) | instskip(NEXT) | instid1(VALU_DEP_1)
	v_cndmask_b32_e32 v84, v66, v96, vcc_lo
	v_and_b32_e32 v66, 0x7f800000, v84
	s_delay_alu instid0(VALU_DEP_1) | instskip(SKIP_1) | instid1(SALU_CYCLE_1)
	v_cmp_ne_u32_e64 s10, 0x7f800000, v66
                                        ; implicit-def: $vgpr66
	s_and_saveexec_b32 s15, s10
	s_xor_b32 s10, exec_lo, s15
; %bb.671:                              ;   in Loop: Header=BB12_641 Depth=2
	v_bfe_u32 v66, v84, 16, 1
	s_delay_alu instid0(VALU_DEP_1)
	v_add3_u32 v66, v84, v66, 0x7fff
                                        ; implicit-def: $vgpr84
; %bb.672:                              ;   in Loop: Header=BB12_641 Depth=2
	s_and_not1_saveexec_b32 s15, s10
; %bb.673:                              ;   in Loop: Header=BB12_641 Depth=2
	v_and_b32_e32 v66, 0xffff, v84
	v_or_b32_e32 v96, 0x10000, v84
	s_delay_alu instid0(VALU_DEP_2) | instskip(NEXT) | instid1(VALU_DEP_1)
	v_cmp_eq_u32_e64 s10, 0, v66
	v_cndmask_b32_e64 v66, v96, v84, s10
; %bb.674:                              ;   in Loop: Header=BB12_641 Depth=2
	s_or_b32 exec_lo, exec_lo, s15
	v_dual_lshlrev_b32 v84, 16, v25 :: v_dual_lshlrev_b32 v55, 16, v55
	s_delay_alu instid0(VALU_DEP_1) | instskip(NEXT) | instid1(VALU_DEP_1)
	v_dual_max_num_f32 v84, v84, v84 :: v_dual_max_num_f32 v55, v55, v55
	v_dual_min_num_f32 v96, v55, v84 :: v_dual_max_num_f32 v55, v55, v84
	s_delay_alu instid0(VALU_DEP_1) | instskip(NEXT) | instid1(VALU_DEP_1)
	v_cndmask_b32_e32 v84, v55, v96, vcc_lo
	v_and_b32_e32 v55, 0x7f800000, v84
	s_delay_alu instid0(VALU_DEP_1) | instskip(SKIP_1) | instid1(SALU_CYCLE_1)
	v_cmp_ne_u32_e64 s10, 0x7f800000, v55
                                        ; implicit-def: $vgpr55
	s_and_saveexec_b32 s15, s10
	s_xor_b32 s10, exec_lo, s15
; %bb.675:                              ;   in Loop: Header=BB12_641 Depth=2
	v_bfe_u32 v55, v84, 16, 1
	s_delay_alu instid0(VALU_DEP_1)
	v_add3_u32 v55, v84, v55, 0x7fff
                                        ; implicit-def: $vgpr84
; %bb.676:                              ;   in Loop: Header=BB12_641 Depth=2
	s_and_not1_saveexec_b32 s15, s10
; %bb.677:                              ;   in Loop: Header=BB12_641 Depth=2
	v_and_b32_e32 v55, 0xffff, v84
	v_or_b32_e32 v96, 0x10000, v84
	s_delay_alu instid0(VALU_DEP_2) | instskip(NEXT) | instid1(VALU_DEP_1)
	v_cmp_eq_u32_e64 s10, 0, v55
	v_cndmask_b32_e64 v55, v96, v84, s10
; %bb.678:                              ;   in Loop: Header=BB12_641 Depth=2
	s_or_b32 exec_lo, exec_lo, s15
	v_dual_lshlrev_b32 v84, 16, v26 :: v_dual_lshlrev_b32 v52, 16, v52
	s_delay_alu instid0(VALU_DEP_1) | instskip(NEXT) | instid1(VALU_DEP_2)
	v_max_num_f32_e32 v84, v84, v84
	v_max_num_f32_e32 v52, v52, v52
	s_delay_alu instid0(VALU_DEP_1) | instskip(NEXT) | instid1(VALU_DEP_1)
	v_dual_min_num_f32 v96, v52, v84 :: v_dual_max_num_f32 v52, v52, v84
	v_cndmask_b32_e32 v84, v52, v96, vcc_lo
	s_delay_alu instid0(VALU_DEP_1) | instskip(NEXT) | instid1(VALU_DEP_1)
	v_and_b32_e32 v52, 0x7f800000, v84
	v_cmp_ne_u32_e64 s10, 0x7f800000, v52
                                        ; implicit-def: $vgpr52
	s_and_saveexec_b32 s15, s10
	s_delay_alu instid0(SALU_CYCLE_1)
	s_xor_b32 s10, exec_lo, s15
; %bb.679:                              ;   in Loop: Header=BB12_641 Depth=2
	v_bfe_u32 v52, v84, 16, 1
	s_delay_alu instid0(VALU_DEP_1)
	v_add3_u32 v52, v84, v52, 0x7fff
                                        ; implicit-def: $vgpr84
; %bb.680:                              ;   in Loop: Header=BB12_641 Depth=2
	s_and_not1_saveexec_b32 s15, s10
; %bb.681:                              ;   in Loop: Header=BB12_641 Depth=2
	v_and_b32_e32 v52, 0xffff, v84
	v_or_b32_e32 v96, 0x10000, v84
	s_delay_alu instid0(VALU_DEP_2) | instskip(NEXT) | instid1(VALU_DEP_1)
	v_cmp_eq_u32_e64 s10, 0, v52
	v_cndmask_b32_e64 v52, v96, v84, s10
; %bb.682:                              ;   in Loop: Header=BB12_641 Depth=2
	s_or_b32 exec_lo, exec_lo, s15
	v_dual_lshlrev_b32 v84, 16, v27 :: v_dual_lshlrev_b32 v49, 16, v49
	s_delay_alu instid0(VALU_DEP_1) | instskip(NEXT) | instid1(VALU_DEP_1)
	v_dual_max_num_f32 v84, v84, v84 :: v_dual_max_num_f32 v49, v49, v49
	v_dual_min_num_f32 v96, v49, v84 :: v_dual_max_num_f32 v49, v49, v84
	s_delay_alu instid0(VALU_DEP_1) | instskip(NEXT) | instid1(VALU_DEP_1)
	v_cndmask_b32_e32 v84, v49, v96, vcc_lo
	v_and_b32_e32 v49, 0x7f800000, v84
	s_delay_alu instid0(VALU_DEP_1) | instskip(SKIP_1) | instid1(SALU_CYCLE_1)
	v_cmp_ne_u32_e64 s10, 0x7f800000, v49
                                        ; implicit-def: $vgpr49
	s_and_saveexec_b32 s15, s10
	s_xor_b32 s10, exec_lo, s15
; %bb.683:                              ;   in Loop: Header=BB12_641 Depth=2
	v_bfe_u32 v49, v84, 16, 1
	s_delay_alu instid0(VALU_DEP_1)
	v_add3_u32 v49, v84, v49, 0x7fff
                                        ; implicit-def: $vgpr84
; %bb.684:                              ;   in Loop: Header=BB12_641 Depth=2
	s_and_not1_saveexec_b32 s15, s10
; %bb.685:                              ;   in Loop: Header=BB12_641 Depth=2
	v_and_b32_e32 v49, 0xffff, v84
	v_or_b32_e32 v96, 0x10000, v84
	s_delay_alu instid0(VALU_DEP_2) | instskip(NEXT) | instid1(VALU_DEP_1)
	v_cmp_eq_u32_e64 s10, 0, v49
	v_cndmask_b32_e64 v49, v96, v84, s10
; %bb.686:                              ;   in Loop: Header=BB12_641 Depth=2
	s_or_b32 exec_lo, exec_lo, s15
	v_dual_lshlrev_b32 v84, 16, v28 :: v_dual_lshlrev_b32 v38, 16, v38
	s_delay_alu instid0(VALU_DEP_1) | instskip(NEXT) | instid1(VALU_DEP_1)
	v_dual_max_num_f32 v84, v84, v84 :: v_dual_max_num_f32 v38, v38, v38
	v_dual_min_num_f32 v96, v38, v84 :: v_dual_max_num_f32 v38, v38, v84
	s_delay_alu instid0(VALU_DEP_1) | instskip(NEXT) | instid1(VALU_DEP_1)
	v_cndmask_b32_e32 v84, v38, v96, vcc_lo
	v_and_b32_e32 v38, 0x7f800000, v84
	s_delay_alu instid0(VALU_DEP_1) | instskip(SKIP_1) | instid1(SALU_CYCLE_1)
	v_cmp_ne_u32_e64 s10, 0x7f800000, v38
                                        ; implicit-def: $vgpr38
	s_and_saveexec_b32 s15, s10
	s_xor_b32 s10, exec_lo, s15
; %bb.687:                              ;   in Loop: Header=BB12_641 Depth=2
	v_bfe_u32 v38, v84, 16, 1
	s_delay_alu instid0(VALU_DEP_1)
	v_add3_u32 v38, v84, v38, 0x7fff
                                        ; implicit-def: $vgpr84
; %bb.688:                              ;   in Loop: Header=BB12_641 Depth=2
	s_and_not1_saveexec_b32 s15, s10
; %bb.689:                              ;   in Loop: Header=BB12_641 Depth=2
	v_and_b32_e32 v38, 0xffff, v84
	v_or_b32_e32 v96, 0x10000, v84
	s_delay_alu instid0(VALU_DEP_2) | instskip(NEXT) | instid1(VALU_DEP_1)
	v_cmp_eq_u32_e64 s10, 0, v38
	v_cndmask_b32_e64 v38, v96, v84, s10
; %bb.690:                              ;   in Loop: Header=BB12_641 Depth=2
	s_or_b32 exec_lo, exec_lo, s15
	v_lshlrev_b32_e32 v84, 16, v29
	s_delay_alu instid0(VALU_DEP_1) | instskip(NEXT) | instid1(VALU_DEP_1)
	v_dual_max_num_f32 v84, v84, v84 :: v_dual_lshlrev_b32 v37, 16, v37
	v_max_num_f32_e32 v37, v37, v37
	s_delay_alu instid0(VALU_DEP_1) | instskip(NEXT) | instid1(VALU_DEP_1)
	v_dual_min_num_f32 v96, v37, v84 :: v_dual_max_num_f32 v37, v37, v84
	v_cndmask_b32_e32 v84, v37, v96, vcc_lo
	s_delay_alu instid0(VALU_DEP_1) | instskip(NEXT) | instid1(VALU_DEP_1)
	v_and_b32_e32 v37, 0x7f800000, v84
	v_cmp_ne_u32_e64 s10, 0x7f800000, v37
                                        ; implicit-def: $vgpr37
	s_and_saveexec_b32 s15, s10
	s_delay_alu instid0(SALU_CYCLE_1)
	s_xor_b32 s10, exec_lo, s15
; %bb.691:                              ;   in Loop: Header=BB12_641 Depth=2
	v_bfe_u32 v37, v84, 16, 1
	s_delay_alu instid0(VALU_DEP_1)
	v_add3_u32 v37, v84, v37, 0x7fff
                                        ; implicit-def: $vgpr84
; %bb.692:                              ;   in Loop: Header=BB12_641 Depth=2
	s_and_not1_saveexec_b32 s15, s10
; %bb.693:                              ;   in Loop: Header=BB12_641 Depth=2
	v_and_b32_e32 v37, 0xffff, v84
	v_or_b32_e32 v96, 0x10000, v84
	s_delay_alu instid0(VALU_DEP_2) | instskip(NEXT) | instid1(VALU_DEP_1)
	v_cmp_eq_u32_e64 s10, 0, v37
	v_cndmask_b32_e64 v37, v96, v84, s10
; %bb.694:                              ;   in Loop: Header=BB12_641 Depth=2
	s_or_b32 exec_lo, exec_lo, s15
	v_dual_lshlrev_b32 v84, 16, v30 :: v_dual_lshlrev_b32 v36, 16, v36
	s_delay_alu instid0(VALU_DEP_1) | instskip(NEXT) | instid1(VALU_DEP_2)
	v_max_num_f32_e32 v84, v84, v84
	v_max_num_f32_e32 v36, v36, v36
	s_delay_alu instid0(VALU_DEP_1) | instskip(NEXT) | instid1(VALU_DEP_1)
	v_dual_min_num_f32 v96, v36, v84 :: v_dual_max_num_f32 v36, v36, v84
	v_cndmask_b32_e32 v84, v36, v96, vcc_lo
	s_delay_alu instid0(VALU_DEP_1) | instskip(NEXT) | instid1(VALU_DEP_1)
	v_and_b32_e32 v36, 0x7f800000, v84
	v_cmp_ne_u32_e64 s10, 0x7f800000, v36
                                        ; implicit-def: $vgpr36
	s_and_saveexec_b32 s15, s10
	s_delay_alu instid0(SALU_CYCLE_1)
	s_xor_b32 s10, exec_lo, s15
; %bb.695:                              ;   in Loop: Header=BB12_641 Depth=2
	v_bfe_u32 v36, v84, 16, 1
	s_delay_alu instid0(VALU_DEP_1)
	v_add3_u32 v36, v84, v36, 0x7fff
                                        ; implicit-def: $vgpr84
; %bb.696:                              ;   in Loop: Header=BB12_641 Depth=2
	s_and_not1_saveexec_b32 s15, s10
; %bb.697:                              ;   in Loop: Header=BB12_641 Depth=2
	v_and_b32_e32 v36, 0xffff, v84
	v_or_b32_e32 v96, 0x10000, v84
	s_delay_alu instid0(VALU_DEP_2) | instskip(NEXT) | instid1(VALU_DEP_1)
	v_cmp_eq_u32_e64 s10, 0, v36
	v_cndmask_b32_e64 v36, v96, v84, s10
; %bb.698:                              ;   in Loop: Header=BB12_641 Depth=2
	s_or_b32 exec_lo, exec_lo, s15
	v_lshlrev_b32_e32 v84, 16, v31
	s_delay_alu instid0(VALU_DEP_1) | instskip(NEXT) | instid1(VALU_DEP_1)
	v_dual_max_num_f32 v84, v84, v84 :: v_dual_lshlrev_b32 v35, 16, v35
	v_max_num_f32_e32 v35, v35, v35
	s_delay_alu instid0(VALU_DEP_1) | instskip(NEXT) | instid1(VALU_DEP_1)
	v_dual_min_num_f32 v96, v35, v84 :: v_dual_max_num_f32 v35, v35, v84
	v_cndmask_b32_e32 v84, v35, v96, vcc_lo
	s_delay_alu instid0(VALU_DEP_1) | instskip(NEXT) | instid1(VALU_DEP_1)
	v_and_b32_e32 v35, 0x7f800000, v84
	v_cmp_ne_u32_e64 s10, 0x7f800000, v35
                                        ; implicit-def: $vgpr35
	s_and_saveexec_b32 s15, s10
	s_delay_alu instid0(SALU_CYCLE_1)
	s_xor_b32 s10, exec_lo, s15
; %bb.699:                              ;   in Loop: Header=BB12_641 Depth=2
	v_bfe_u32 v35, v84, 16, 1
	s_delay_alu instid0(VALU_DEP_1)
	v_add3_u32 v35, v84, v35, 0x7fff
                                        ; implicit-def: $vgpr84
; %bb.700:                              ;   in Loop: Header=BB12_641 Depth=2
	s_and_not1_saveexec_b32 s15, s10
; %bb.701:                              ;   in Loop: Header=BB12_641 Depth=2
	v_and_b32_e32 v35, 0xffff, v84
	v_or_b32_e32 v96, 0x10000, v84
	s_delay_alu instid0(VALU_DEP_2) | instskip(NEXT) | instid1(VALU_DEP_1)
	v_cmp_eq_u32_e64 s10, 0, v35
	v_cndmask_b32_e64 v35, v96, v84, s10
; %bb.702:                              ;   in Loop: Header=BB12_641 Depth=2
	s_or_b32 exec_lo, exec_lo, s15
	v_dual_lshlrev_b32 v84, 16, v32 :: v_dual_lshlrev_b32 v34, 16, v34
	s_delay_alu instid0(VALU_DEP_1) | instskip(NEXT) | instid1(VALU_DEP_1)
	v_dual_max_num_f32 v84, v84, v84 :: v_dual_max_num_f32 v34, v34, v34
	v_dual_min_num_f32 v96, v34, v84 :: v_dual_max_num_f32 v34, v34, v84
	s_delay_alu instid0(VALU_DEP_1) | instskip(NEXT) | instid1(VALU_DEP_1)
	v_cndmask_b32_e32 v84, v34, v96, vcc_lo
	v_and_b32_e32 v34, 0x7f800000, v84
	s_delay_alu instid0(VALU_DEP_1) | instskip(SKIP_1) | instid1(SALU_CYCLE_1)
	v_cmp_ne_u32_e64 s10, 0x7f800000, v34
                                        ; implicit-def: $vgpr34
	s_and_saveexec_b32 s15, s10
	s_xor_b32 s10, exec_lo, s15
; %bb.703:                              ;   in Loop: Header=BB12_641 Depth=2
	v_bfe_u32 v34, v84, 16, 1
	s_delay_alu instid0(VALU_DEP_1)
	v_add3_u32 v34, v84, v34, 0x7fff
                                        ; implicit-def: $vgpr84
; %bb.704:                              ;   in Loop: Header=BB12_641 Depth=2
	s_and_not1_saveexec_b32 s15, s10
; %bb.705:                              ;   in Loop: Header=BB12_641 Depth=2
	v_and_b32_e32 v34, 0xffff, v84
	v_or_b32_e32 v96, 0x10000, v84
	s_delay_alu instid0(VALU_DEP_2) | instskip(NEXT) | instid1(VALU_DEP_1)
	v_cmp_eq_u32_e64 s10, 0, v34
	v_cndmask_b32_e64 v34, v96, v84, s10
; %bb.706:                              ;   in Loop: Header=BB12_641 Depth=2
	s_or_b32 exec_lo, exec_lo, s15
	v_dual_lshrrev_b32 v113, 16, v113 :: v_dual_lshrrev_b32 v99, 16, v99
	v_dual_lshrrev_b32 v84, 16, v1 :: v_dual_lshrrev_b32 v102, 16, v102
	s_delay_alu instid0(VALU_DEP_3)
	v_dual_lshrrev_b32 v96, 16, v0 :: v_dual_lshrrev_b32 v34, 16, v34
	v_dual_lshrrev_b32 v35, 16, v35 :: v_dual_lshrrev_b32 v36, 16, v36
	;; [unrolled: 1-line block ×6, first 2 shown]
	s_clause 0xf
	flat_store_b16 v[10:11], v113 th:TH_STORE_NT
	flat_store_b16 v[10:11], v102 offset:64 th:TH_STORE_NT
	flat_store_b16 v[10:11], v99 offset:128 th:TH_STORE_NT
	;; [unrolled: 1-line block ×15, first 2 shown]
	s_wait_xcnt 0x0
	v_add_nc_u64_e32 v[10:11], v[10:11], v[94:95]
.LBB12_707:                             ;   in Loop: Header=BB12_641 Depth=2
	s_or_b32 exec_lo, exec_lo, s29
	v_sub_nc_u32_e32 v33, v33, v72
	v_add_nc_u64_e32 v[2:3], v[2:3], v[94:95]
	v_add_nc_u64_e32 v[12:13], v[12:13], v[94:95]
	s_delay_alu instid0(VALU_DEP_3)
	v_cmp_lt_i32_e64 s15, 0, v33
	s_and_saveexec_b32 s10, s15
	s_cbranch_execz .LBB12_709
; %bb.708:                              ;   in Loop: Header=BB12_641 Depth=2
	s_clause 0xf
	flat_load_u16 v113, v[2:3] th:TH_LOAD_NT
	flat_load_u16 v102, v[2:3] offset:64 th:TH_LOAD_NT
	flat_load_u16 v99, v[2:3] offset:128 th:TH_LOAD_NT
	;; [unrolled: 1-line block ×15, first 2 shown]
	s_clause 0xf
	flat_load_u16 v17, v[12:13] th:TH_LOAD_NT
	flat_load_u16 v18, v[12:13] offset:64 th:TH_LOAD_NT
	flat_load_u16 v19, v[12:13] offset:128 th:TH_LOAD_NT
	flat_load_u16 v20, v[12:13] offset:192 th:TH_LOAD_NT
	flat_load_u16 v21, v[12:13] offset:256 th:TH_LOAD_NT
	flat_load_u16 v22, v[12:13] offset:320 th:TH_LOAD_NT
	flat_load_u16 v23, v[12:13] offset:384 th:TH_LOAD_NT
	flat_load_u16 v24, v[12:13] offset:448 th:TH_LOAD_NT
	flat_load_u16 v25, v[12:13] offset:512 th:TH_LOAD_NT
	flat_load_u16 v26, v[12:13] offset:576 th:TH_LOAD_NT
	flat_load_u16 v27, v[12:13] offset:640 th:TH_LOAD_NT
	flat_load_u16 v28, v[12:13] offset:704 th:TH_LOAD_NT
	flat_load_u16 v29, v[12:13] offset:768 th:TH_LOAD_NT
	flat_load_u16 v30, v[12:13] offset:832 th:TH_LOAD_NT
	flat_load_u16 v31, v[12:13] offset:896 th:TH_LOAD_NT
	flat_load_u16 v32, v[12:13] offset:960 th:TH_LOAD_NT
	s_wait_xcnt 0x10
	v_add_nc_u64_e32 v[2:3], 0x400, v[2:3]
	s_wait_xcnt 0x0
	v_add_nc_u64_e32 v[12:13], 0x400, v[12:13]
.LBB12_709:                             ;   in Loop: Header=BB12_641 Depth=2
	s_or_b32 exec_lo, exec_lo, s10
	s_wait_loadcnt_dscnt 0x1f1f
	v_lshlrev_b32_e32 v1, 16, v90
	s_wait_loadcnt_dscnt 0xf0f
	v_lshlrev_b32_e32 v0, 16, v122
                                        ; implicit-def: $vgpr118
	s_delay_alu instid0(VALU_DEP_1) | instskip(NEXT) | instid1(VALU_DEP_1)
	v_dual_max_num_f32 v1, v1, v1 :: v_dual_max_num_f32 v0, v0, v0
	v_dual_min_num_f32 v116, v1, v0 :: v_dual_max_num_f32 v0, v1, v0
	s_delay_alu instid0(VALU_DEP_1) | instskip(NEXT) | instid1(VALU_DEP_1)
	v_cndmask_b32_e32 v0, v0, v116, vcc_lo
	v_and_b32_e32 v1, 0x7f800000, v0
	s_delay_alu instid0(VALU_DEP_1) | instskip(SKIP_1) | instid1(SALU_CYCLE_1)
	v_cmp_ne_u32_e64 s10, 0x7f800000, v1
	s_and_saveexec_b32 s29, s10
	s_xor_b32 s10, exec_lo, s29
; %bb.710:                              ;   in Loop: Header=BB12_641 Depth=2
	v_bfe_u32 v1, v0, 16, 1
	s_delay_alu instid0(VALU_DEP_1)
	v_add3_u32 v118, v0, v1, 0x7fff
                                        ; implicit-def: $vgpr0
; %bb.711:                              ;   in Loop: Header=BB12_641 Depth=2
	s_and_not1_saveexec_b32 s29, s10
; %bb.712:                              ;   in Loop: Header=BB12_641 Depth=2
	v_and_b32_e32 v1, 0xffff, v0
	v_or_b32_e32 v116, 0x10000, v0
	s_delay_alu instid0(VALU_DEP_2) | instskip(NEXT) | instid1(VALU_DEP_1)
	v_cmp_eq_u32_e64 s10, 0, v1
	v_cndmask_b32_e64 v118, v116, v0, s10
; %bb.713:                              ;   in Loop: Header=BB12_641 Depth=2
	s_or_b32 exec_lo, exec_lo, s29
	s_wait_loadcnt_dscnt 0xe0e
	v_dual_lshlrev_b32 v0, 16, v61 :: v_dual_lshlrev_b32 v1, 16, v60
                                        ; implicit-def: $vgpr119
	s_delay_alu instid0(VALU_DEP_1) | instskip(NEXT) | instid1(VALU_DEP_1)
	v_dual_max_num_f32 v0, v0, v0 :: v_dual_max_num_f32 v1, v1, v1
	v_dual_min_num_f32 v116, v1, v0 :: v_dual_max_num_f32 v0, v1, v0
	s_delay_alu instid0(VALU_DEP_1) | instskip(NEXT) | instid1(VALU_DEP_1)
	v_cndmask_b32_e32 v0, v0, v116, vcc_lo
	v_and_b32_e32 v1, 0x7f800000, v0
	s_delay_alu instid0(VALU_DEP_1) | instskip(SKIP_1) | instid1(SALU_CYCLE_1)
	v_cmp_ne_u32_e64 s10, 0x7f800000, v1
	s_and_saveexec_b32 s29, s10
	s_xor_b32 s10, exec_lo, s29
; %bb.714:                              ;   in Loop: Header=BB12_641 Depth=2
	v_bfe_u32 v1, v0, 16, 1
	s_delay_alu instid0(VALU_DEP_1)
	v_add3_u32 v119, v0, v1, 0x7fff
                                        ; implicit-def: $vgpr0
; %bb.715:                              ;   in Loop: Header=BB12_641 Depth=2
	s_and_not1_saveexec_b32 s29, s10
; %bb.716:                              ;   in Loop: Header=BB12_641 Depth=2
	v_and_b32_e32 v1, 0xffff, v0
	v_or_b32_e32 v116, 0x10000, v0
	s_delay_alu instid0(VALU_DEP_2) | instskip(NEXT) | instid1(VALU_DEP_1)
	v_cmp_eq_u32_e64 s10, 0, v1
	v_cndmask_b32_e64 v119, v116, v0, s10
; %bb.717:                              ;   in Loop: Header=BB12_641 Depth=2
	s_or_b32 exec_lo, exec_lo, s29
	s_wait_loadcnt_dscnt 0xd0d
	v_dual_lshlrev_b32 v0, 16, v43 :: v_dual_lshlrev_b32 v1, 16, v42
                                        ; implicit-def: $vgpr42
	s_delay_alu instid0(VALU_DEP_1) | instskip(NEXT) | instid1(VALU_DEP_1)
	v_dual_max_num_f32 v0, v0, v0 :: v_dual_max_num_f32 v1, v1, v1
	v_dual_min_num_f32 v116, v1, v0 :: v_dual_max_num_f32 v0, v1, v0
	s_delay_alu instid0(VALU_DEP_1) | instskip(NEXT) | instid1(VALU_DEP_1)
	v_cndmask_b32_e32 v0, v0, v116, vcc_lo
	v_and_b32_e32 v1, 0x7f800000, v0
	s_delay_alu instid0(VALU_DEP_1) | instskip(SKIP_1) | instid1(SALU_CYCLE_1)
	v_cmp_ne_u32_e64 s10, 0x7f800000, v1
	s_and_saveexec_b32 s29, s10
	s_xor_b32 s10, exec_lo, s29
; %bb.718:                              ;   in Loop: Header=BB12_641 Depth=2
	v_bfe_u32 v1, v0, 16, 1
	s_delay_alu instid0(VALU_DEP_1)
	v_add3_u32 v42, v0, v1, 0x7fff
                                        ; implicit-def: $vgpr0
; %bb.719:                              ;   in Loop: Header=BB12_641 Depth=2
	s_and_not1_saveexec_b32 s29, s10
; %bb.720:                              ;   in Loop: Header=BB12_641 Depth=2
	v_and_b32_e32 v1, 0xffff, v0
	v_or_b32_e32 v116, 0x10000, v0
	s_delay_alu instid0(VALU_DEP_2) | instskip(NEXT) | instid1(VALU_DEP_1)
	v_cmp_eq_u32_e64 s10, 0, v1
	v_cndmask_b32_e64 v42, v116, v0, s10
; %bb.721:                              ;   in Loop: Header=BB12_641 Depth=2
	s_or_b32 exec_lo, exec_lo, s29
	s_wait_loadcnt_dscnt 0xc0c
	v_dual_lshlrev_b32 v0, 16, v115 :: v_dual_lshlrev_b32 v1, 16, v114
	s_delay_alu instid0(VALU_DEP_1) | instskip(NEXT) | instid1(VALU_DEP_1)
	v_dual_max_num_f32 v0, v0, v0 :: v_dual_max_num_f32 v1, v1, v1
	v_dual_min_num_f32 v114, v1, v0 :: v_dual_max_num_f32 v0, v1, v0
	s_delay_alu instid0(VALU_DEP_1) | instskip(NEXT) | instid1(VALU_DEP_1)
	v_cndmask_b32_e32 v1, v0, v114, vcc_lo
	v_and_b32_e32 v0, 0x7f800000, v1
	s_delay_alu instid0(VALU_DEP_1) | instskip(SKIP_1) | instid1(SALU_CYCLE_1)
	v_cmp_ne_u32_e64 s10, 0x7f800000, v0
                                        ; implicit-def: $vgpr0
	s_and_saveexec_b32 s29, s10
	s_xor_b32 s10, exec_lo, s29
; %bb.722:                              ;   in Loop: Header=BB12_641 Depth=2
	v_bfe_u32 v0, v1, 16, 1
	s_delay_alu instid0(VALU_DEP_1)
	v_add3_u32 v0, v1, v0, 0x7fff
                                        ; implicit-def: $vgpr1
; %bb.723:                              ;   in Loop: Header=BB12_641 Depth=2
	s_and_not1_saveexec_b32 s29, s10
; %bb.724:                              ;   in Loop: Header=BB12_641 Depth=2
	v_and_b32_e32 v0, 0xffff, v1
	v_or_b32_e32 v114, 0x10000, v1
	s_delay_alu instid0(VALU_DEP_2) | instskip(NEXT) | instid1(VALU_DEP_1)
	v_cmp_eq_u32_e64 s10, 0, v0
	v_cndmask_b32_e64 v0, v114, v1, s10
; %bb.725:                              ;   in Loop: Header=BB12_641 Depth=2
	s_or_b32 exec_lo, exec_lo, s29
	s_wait_loadcnt_dscnt 0xb0b
	v_dual_lshlrev_b32 v1, 16, v112 :: v_dual_lshlrev_b32 v103, 16, v103
	s_delay_alu instid0(VALU_DEP_1) | instskip(NEXT) | instid1(VALU_DEP_1)
	v_dual_max_num_f32 v1, v1, v1 :: v_dual_max_num_f32 v103, v103, v103
	v_dual_min_num_f32 v112, v103, v1 :: v_dual_max_num_f32 v1, v103, v1
	s_delay_alu instid0(VALU_DEP_1) | instskip(NEXT) | instid1(VALU_DEP_1)
	v_cndmask_b32_e32 v103, v1, v112, vcc_lo
	v_and_b32_e32 v1, 0x7f800000, v103
	s_delay_alu instid0(VALU_DEP_1) | instskip(SKIP_1) | instid1(SALU_CYCLE_1)
	v_cmp_ne_u32_e64 s10, 0x7f800000, v1
                                        ; implicit-def: $vgpr1
	s_and_saveexec_b32 s29, s10
	s_xor_b32 s10, exec_lo, s29
; %bb.726:                              ;   in Loop: Header=BB12_641 Depth=2
	v_bfe_u32 v1, v103, 16, 1
	s_delay_alu instid0(VALU_DEP_1)
	v_add3_u32 v1, v103, v1, 0x7fff
                                        ; implicit-def: $vgpr103
; %bb.727:                              ;   in Loop: Header=BB12_641 Depth=2
	s_and_not1_saveexec_b32 s29, s10
; %bb.728:                              ;   in Loop: Header=BB12_641 Depth=2
	v_and_b32_e32 v1, 0xffff, v103
	v_or_b32_e32 v112, 0x10000, v103
	s_delay_alu instid0(VALU_DEP_2) | instskip(NEXT) | instid1(VALU_DEP_1)
	v_cmp_eq_u32_e64 s10, 0, v1
	v_cndmask_b32_e64 v1, v112, v103, s10
; %bb.729:                              ;   in Loop: Header=BB12_641 Depth=2
	s_or_b32 exec_lo, exec_lo, s29
	s_wait_loadcnt_dscnt 0xa0a
	v_dual_lshlrev_b32 v101, 16, v101 :: v_dual_lshlrev_b32 v100, 16, v100
	s_delay_alu instid0(VALU_DEP_1) | instskip(NEXT) | instid1(VALU_DEP_1)
	v_dual_max_num_f32 v101, v101, v101 :: v_dual_max_num_f32 v100, v100, v100
	v_dual_min_num_f32 v103, v100, v101 :: v_dual_max_num_f32 v100, v100, v101
	s_delay_alu instid0(VALU_DEP_1) | instskip(NEXT) | instid1(VALU_DEP_1)
	v_cndmask_b32_e32 v101, v100, v103, vcc_lo
	v_and_b32_e32 v100, 0x7f800000, v101
	s_delay_alu instid0(VALU_DEP_1) | instskip(SKIP_1) | instid1(SALU_CYCLE_1)
	v_cmp_ne_u32_e64 s10, 0x7f800000, v100
                                        ; implicit-def: $vgpr100
	s_and_saveexec_b32 s29, s10
	s_xor_b32 s10, exec_lo, s29
; %bb.730:                              ;   in Loop: Header=BB12_641 Depth=2
	v_bfe_u32 v100, v101, 16, 1
	s_delay_alu instid0(VALU_DEP_1)
	v_add3_u32 v100, v101, v100, 0x7fff
                                        ; implicit-def: $vgpr101
; %bb.731:                              ;   in Loop: Header=BB12_641 Depth=2
	s_and_not1_saveexec_b32 s29, s10
; %bb.732:                              ;   in Loop: Header=BB12_641 Depth=2
	v_and_b32_e32 v100, 0xffff, v101
	v_or_b32_e32 v103, 0x10000, v101
	s_delay_alu instid0(VALU_DEP_2) | instskip(NEXT) | instid1(VALU_DEP_1)
	v_cmp_eq_u32_e64 s10, 0, v100
	v_cndmask_b32_e64 v100, v103, v101, s10
; %bb.733:                              ;   in Loop: Header=BB12_641 Depth=2
	s_or_b32 exec_lo, exec_lo, s29
	s_wait_loadcnt_dscnt 0x909
	v_dual_lshlrev_b32 v98, 16, v98 :: v_dual_lshlrev_b32 v97, 16, v97
	s_delay_alu instid0(VALU_DEP_1) | instskip(NEXT) | instid1(VALU_DEP_1)
	v_dual_max_num_f32 v98, v98, v98 :: v_dual_max_num_f32 v97, v97, v97
	v_dual_min_num_f32 v101, v97, v98 :: v_dual_max_num_f32 v97, v97, v98
	s_delay_alu instid0(VALU_DEP_1) | instskip(NEXT) | instid1(VALU_DEP_1)
	v_cndmask_b32_e32 v98, v97, v101, vcc_lo
	v_and_b32_e32 v97, 0x7f800000, v98
	s_delay_alu instid0(VALU_DEP_1) | instskip(SKIP_1) | instid1(SALU_CYCLE_1)
	v_cmp_ne_u32_e64 s10, 0x7f800000, v97
                                        ; implicit-def: $vgpr97
	s_and_saveexec_b32 s29, s10
	s_xor_b32 s10, exec_lo, s29
; %bb.734:                              ;   in Loop: Header=BB12_641 Depth=2
	v_bfe_u32 v97, v98, 16, 1
	s_delay_alu instid0(VALU_DEP_1)
	v_add3_u32 v97, v98, v97, 0x7fff
                                        ; implicit-def: $vgpr98
; %bb.735:                              ;   in Loop: Header=BB12_641 Depth=2
	s_and_not1_saveexec_b32 s29, s10
; %bb.736:                              ;   in Loop: Header=BB12_641 Depth=2
	v_and_b32_e32 v97, 0xffff, v98
	v_or_b32_e32 v101, 0x10000, v98
	s_delay_alu instid0(VALU_DEP_2) | instskip(NEXT) | instid1(VALU_DEP_1)
	v_cmp_eq_u32_e64 s10, 0, v97
	v_cndmask_b32_e64 v97, v101, v98, s10
; %bb.737:                              ;   in Loop: Header=BB12_641 Depth=2
	s_or_b32 exec_lo, exec_lo, s29
	s_wait_loadcnt_dscnt 0x808
	v_dual_lshlrev_b32 v87, 16, v87 :: v_dual_lshlrev_b32 v86, 16, v86
	s_delay_alu instid0(VALU_DEP_1) | instskip(NEXT) | instid1(VALU_DEP_1)
	v_dual_max_num_f32 v87, v87, v87 :: v_dual_max_num_f32 v86, v86, v86
	v_dual_min_num_f32 v98, v86, v87 :: v_dual_max_num_f32 v86, v86, v87
	s_delay_alu instid0(VALU_DEP_1) | instskip(NEXT) | instid1(VALU_DEP_1)
	v_cndmask_b32_e32 v87, v86, v98, vcc_lo
	v_and_b32_e32 v86, 0x7f800000, v87
	s_delay_alu instid0(VALU_DEP_1) | instskip(SKIP_1) | instid1(SALU_CYCLE_1)
	v_cmp_ne_u32_e64 s10, 0x7f800000, v86
                                        ; implicit-def: $vgpr86
	s_and_saveexec_b32 s29, s10
	s_xor_b32 s10, exec_lo, s29
; %bb.738:                              ;   in Loop: Header=BB12_641 Depth=2
	v_bfe_u32 v86, v87, 16, 1
	s_delay_alu instid0(VALU_DEP_1)
	v_add3_u32 v86, v87, v86, 0x7fff
                                        ; implicit-def: $vgpr87
; %bb.739:                              ;   in Loop: Header=BB12_641 Depth=2
	s_and_not1_saveexec_b32 s29, s10
; %bb.740:                              ;   in Loop: Header=BB12_641 Depth=2
	v_and_b32_e32 v86, 0xffff, v87
	v_or_b32_e32 v98, 0x10000, v87
	s_delay_alu instid0(VALU_DEP_2) | instskip(NEXT) | instid1(VALU_DEP_1)
	v_cmp_eq_u32_e64 s10, 0, v86
	v_cndmask_b32_e64 v86, v98, v87, s10
; %bb.741:                              ;   in Loop: Header=BB12_641 Depth=2
	s_or_b32 exec_lo, exec_lo, s29
	s_wait_loadcnt_dscnt 0x707
	v_dual_lshlrev_b32 v85, 16, v85 :: v_dual_lshlrev_b32 v83, 16, v83
	s_delay_alu instid0(VALU_DEP_1) | instskip(NEXT) | instid1(VALU_DEP_1)
	v_dual_max_num_f32 v85, v85, v85 :: v_dual_max_num_f32 v83, v83, v83
	v_dual_min_num_f32 v87, v83, v85 :: v_dual_max_num_f32 v83, v83, v85
	s_delay_alu instid0(VALU_DEP_1) | instskip(NEXT) | instid1(VALU_DEP_1)
	v_cndmask_b32_e32 v85, v83, v87, vcc_lo
	v_and_b32_e32 v83, 0x7f800000, v85
	s_delay_alu instid0(VALU_DEP_1) | instskip(SKIP_1) | instid1(SALU_CYCLE_1)
	v_cmp_ne_u32_e64 s10, 0x7f800000, v83
                                        ; implicit-def: $vgpr83
	s_and_saveexec_b32 s29, s10
	s_xor_b32 s10, exec_lo, s29
; %bb.742:                              ;   in Loop: Header=BB12_641 Depth=2
	v_bfe_u32 v83, v85, 16, 1
	s_delay_alu instid0(VALU_DEP_1)
	v_add3_u32 v83, v85, v83, 0x7fff
                                        ; implicit-def: $vgpr85
; %bb.743:                              ;   in Loop: Header=BB12_641 Depth=2
	s_and_not1_saveexec_b32 s29, s10
; %bb.744:                              ;   in Loop: Header=BB12_641 Depth=2
	v_and_b32_e32 v83, 0xffff, v85
	v_or_b32_e32 v87, 0x10000, v85
	s_delay_alu instid0(VALU_DEP_2) | instskip(NEXT) | instid1(VALU_DEP_1)
	v_cmp_eq_u32_e64 s10, 0, v83
	v_cndmask_b32_e64 v83, v87, v85, s10
; %bb.745:                              ;   in Loop: Header=BB12_641 Depth=2
	s_or_b32 exec_lo, exec_lo, s29
	s_wait_loadcnt_dscnt 0x606
	v_dual_lshlrev_b32 v82, 16, v82 :: v_dual_lshlrev_b32 v80, 16, v80
	s_delay_alu instid0(VALU_DEP_1) | instskip(NEXT) | instid1(VALU_DEP_1)
	v_dual_max_num_f32 v82, v82, v82 :: v_dual_max_num_f32 v80, v80, v80
	v_dual_min_num_f32 v85, v80, v82 :: v_dual_max_num_f32 v80, v80, v82
	s_delay_alu instid0(VALU_DEP_1) | instskip(NEXT) | instid1(VALU_DEP_1)
	v_cndmask_b32_e32 v82, v80, v85, vcc_lo
	v_and_b32_e32 v80, 0x7f800000, v82
	s_delay_alu instid0(VALU_DEP_1) | instskip(SKIP_1) | instid1(SALU_CYCLE_1)
	v_cmp_ne_u32_e64 s10, 0x7f800000, v80
                                        ; implicit-def: $vgpr80
	s_and_saveexec_b32 s29, s10
	s_xor_b32 s10, exec_lo, s29
; %bb.746:                              ;   in Loop: Header=BB12_641 Depth=2
	v_bfe_u32 v80, v82, 16, 1
	s_delay_alu instid0(VALU_DEP_1)
	v_add3_u32 v80, v82, v80, 0x7fff
                                        ; implicit-def: $vgpr82
; %bb.747:                              ;   in Loop: Header=BB12_641 Depth=2
	s_and_not1_saveexec_b32 s29, s10
; %bb.748:                              ;   in Loop: Header=BB12_641 Depth=2
	v_and_b32_e32 v80, 0xffff, v82
	v_or_b32_e32 v85, 0x10000, v82
	s_delay_alu instid0(VALU_DEP_2) | instskip(NEXT) | instid1(VALU_DEP_1)
	v_cmp_eq_u32_e64 s10, 0, v80
	v_cndmask_b32_e64 v80, v85, v82, s10
; %bb.749:                              ;   in Loop: Header=BB12_641 Depth=2
	s_or_b32 exec_lo, exec_lo, s29
	s_wait_loadcnt_dscnt 0x505
	v_dual_lshlrev_b32 v71, 16, v71 :: v_dual_lshlrev_b32 v69, 16, v69
	s_delay_alu instid0(VALU_DEP_1) | instskip(NEXT) | instid1(VALU_DEP_1)
	v_dual_max_num_f32 v71, v71, v71 :: v_dual_max_num_f32 v69, v69, v69
	v_dual_min_num_f32 v82, v69, v71 :: v_dual_max_num_f32 v69, v69, v71
	s_delay_alu instid0(VALU_DEP_1) | instskip(NEXT) | instid1(VALU_DEP_1)
	v_cndmask_b32_e32 v71, v69, v82, vcc_lo
	v_and_b32_e32 v69, 0x7f800000, v71
	s_delay_alu instid0(VALU_DEP_1) | instskip(SKIP_1) | instid1(SALU_CYCLE_1)
	v_cmp_ne_u32_e64 s10, 0x7f800000, v69
                                        ; implicit-def: $vgpr69
	s_and_saveexec_b32 s29, s10
	s_xor_b32 s10, exec_lo, s29
; %bb.750:                              ;   in Loop: Header=BB12_641 Depth=2
	v_bfe_u32 v69, v71, 16, 1
	s_delay_alu instid0(VALU_DEP_1)
	v_add3_u32 v69, v71, v69, 0x7fff
                                        ; implicit-def: $vgpr71
; %bb.751:                              ;   in Loop: Header=BB12_641 Depth=2
	s_and_not1_saveexec_b32 s29, s10
; %bb.752:                              ;   in Loop: Header=BB12_641 Depth=2
	v_and_b32_e32 v69, 0xffff, v71
	v_or_b32_e32 v82, 0x10000, v71
	s_delay_alu instid0(VALU_DEP_2) | instskip(NEXT) | instid1(VALU_DEP_1)
	v_cmp_eq_u32_e64 s10, 0, v69
	v_cndmask_b32_e64 v69, v82, v71, s10
; %bb.753:                              ;   in Loop: Header=BB12_641 Depth=2
	s_or_b32 exec_lo, exec_lo, s29
	s_wait_loadcnt_dscnt 0x404
	v_dual_lshlrev_b32 v68, 16, v68 :: v_dual_lshlrev_b32 v67, 16, v67
	s_delay_alu instid0(VALU_DEP_1) | instskip(NEXT) | instid1(VALU_DEP_1)
	v_dual_max_num_f32 v68, v68, v68 :: v_dual_max_num_f32 v67, v67, v67
	v_dual_min_num_f32 v71, v67, v68 :: v_dual_max_num_f32 v67, v67, v68
	s_delay_alu instid0(VALU_DEP_1) | instskip(NEXT) | instid1(VALU_DEP_1)
	v_cndmask_b32_e32 v68, v67, v71, vcc_lo
	v_and_b32_e32 v67, 0x7f800000, v68
	s_delay_alu instid0(VALU_DEP_1) | instskip(SKIP_1) | instid1(SALU_CYCLE_1)
	v_cmp_ne_u32_e64 s10, 0x7f800000, v67
                                        ; implicit-def: $vgpr67
	s_and_saveexec_b32 s29, s10
	s_xor_b32 s10, exec_lo, s29
; %bb.754:                              ;   in Loop: Header=BB12_641 Depth=2
	v_bfe_u32 v67, v68, 16, 1
	s_delay_alu instid0(VALU_DEP_1)
	v_add3_u32 v67, v68, v67, 0x7fff
                                        ; implicit-def: $vgpr68
; %bb.755:                              ;   in Loop: Header=BB12_641 Depth=2
	s_and_not1_saveexec_b32 s29, s10
; %bb.756:                              ;   in Loop: Header=BB12_641 Depth=2
	v_and_b32_e32 v67, 0xffff, v68
	v_or_b32_e32 v71, 0x10000, v68
	s_delay_alu instid0(VALU_DEP_2) | instskip(NEXT) | instid1(VALU_DEP_1)
	v_cmp_eq_u32_e64 s10, 0, v67
	v_cndmask_b32_e64 v67, v71, v68, s10
; %bb.757:                              ;   in Loop: Header=BB12_641 Depth=2
	s_or_b32 exec_lo, exec_lo, s29
	s_wait_loadcnt_dscnt 0x303
	v_dual_lshlrev_b32 v65, 16, v65 :: v_dual_lshlrev_b32 v64, 16, v64
	s_delay_alu instid0(VALU_DEP_1) | instskip(NEXT) | instid1(VALU_DEP_1)
	v_dual_max_num_f32 v65, v65, v65 :: v_dual_max_num_f32 v64, v64, v64
	v_dual_min_num_f32 v68, v64, v65 :: v_dual_max_num_f32 v64, v64, v65
	s_delay_alu instid0(VALU_DEP_1) | instskip(NEXT) | instid1(VALU_DEP_1)
	v_cndmask_b32_e32 v65, v64, v68, vcc_lo
	v_and_b32_e32 v64, 0x7f800000, v65
	s_delay_alu instid0(VALU_DEP_1) | instskip(SKIP_1) | instid1(SALU_CYCLE_1)
	v_cmp_ne_u32_e64 s10, 0x7f800000, v64
                                        ; implicit-def: $vgpr64
	s_and_saveexec_b32 s29, s10
	s_xor_b32 s10, exec_lo, s29
; %bb.758:                              ;   in Loop: Header=BB12_641 Depth=2
	v_bfe_u32 v64, v65, 16, 1
	s_delay_alu instid0(VALU_DEP_1)
	v_add3_u32 v64, v65, v64, 0x7fff
                                        ; implicit-def: $vgpr65
; %bb.759:                              ;   in Loop: Header=BB12_641 Depth=2
	s_and_not1_saveexec_b32 s29, s10
; %bb.760:                              ;   in Loop: Header=BB12_641 Depth=2
	v_and_b32_e32 v64, 0xffff, v65
	v_or_b32_e32 v68, 0x10000, v65
	s_delay_alu instid0(VALU_DEP_2) | instskip(NEXT) | instid1(VALU_DEP_1)
	v_cmp_eq_u32_e64 s10, 0, v64
	v_cndmask_b32_e64 v64, v68, v65, s10
; %bb.761:                              ;   in Loop: Header=BB12_641 Depth=2
	s_or_b32 exec_lo, exec_lo, s29
	s_wait_loadcnt_dscnt 0x202
	v_dual_lshlrev_b32 v54, 16, v54 :: v_dual_lshlrev_b32 v53, 16, v53
	s_delay_alu instid0(VALU_DEP_1) | instskip(NEXT) | instid1(VALU_DEP_1)
	v_dual_max_num_f32 v54, v54, v54 :: v_dual_max_num_f32 v53, v53, v53
	v_dual_min_num_f32 v65, v53, v54 :: v_dual_max_num_f32 v53, v53, v54
	s_delay_alu instid0(VALU_DEP_1) | instskip(NEXT) | instid1(VALU_DEP_1)
	v_cndmask_b32_e32 v54, v53, v65, vcc_lo
	v_and_b32_e32 v53, 0x7f800000, v54
	s_delay_alu instid0(VALU_DEP_1) | instskip(SKIP_1) | instid1(SALU_CYCLE_1)
	v_cmp_ne_u32_e64 s10, 0x7f800000, v53
                                        ; implicit-def: $vgpr53
	s_and_saveexec_b32 s29, s10
	s_xor_b32 s10, exec_lo, s29
; %bb.762:                              ;   in Loop: Header=BB12_641 Depth=2
	v_bfe_u32 v53, v54, 16, 1
	s_delay_alu instid0(VALU_DEP_1)
	v_add3_u32 v53, v54, v53, 0x7fff
                                        ; implicit-def: $vgpr54
; %bb.763:                              ;   in Loop: Header=BB12_641 Depth=2
	s_and_not1_saveexec_b32 s29, s10
; %bb.764:                              ;   in Loop: Header=BB12_641 Depth=2
	v_and_b32_e32 v53, 0xffff, v54
	v_or_b32_e32 v65, 0x10000, v54
	s_delay_alu instid0(VALU_DEP_2) | instskip(NEXT) | instid1(VALU_DEP_1)
	v_cmp_eq_u32_e64 s10, 0, v53
	v_cndmask_b32_e64 v53, v65, v54, s10
; %bb.765:                              ;   in Loop: Header=BB12_641 Depth=2
	s_or_b32 exec_lo, exec_lo, s29
	s_wait_loadcnt_dscnt 0x101
	v_dual_lshlrev_b32 v51, 16, v51 :: v_dual_lshlrev_b32 v50, 16, v50
	s_delay_alu instid0(VALU_DEP_1) | instskip(NEXT) | instid1(VALU_DEP_1)
	v_dual_max_num_f32 v51, v51, v51 :: v_dual_max_num_f32 v50, v50, v50
	v_dual_min_num_f32 v54, v50, v51 :: v_dual_max_num_f32 v50, v50, v51
	s_delay_alu instid0(VALU_DEP_1) | instskip(NEXT) | instid1(VALU_DEP_1)
	v_cndmask_b32_e32 v51, v50, v54, vcc_lo
	v_and_b32_e32 v50, 0x7f800000, v51
	s_delay_alu instid0(VALU_DEP_1) | instskip(SKIP_1) | instid1(SALU_CYCLE_1)
	v_cmp_ne_u32_e64 s10, 0x7f800000, v50
                                        ; implicit-def: $vgpr50
	s_and_saveexec_b32 s29, s10
	s_xor_b32 s10, exec_lo, s29
; %bb.766:                              ;   in Loop: Header=BB12_641 Depth=2
	v_bfe_u32 v50, v51, 16, 1
	s_delay_alu instid0(VALU_DEP_1)
	v_add3_u32 v50, v51, v50, 0x7fff
                                        ; implicit-def: $vgpr51
; %bb.767:                              ;   in Loop: Header=BB12_641 Depth=2
	s_and_not1_saveexec_b32 s29, s10
; %bb.768:                              ;   in Loop: Header=BB12_641 Depth=2
	v_and_b32_e32 v50, 0xffff, v51
	v_or_b32_e32 v54, 0x10000, v51
	s_delay_alu instid0(VALU_DEP_2) | instskip(NEXT) | instid1(VALU_DEP_1)
	v_cmp_eq_u32_e64 s10, 0, v50
	v_cndmask_b32_e64 v50, v54, v51, s10
; %bb.769:                              ;   in Loop: Header=BB12_641 Depth=2
	s_or_b32 exec_lo, exec_lo, s29
	s_wait_loadcnt_dscnt 0x0
	v_dual_lshlrev_b32 v48, 16, v48 :: v_dual_lshlrev_b32 v39, 16, v39
	s_delay_alu instid0(VALU_DEP_1) | instskip(NEXT) | instid1(VALU_DEP_1)
	v_dual_max_num_f32 v48, v48, v48 :: v_dual_max_num_f32 v39, v39, v39
	v_dual_min_num_f32 v51, v39, v48 :: v_dual_max_num_f32 v39, v39, v48
	s_delay_alu instid0(VALU_DEP_1) | instskip(NEXT) | instid1(VALU_DEP_1)
	v_cndmask_b32_e32 v48, v39, v51, vcc_lo
	v_and_b32_e32 v39, 0x7f800000, v48
	s_delay_alu instid0(VALU_DEP_1) | instskip(SKIP_1) | instid1(SALU_CYCLE_1)
	v_cmp_ne_u32_e64 s10, 0x7f800000, v39
                                        ; implicit-def: $vgpr39
	s_and_saveexec_b32 s29, s10
	s_xor_b32 s10, exec_lo, s29
; %bb.770:                              ;   in Loop: Header=BB12_641 Depth=2
	v_bfe_u32 v39, v48, 16, 1
	s_delay_alu instid0(VALU_DEP_1)
	v_add3_u32 v39, v48, v39, 0x7fff
                                        ; implicit-def: $vgpr48
; %bb.771:                              ;   in Loop: Header=BB12_641 Depth=2
	s_and_not1_saveexec_b32 s29, s10
	s_cbranch_execz .LBB12_640
; %bb.772:                              ;   in Loop: Header=BB12_641 Depth=2
	v_and_b32_e32 v39, 0xffff, v48
	v_or_b32_e32 v51, 0x10000, v48
	s_delay_alu instid0(VALU_DEP_2) | instskip(NEXT) | instid1(VALU_DEP_1)
	v_cmp_eq_u32_e64 s10, 0, v39
	v_cndmask_b32_e64 v39, v51, v48, s10
	s_branch .LBB12_640
.LBB12_773:                             ;   in Loop: Header=BB12_49 Depth=1
	s_or_b32 exec_lo, exec_lo, s14
	v_dual_lshlrev_b32 v97, 16, v113 :: v_dual_lshlrev_b32 v86, 16, v102
	v_dual_lshlrev_b32 v98, 16, v17 :: v_dual_lshlrev_b32 v87, 16, v18
	;; [unrolled: 1-line block ×16, first 2 shown]
	s_and_b32 s10, s12, exec_lo
.LBB12_774:                             ;   in Loop: Header=BB12_49 Depth=1
	s_or_b32 exec_lo, exec_lo, s11
	s_and_saveexec_b32 s11, s10
	s_cbranch_execz .LBB12_840
; %bb.775:                              ;   in Loop: Header=BB12_49 Depth=1
	v_dual_max_num_f32 v12, v98, v98 :: v_dual_max_num_f32 v13, v97, v97
	s_and_b32 s10, s28, 0xff
	s_delay_alu instid0(SALU_CYCLE_1) | instskip(NEXT) | instid1(VALU_DEP_1)
	s_cmp_eq_u32 s10, 0
	v_dual_min_num_f32 v23, v13, v12 :: v_dual_max_num_f32 v12, v13, v12
	s_cselect_b32 vcc_lo, -1, 0
	s_delay_alu instid0(VALU_DEP_1) | instskip(NEXT) | instid1(VALU_DEP_1)
	v_cndmask_b32_e32 v13, v12, v23, vcc_lo
	v_and_b32_e32 v12, 0x7f800000, v13
	s_delay_alu instid0(VALU_DEP_1) | instskip(SKIP_1) | instid1(SALU_CYCLE_1)
	v_cmp_ne_u32_e64 s10, 0x7f800000, v12
                                        ; implicit-def: $vgpr12
	s_and_saveexec_b32 s12, s10
	s_xor_b32 s10, exec_lo, s12
; %bb.776:                              ;   in Loop: Header=BB12_49 Depth=1
	v_bfe_u32 v12, v13, 16, 1
	s_delay_alu instid0(VALU_DEP_1)
	v_add3_u32 v12, v13, v12, 0x7fff
                                        ; implicit-def: $vgpr13
; %bb.777:                              ;   in Loop: Header=BB12_49 Depth=1
	s_and_not1_saveexec_b32 s12, s10
; %bb.778:                              ;   in Loop: Header=BB12_49 Depth=1
	v_and_b32_e32 v12, 0xffff, v13
	v_or_b32_e32 v23, 0x10000, v13
	s_delay_alu instid0(VALU_DEP_2) | instskip(NEXT) | instid1(VALU_DEP_1)
	v_cmp_eq_u32_e64 s10, 0, v12
	v_cndmask_b32_e64 v12, v23, v13, s10
; %bb.779:                              ;   in Loop: Header=BB12_49 Depth=1
	s_or_b32 exec_lo, exec_lo, s12
	v_dual_max_num_f32 v13, v87, v87 :: v_dual_max_num_f32 v23, v86, v86
	s_delay_alu instid0(VALU_DEP_1) | instskip(NEXT) | instid1(VALU_DEP_1)
	v_dual_min_num_f32 v26, v23, v13 :: v_dual_max_num_f32 v13, v23, v13
	v_cndmask_b32_e32 v23, v13, v26, vcc_lo
	s_delay_alu instid0(VALU_DEP_1) | instskip(NEXT) | instid1(VALU_DEP_1)
	v_and_b32_e32 v13, 0x7f800000, v23
	v_cmp_ne_u32_e64 s10, 0x7f800000, v13
                                        ; implicit-def: $vgpr13
	s_and_saveexec_b32 s12, s10
	s_delay_alu instid0(SALU_CYCLE_1)
	s_xor_b32 s10, exec_lo, s12
; %bb.780:                              ;   in Loop: Header=BB12_49 Depth=1
	v_bfe_u32 v13, v23, 16, 1
	s_delay_alu instid0(VALU_DEP_1)
	v_add3_u32 v13, v23, v13, 0x7fff
                                        ; implicit-def: $vgpr23
; %bb.781:                              ;   in Loop: Header=BB12_49 Depth=1
	s_and_not1_saveexec_b32 s12, s10
; %bb.782:                              ;   in Loop: Header=BB12_49 Depth=1
	v_and_b32_e32 v13, 0xffff, v23
	v_or_b32_e32 v26, 0x10000, v23
	s_delay_alu instid0(VALU_DEP_2) | instskip(NEXT) | instid1(VALU_DEP_1)
	v_cmp_eq_u32_e64 s10, 0, v13
	v_cndmask_b32_e64 v13, v26, v23, s10
; %bb.783:                              ;   in Loop: Header=BB12_49 Depth=1
	s_or_b32 exec_lo, exec_lo, s12
	v_dual_max_num_f32 v23, v85, v85 :: v_dual_max_num_f32 v26, v83, v83
	s_delay_alu instid0(VALU_DEP_1) | instskip(NEXT) | instid1(VALU_DEP_1)
	v_dual_min_num_f32 v27, v26, v23 :: v_dual_max_num_f32 v23, v26, v23
	v_cndmask_b32_e32 v26, v23, v27, vcc_lo
	s_delay_alu instid0(VALU_DEP_1) | instskip(NEXT) | instid1(VALU_DEP_1)
	v_and_b32_e32 v23, 0x7f800000, v26
	v_cmp_ne_u32_e64 s10, 0x7f800000, v23
                                        ; implicit-def: $vgpr23
	s_and_saveexec_b32 s12, s10
	s_delay_alu instid0(SALU_CYCLE_1)
	s_xor_b32 s10, exec_lo, s12
; %bb.784:                              ;   in Loop: Header=BB12_49 Depth=1
	v_bfe_u32 v23, v26, 16, 1
	s_delay_alu instid0(VALU_DEP_1)
	v_add3_u32 v23, v26, v23, 0x7fff
                                        ; implicit-def: $vgpr26
; %bb.785:                              ;   in Loop: Header=BB12_49 Depth=1
	s_and_not1_saveexec_b32 s12, s10
; %bb.786:                              ;   in Loop: Header=BB12_49 Depth=1
	v_and_b32_e32 v23, 0xffff, v26
	v_or_b32_e32 v27, 0x10000, v26
	s_delay_alu instid0(VALU_DEP_2) | instskip(NEXT) | instid1(VALU_DEP_1)
	v_cmp_eq_u32_e64 s10, 0, v23
	v_cndmask_b32_e64 v23, v27, v26, s10
; %bb.787:                              ;   in Loop: Header=BB12_49 Depth=1
	s_or_b32 exec_lo, exec_lo, s12
	v_dual_max_num_f32 v26, v82, v82 :: v_dual_max_num_f32 v27, v80, v80
	s_delay_alu instid0(VALU_DEP_1) | instskip(NEXT) | instid1(VALU_DEP_1)
	v_dual_min_num_f32 v28, v27, v26 :: v_dual_max_num_f32 v26, v27, v26
	v_cndmask_b32_e32 v27, v26, v28, vcc_lo
	s_delay_alu instid0(VALU_DEP_1) | instskip(NEXT) | instid1(VALU_DEP_1)
	v_and_b32_e32 v26, 0x7f800000, v27
	v_cmp_ne_u32_e64 s10, 0x7f800000, v26
                                        ; implicit-def: $vgpr26
	s_and_saveexec_b32 s12, s10
	s_delay_alu instid0(SALU_CYCLE_1)
	s_xor_b32 s10, exec_lo, s12
; %bb.788:                              ;   in Loop: Header=BB12_49 Depth=1
	v_bfe_u32 v26, v27, 16, 1
	s_delay_alu instid0(VALU_DEP_1)
	v_add3_u32 v26, v27, v26, 0x7fff
                                        ; implicit-def: $vgpr27
; %bb.789:                              ;   in Loop: Header=BB12_49 Depth=1
	s_and_not1_saveexec_b32 s12, s10
; %bb.790:                              ;   in Loop: Header=BB12_49 Depth=1
	v_and_b32_e32 v26, 0xffff, v27
	v_or_b32_e32 v28, 0x10000, v27
	s_delay_alu instid0(VALU_DEP_2) | instskip(NEXT) | instid1(VALU_DEP_1)
	v_cmp_eq_u32_e64 s10, 0, v26
	v_cndmask_b32_e64 v26, v28, v27, s10
; %bb.791:                              ;   in Loop: Header=BB12_49 Depth=1
	s_or_b32 exec_lo, exec_lo, s12
	v_dual_max_num_f32 v27, v71, v71 :: v_dual_max_num_f32 v28, v69, v69
	s_delay_alu instid0(VALU_DEP_1) | instskip(NEXT) | instid1(VALU_DEP_1)
	v_dual_min_num_f32 v29, v28, v27 :: v_dual_max_num_f32 v27, v28, v27
	v_cndmask_b32_e32 v28, v27, v29, vcc_lo
	s_delay_alu instid0(VALU_DEP_1) | instskip(NEXT) | instid1(VALU_DEP_1)
	v_and_b32_e32 v27, 0x7f800000, v28
	v_cmp_ne_u32_e64 s10, 0x7f800000, v27
                                        ; implicit-def: $vgpr27
	s_and_saveexec_b32 s12, s10
	s_delay_alu instid0(SALU_CYCLE_1)
	s_xor_b32 s10, exec_lo, s12
; %bb.792:                              ;   in Loop: Header=BB12_49 Depth=1
	v_bfe_u32 v27, v28, 16, 1
	s_delay_alu instid0(VALU_DEP_1)
	v_add3_u32 v27, v28, v27, 0x7fff
                                        ; implicit-def: $vgpr28
; %bb.793:                              ;   in Loop: Header=BB12_49 Depth=1
	s_and_not1_saveexec_b32 s12, s10
; %bb.794:                              ;   in Loop: Header=BB12_49 Depth=1
	v_and_b32_e32 v27, 0xffff, v28
	v_or_b32_e32 v29, 0x10000, v28
	s_delay_alu instid0(VALU_DEP_2) | instskip(NEXT) | instid1(VALU_DEP_1)
	v_cmp_eq_u32_e64 s10, 0, v27
	v_cndmask_b32_e64 v27, v29, v28, s10
; %bb.795:                              ;   in Loop: Header=BB12_49 Depth=1
	s_or_b32 exec_lo, exec_lo, s12
	v_dual_max_num_f32 v28, v68, v68 :: v_dual_max_num_f32 v29, v67, v67
	s_delay_alu instid0(VALU_DEP_1) | instskip(NEXT) | instid1(VALU_DEP_1)
	v_dual_min_num_f32 v30, v29, v28 :: v_dual_max_num_f32 v28, v29, v28
	v_cndmask_b32_e32 v29, v28, v30, vcc_lo
	s_delay_alu instid0(VALU_DEP_1) | instskip(NEXT) | instid1(VALU_DEP_1)
	v_and_b32_e32 v28, 0x7f800000, v29
	v_cmp_ne_u32_e64 s10, 0x7f800000, v28
                                        ; implicit-def: $vgpr28
	s_and_saveexec_b32 s12, s10
	s_delay_alu instid0(SALU_CYCLE_1)
	s_xor_b32 s10, exec_lo, s12
; %bb.796:                              ;   in Loop: Header=BB12_49 Depth=1
	v_bfe_u32 v28, v29, 16, 1
	s_delay_alu instid0(VALU_DEP_1)
	v_add3_u32 v28, v29, v28, 0x7fff
                                        ; implicit-def: $vgpr29
; %bb.797:                              ;   in Loop: Header=BB12_49 Depth=1
	s_and_not1_saveexec_b32 s12, s10
; %bb.798:                              ;   in Loop: Header=BB12_49 Depth=1
	v_and_b32_e32 v28, 0xffff, v29
	v_or_b32_e32 v30, 0x10000, v29
	s_delay_alu instid0(VALU_DEP_2) | instskip(NEXT) | instid1(VALU_DEP_1)
	v_cmp_eq_u32_e64 s10, 0, v28
	v_cndmask_b32_e64 v28, v30, v29, s10
; %bb.799:                              ;   in Loop: Header=BB12_49 Depth=1
	s_or_b32 exec_lo, exec_lo, s12
	v_dual_max_num_f32 v29, v65, v65 :: v_dual_max_num_f32 v30, v64, v64
	s_delay_alu instid0(VALU_DEP_1) | instskip(NEXT) | instid1(VALU_DEP_1)
	v_dual_min_num_f32 v31, v30, v29 :: v_dual_max_num_f32 v29, v30, v29
	v_cndmask_b32_e32 v30, v29, v31, vcc_lo
	s_delay_alu instid0(VALU_DEP_1) | instskip(NEXT) | instid1(VALU_DEP_1)
	v_and_b32_e32 v29, 0x7f800000, v30
	v_cmp_ne_u32_e64 s10, 0x7f800000, v29
                                        ; implicit-def: $vgpr29
	s_and_saveexec_b32 s12, s10
	s_delay_alu instid0(SALU_CYCLE_1)
	s_xor_b32 s10, exec_lo, s12
; %bb.800:                              ;   in Loop: Header=BB12_49 Depth=1
	v_bfe_u32 v29, v30, 16, 1
	s_delay_alu instid0(VALU_DEP_1)
	v_add3_u32 v29, v30, v29, 0x7fff
                                        ; implicit-def: $vgpr30
; %bb.801:                              ;   in Loop: Header=BB12_49 Depth=1
	s_and_not1_saveexec_b32 s12, s10
; %bb.802:                              ;   in Loop: Header=BB12_49 Depth=1
	v_and_b32_e32 v29, 0xffff, v30
	v_or_b32_e32 v31, 0x10000, v30
	s_delay_alu instid0(VALU_DEP_2) | instskip(NEXT) | instid1(VALU_DEP_1)
	v_cmp_eq_u32_e64 s10, 0, v29
	v_cndmask_b32_e64 v29, v31, v30, s10
; %bb.803:                              ;   in Loop: Header=BB12_49 Depth=1
	s_or_b32 exec_lo, exec_lo, s12
	v_dual_max_num_f32 v30, v54, v54 :: v_dual_max_num_f32 v31, v53, v53
	s_delay_alu instid0(VALU_DEP_1) | instskip(NEXT) | instid1(VALU_DEP_1)
	v_dual_min_num_f32 v32, v31, v30 :: v_dual_max_num_f32 v30, v31, v30
	v_cndmask_b32_e32 v31, v30, v32, vcc_lo
	s_delay_alu instid0(VALU_DEP_1) | instskip(NEXT) | instid1(VALU_DEP_1)
	v_and_b32_e32 v30, 0x7f800000, v31
	v_cmp_ne_u32_e64 s10, 0x7f800000, v30
                                        ; implicit-def: $vgpr30
	s_and_saveexec_b32 s12, s10
	s_delay_alu instid0(SALU_CYCLE_1)
	s_xor_b32 s10, exec_lo, s12
; %bb.804:                              ;   in Loop: Header=BB12_49 Depth=1
	v_bfe_u32 v30, v31, 16, 1
	s_delay_alu instid0(VALU_DEP_1)
	v_add3_u32 v30, v31, v30, 0x7fff
                                        ; implicit-def: $vgpr31
; %bb.805:                              ;   in Loop: Header=BB12_49 Depth=1
	s_and_not1_saveexec_b32 s12, s10
; %bb.806:                              ;   in Loop: Header=BB12_49 Depth=1
	v_and_b32_e32 v30, 0xffff, v31
	v_or_b32_e32 v32, 0x10000, v31
	s_delay_alu instid0(VALU_DEP_2) | instskip(NEXT) | instid1(VALU_DEP_1)
	v_cmp_eq_u32_e64 s10, 0, v30
	v_cndmask_b32_e64 v30, v32, v31, s10
; %bb.807:                              ;   in Loop: Header=BB12_49 Depth=1
	s_or_b32 exec_lo, exec_lo, s12
	v_dual_max_num_f32 v31, v51, v51 :: v_dual_max_num_f32 v32, v50, v50
	s_delay_alu instid0(VALU_DEP_1) | instskip(NEXT) | instid1(VALU_DEP_1)
	v_dual_min_num_f32 v34, v32, v31 :: v_dual_max_num_f32 v31, v32, v31
	v_cndmask_b32_e32 v32, v31, v34, vcc_lo
	s_delay_alu instid0(VALU_DEP_1) | instskip(NEXT) | instid1(VALU_DEP_1)
	v_and_b32_e32 v31, 0x7f800000, v32
	v_cmp_ne_u32_e64 s10, 0x7f800000, v31
                                        ; implicit-def: $vgpr31
	s_and_saveexec_b32 s12, s10
	s_delay_alu instid0(SALU_CYCLE_1)
	s_xor_b32 s10, exec_lo, s12
; %bb.808:                              ;   in Loop: Header=BB12_49 Depth=1
	v_bfe_u32 v31, v32, 16, 1
	s_delay_alu instid0(VALU_DEP_1)
	v_add3_u32 v31, v32, v31, 0x7fff
                                        ; implicit-def: $vgpr32
; %bb.809:                              ;   in Loop: Header=BB12_49 Depth=1
	s_and_not1_saveexec_b32 s12, s10
; %bb.810:                              ;   in Loop: Header=BB12_49 Depth=1
	v_and_b32_e32 v31, 0xffff, v32
	v_or_b32_e32 v34, 0x10000, v32
	s_delay_alu instid0(VALU_DEP_2) | instskip(NEXT) | instid1(VALU_DEP_1)
	v_cmp_eq_u32_e64 s10, 0, v31
	v_cndmask_b32_e64 v31, v34, v32, s10
; %bb.811:                              ;   in Loop: Header=BB12_49 Depth=1
	s_or_b32 exec_lo, exec_lo, s12
	v_dual_max_num_f32 v32, v48, v48 :: v_dual_max_num_f32 v34, v39, v39
	s_delay_alu instid0(VALU_DEP_1) | instskip(NEXT) | instid1(VALU_DEP_1)
	v_dual_min_num_f32 v35, v34, v32 :: v_dual_max_num_f32 v32, v34, v32
	v_cndmask_b32_e32 v34, v32, v35, vcc_lo
	s_delay_alu instid0(VALU_DEP_1) | instskip(NEXT) | instid1(VALU_DEP_1)
	v_and_b32_e32 v32, 0x7f800000, v34
	v_cmp_ne_u32_e64 s10, 0x7f800000, v32
                                        ; implicit-def: $vgpr32
	s_and_saveexec_b32 s12, s10
	s_delay_alu instid0(SALU_CYCLE_1)
	s_xor_b32 s10, exec_lo, s12
; %bb.812:                              ;   in Loop: Header=BB12_49 Depth=1
	v_bfe_u32 v32, v34, 16, 1
	s_delay_alu instid0(VALU_DEP_1)
	v_add3_u32 v32, v34, v32, 0x7fff
                                        ; implicit-def: $vgpr34
; %bb.813:                              ;   in Loop: Header=BB12_49 Depth=1
	s_and_not1_saveexec_b32 s12, s10
; %bb.814:                              ;   in Loop: Header=BB12_49 Depth=1
	v_and_b32_e32 v32, 0xffff, v34
	v_or_b32_e32 v35, 0x10000, v34
	s_delay_alu instid0(VALU_DEP_2) | instskip(NEXT) | instid1(VALU_DEP_1)
	v_cmp_eq_u32_e64 s10, 0, v32
	v_cndmask_b32_e64 v32, v35, v34, s10
; %bb.815:                              ;   in Loop: Header=BB12_49 Depth=1
	s_or_b32 exec_lo, exec_lo, s12
	v_dual_max_num_f32 v25, v25, v25 :: v_dual_max_num_f32 v24, v24, v24
	s_delay_alu instid0(VALU_DEP_1) | instskip(NEXT) | instid1(VALU_DEP_1)
	v_dual_min_num_f32 v34, v24, v25 :: v_dual_max_num_f32 v24, v24, v25
	v_cndmask_b32_e32 v25, v24, v34, vcc_lo
	s_delay_alu instid0(VALU_DEP_1) | instskip(NEXT) | instid1(VALU_DEP_1)
	v_and_b32_e32 v24, 0x7f800000, v25
	v_cmp_ne_u32_e64 s10, 0x7f800000, v24
                                        ; implicit-def: $vgpr24
	s_and_saveexec_b32 s12, s10
	s_delay_alu instid0(SALU_CYCLE_1)
	s_xor_b32 s10, exec_lo, s12
; %bb.816:                              ;   in Loop: Header=BB12_49 Depth=1
	v_bfe_u32 v24, v25, 16, 1
	s_delay_alu instid0(VALU_DEP_1)
	v_add3_u32 v24, v25, v24, 0x7fff
                                        ; implicit-def: $vgpr25
; %bb.817:                              ;   in Loop: Header=BB12_49 Depth=1
	s_and_not1_saveexec_b32 s12, s10
; %bb.818:                              ;   in Loop: Header=BB12_49 Depth=1
	v_and_b32_e32 v24, 0xffff, v25
	v_or_b32_e32 v34, 0x10000, v25
	s_delay_alu instid0(VALU_DEP_2) | instskip(NEXT) | instid1(VALU_DEP_1)
	v_cmp_eq_u32_e64 s10, 0, v24
	v_cndmask_b32_e64 v24, v34, v25, s10
; %bb.819:                              ;   in Loop: Header=BB12_49 Depth=1
	s_or_b32 exec_lo, exec_lo, s12
	v_dual_max_num_f32 v1, v1, v1 :: v_dual_max_num_f32 v0, v0, v0
	s_delay_alu instid0(VALU_DEP_1) | instskip(NEXT) | instid1(VALU_DEP_1)
	v_dual_min_num_f32 v25, v0, v1 :: v_dual_max_num_f32 v0, v0, v1
	v_cndmask_b32_e32 v1, v0, v25, vcc_lo
	s_delay_alu instid0(VALU_DEP_1) | instskip(NEXT) | instid1(VALU_DEP_1)
	v_and_b32_e32 v0, 0x7f800000, v1
	v_cmp_ne_u32_e64 s10, 0x7f800000, v0
                                        ; implicit-def: $vgpr0
	s_and_saveexec_b32 s12, s10
	s_delay_alu instid0(SALU_CYCLE_1)
	s_xor_b32 s10, exec_lo, s12
; %bb.820:                              ;   in Loop: Header=BB12_49 Depth=1
	v_bfe_u32 v0, v1, 16, 1
	s_delay_alu instid0(VALU_DEP_1)
	v_add3_u32 v0, v1, v0, 0x7fff
                                        ; implicit-def: $vgpr1
; %bb.821:                              ;   in Loop: Header=BB12_49 Depth=1
	s_and_not1_saveexec_b32 s12, s10
; %bb.822:                              ;   in Loop: Header=BB12_49 Depth=1
	v_and_b32_e32 v0, 0xffff, v1
	v_or_b32_e32 v25, 0x10000, v1
	s_delay_alu instid0(VALU_DEP_2) | instskip(NEXT) | instid1(VALU_DEP_1)
	v_cmp_eq_u32_e64 s10, 0, v0
	v_cndmask_b32_e64 v0, v25, v1, s10
; %bb.823:                              ;   in Loop: Header=BB12_49 Depth=1
	s_or_b32 exec_lo, exec_lo, s12
	v_dual_max_num_f32 v1, v22, v22 :: v_dual_max_num_f32 v21, v21, v21
	s_delay_alu instid0(VALU_DEP_1) | instskip(NEXT) | instid1(VALU_DEP_1)
	v_dual_min_num_f32 v22, v21, v1 :: v_dual_max_num_f32 v1, v21, v1
	v_cndmask_b32_e32 v21, v1, v22, vcc_lo
	s_delay_alu instid0(VALU_DEP_1) | instskip(NEXT) | instid1(VALU_DEP_1)
	v_and_b32_e32 v1, 0x7f800000, v21
	v_cmp_ne_u32_e64 s10, 0x7f800000, v1
                                        ; implicit-def: $vgpr1
	s_and_saveexec_b32 s12, s10
	s_delay_alu instid0(SALU_CYCLE_1)
	s_xor_b32 s10, exec_lo, s12
; %bb.824:                              ;   in Loop: Header=BB12_49 Depth=1
	v_bfe_u32 v1, v21, 16, 1
	s_delay_alu instid0(VALU_DEP_1)
	v_add3_u32 v1, v21, v1, 0x7fff
                                        ; implicit-def: $vgpr21
; %bb.825:                              ;   in Loop: Header=BB12_49 Depth=1
	s_and_not1_saveexec_b32 s12, s10
; %bb.826:                              ;   in Loop: Header=BB12_49 Depth=1
	v_and_b32_e32 v1, 0xffff, v21
	v_or_b32_e32 v22, 0x10000, v21
	s_delay_alu instid0(VALU_DEP_2) | instskip(NEXT) | instid1(VALU_DEP_1)
	v_cmp_eq_u32_e64 s10, 0, v1
	v_cndmask_b32_e64 v1, v22, v21, s10
; %bb.827:                              ;   in Loop: Header=BB12_49 Depth=1
	s_or_b32 exec_lo, exec_lo, s12
	v_dual_max_num_f32 v20, v20, v20 :: v_dual_max_num_f32 v19, v19, v19
	s_delay_alu instid0(VALU_DEP_1) | instskip(NEXT) | instid1(VALU_DEP_1)
	v_dual_min_num_f32 v21, v19, v20 :: v_dual_max_num_f32 v19, v19, v20
	v_cndmask_b32_e32 v20, v19, v21, vcc_lo
	s_delay_alu instid0(VALU_DEP_1) | instskip(NEXT) | instid1(VALU_DEP_1)
	v_and_b32_e32 v19, 0x7f800000, v20
	v_cmp_ne_u32_e64 s10, 0x7f800000, v19
                                        ; implicit-def: $vgpr19
	s_and_saveexec_b32 s12, s10
	s_delay_alu instid0(SALU_CYCLE_1)
	s_xor_b32 s10, exec_lo, s12
; %bb.828:                              ;   in Loop: Header=BB12_49 Depth=1
	v_bfe_u32 v19, v20, 16, 1
	s_delay_alu instid0(VALU_DEP_1)
	v_add3_u32 v19, v20, v19, 0x7fff
                                        ; implicit-def: $vgpr20
; %bb.829:                              ;   in Loop: Header=BB12_49 Depth=1
	s_and_not1_saveexec_b32 s12, s10
; %bb.830:                              ;   in Loop: Header=BB12_49 Depth=1
	v_and_b32_e32 v19, 0xffff, v20
	v_or_b32_e32 v21, 0x10000, v20
	s_delay_alu instid0(VALU_DEP_2) | instskip(NEXT) | instid1(VALU_DEP_1)
	v_cmp_eq_u32_e64 s10, 0, v19
	v_cndmask_b32_e64 v19, v21, v20, s10
; %bb.831:                              ;   in Loop: Header=BB12_49 Depth=1
	s_or_b32 exec_lo, exec_lo, s12
	v_dual_max_num_f32 v18, v18, v18 :: v_dual_max_num_f32 v17, v17, v17
	s_delay_alu instid0(VALU_DEP_1) | instskip(NEXT) | instid1(VALU_DEP_1)
	v_dual_min_num_f32 v20, v17, v18 :: v_dual_max_num_f32 v17, v17, v18
	v_cndmask_b32_e32 v18, v17, v20, vcc_lo
	s_delay_alu instid0(VALU_DEP_1) | instskip(NEXT) | instid1(VALU_DEP_1)
	v_and_b32_e32 v17, 0x7f800000, v18
	v_cmp_ne_u32_e64 s10, 0x7f800000, v17
                                        ; implicit-def: $vgpr17
	s_and_saveexec_b32 s12, s10
	s_delay_alu instid0(SALU_CYCLE_1)
	s_xor_b32 s10, exec_lo, s12
; %bb.832:                              ;   in Loop: Header=BB12_49 Depth=1
	v_bfe_u32 v17, v18, 16, 1
	s_delay_alu instid0(VALU_DEP_1)
	v_add3_u32 v17, v18, v17, 0x7fff
                                        ; implicit-def: $vgpr18
; %bb.833:                              ;   in Loop: Header=BB12_49 Depth=1
	s_and_not1_saveexec_b32 s12, s10
; %bb.834:                              ;   in Loop: Header=BB12_49 Depth=1
	v_and_b32_e32 v17, 0xffff, v18
	v_or_b32_e32 v20, 0x10000, v18
	s_delay_alu instid0(VALU_DEP_2) | instskip(NEXT) | instid1(VALU_DEP_1)
	v_cmp_eq_u32_e64 s10, 0, v17
	v_cndmask_b32_e64 v17, v20, v18, s10
; %bb.835:                              ;   in Loop: Header=BB12_49 Depth=1
	s_or_b32 exec_lo, exec_lo, s12
	v_dual_max_num_f32 v3, v3, v3 :: v_dual_max_num_f32 v2, v2, v2
	s_delay_alu instid0(VALU_DEP_1) | instskip(NEXT) | instid1(VALU_DEP_1)
	v_dual_min_num_f32 v18, v2, v3 :: v_dual_max_num_f32 v2, v2, v3
	v_cndmask_b32_e32 v3, v2, v18, vcc_lo
	s_delay_alu instid0(VALU_DEP_1) | instskip(NEXT) | instid1(VALU_DEP_1)
	v_and_b32_e32 v2, 0x7f800000, v3
	v_cmp_ne_u32_e32 vcc_lo, 0x7f800000, v2
                                        ; implicit-def: $vgpr2
	s_and_saveexec_b32 s10, vcc_lo
	s_delay_alu instid0(SALU_CYCLE_1)
	s_xor_b32 s10, exec_lo, s10
; %bb.836:                              ;   in Loop: Header=BB12_49 Depth=1
	v_bfe_u32 v2, v3, 16, 1
	s_delay_alu instid0(VALU_DEP_1)
	v_add3_u32 v2, v3, v2, 0x7fff
                                        ; implicit-def: $vgpr3
; %bb.837:                              ;   in Loop: Header=BB12_49 Depth=1
	s_and_not1_saveexec_b32 s10, s10
; %bb.838:                              ;   in Loop: Header=BB12_49 Depth=1
	v_and_b32_e32 v2, 0xffff, v3
	v_or_b32_e32 v18, 0x10000, v3
	s_delay_alu instid0(VALU_DEP_2) | instskip(NEXT) | instid1(VALU_DEP_2)
	v_cmp_eq_u32_e32 vcc_lo, 0, v2
	v_cndmask_b32_e32 v2, v18, v3, vcc_lo
; %bb.839:                              ;   in Loop: Header=BB12_49 Depth=1
	s_or_b32 exec_lo, exec_lo, s10
	s_clause 0xf
	flat_store_d16_hi_b16 v[10:11], v12 th:TH_STORE_NT
	flat_store_d16_hi_b16 v[10:11], v13 offset:64 th:TH_STORE_NT
	flat_store_d16_hi_b16 v[10:11], v23 offset:128 th:TH_STORE_NT
	;; [unrolled: 1-line block ×15, first 2 shown]
.LBB12_840:                             ;   in Loop: Header=BB12_49 Depth=1
	s_wait_xcnt 0x0
	s_or_b32 exec_lo, exec_lo, s11
	v_lshlrev_b32_e32 v0, 10, v16
	s_delay_alu instid0(VALU_DEP_1)
	v_cmp_ne_u32_e32 vcc_lo, v105, v0
	s_and_b32 exec_lo, exec_lo, vcc_lo
	s_cbranch_execz .LBB12_865
; %bb.841:                              ;   in Loop: Header=BB12_49 Depth=1
	v_lshlrev_b32_e32 v1, 5, v33
	s_delay_alu instid0(VALU_DEP_1) | instskip(NEXT) | instid1(VALU_DEP_1)
	v_sub_nc_u32_e32 v1, v15, v1
	v_ashrrev_i32_e32 v2, 31, v1
	s_delay_alu instid0(VALU_DEP_1) | instskip(NEXT) | instid1(VALU_DEP_1)
	v_lshrrev_b32_e32 v2, 27, v2
	v_add_nc_u32_e32 v2, v1, v2
	s_delay_alu instid0(VALU_DEP_1) | instskip(NEXT) | instid1(VALU_DEP_1)
	v_and_b32_e32 v3, 0x7fffffe0, v2
	v_dual_lshlrev_b32 v2, 1, v2 :: v_dual_sub_nc_u32 v1, v1, v3
	s_delay_alu instid0(VALU_DEP_1) | instskip(NEXT) | instid1(VALU_DEP_2)
	v_and_b32_e32 v2, 0xffffffc0, v2
	v_lshlrev_b32_e32 v1, 1, v1
	s_delay_alu instid0(VALU_DEP_1) | instskip(NEXT) | instid1(VALU_DEP_1)
	v_add3_u32 v1, v2, v1, v0
	v_sub_nc_u32_e32 v0, v105, v1
	s_delay_alu instid0(VALU_DEP_1)
	v_cmp_lt_i32_e32 vcc_lo, 1, v0
	s_and_b32 exec_lo, exec_lo, vcc_lo
	s_cbranch_execz .LBB12_865
; %bb.842:                              ;   in Loop: Header=BB12_49 Depth=1
	s_trap 2
	ds_load_b64 v[10:11], v0
	v_dual_add_nc_u32 v14, v1, v14 :: v_dual_lshlrev_b32 v20, 6, v72
	v_add_nc_u64_e32 v[22:23], 64, v[88:89]
	s_and_b32 s10, s28, 0xff
	s_mov_b32 s40, 0
	s_delay_alu instid0(VALU_DEP_2) | instskip(SKIP_3) | instid1(VALU_DEP_1)
	v_ashrrev_i32_e32 v15, 31, v14
	s_cmp_eq_u32 s10, 0
	s_mov_b32 s28, 0
	s_cselect_b32 s10, -1, 0
                                        ; implicit-def: $sgpr29
	v_add_nc_u64_e32 v[2:3], v[120:121], v[14:15]
	v_add_nc_u64_e32 v[12:13], v[14:15], v[110:111]
	s_wait_dscnt 0x0
	v_add_nc_u64_e32 v[10:11], v[10:11], v[14:15]
	s_branch .LBB12_844
.LBB12_843:                             ;   in Loop: Header=BB12_844 Depth=2
	s_or_b32 exec_lo, exec_lo, s11
	s_delay_alu instid0(VALU_DEP_1) | instskip(SKIP_2) | instid1(VALU_DEP_3)
	v_dual_cndmask_b32 v18, 0, v20, s40 :: v_dual_lshrrev_b32 v1, 16, v1
	v_add_nc_u64_e32 v[14:15], v[10:11], v[88:89]
	v_dual_cndmask_b32 v17, 0, v23, s40 :: v_dual_cndmask_b32 v16, 64, v22, s40
	v_sub_nc_u32_e32 v0, v0, v18
	v_add_nc_u64_e32 v[18:19], v[12:13], v[88:89]
	flat_store_b16 v[2:3], v1 th:TH_STORE_NT
	scratch_store_b16 off, v1, s33 offset:192
	v_cndmask_b32_e64 v11, v11, v15, s40
	v_cmp_gt_i32_e32 vcc_lo, 2, v0
	s_wait_xcnt 0x1
	v_add_nc_u64_e32 v[2:3], v[2:3], v[16:17]
	v_dual_cndmask_b32 v10, v10, v14, s40 :: v_dual_cndmask_b32 v13, v13, v19, s40
	v_cndmask_b32_e64 v12, v12, v18, s40
	s_or_b32 s28, vcc_lo, s28
	s_and_not1_b32 s11, s29, exec_lo
	s_and_b32 s12, s40, exec_lo
	s_delay_alu instid0(SALU_CYCLE_1)
	s_or_b32 s29, s11, s12
	s_wait_xcnt 0x0
	s_and_not1_b32 exec_lo, exec_lo, s28
	s_cbranch_execz .LBB12_859
.LBB12_844:                             ;   Parent Loop BB12_49 Depth=1
                                        ; =>  This Loop Header: Depth=2
                                        ;       Child Loop BB12_845 Depth 3
                                        ;       Child Loop BB12_854 Depth 3
	s_add_co_i32 s11, s33, 0xc0
	s_mov_b64 s[14:15], 0
	s_mov_b32 s41, s11
	s_mov_b32 s42, -1
.LBB12_845:                             ;   Parent Loop BB12_49 Depth=1
                                        ;     Parent Loop BB12_844 Depth=2
                                        ; =>    This Inner Loop Header: Depth=3
	s_cmp_eq_u32 s14, 1
	s_cselect_b32 vcc_lo, -1, 0
	s_cmp_eq_u32 s14, 0
	v_dual_cndmask_b32 v15, v13, v11 :: v_dual_cndmask_b32 v14, v12, v10
	s_cselect_b32 s11, -1, 0
	s_and_b32 s12, exec_lo, s42
	s_mov_b64 s[14:15], 1
	s_mov_b32 s42, 0
	flat_load_u16 v1, v[14:15] th:TH_LOAD_NT
	s_wait_xcnt 0x0
	v_add_nc_u64_e32 v[14:15], 64, v[14:15]
	s_delay_alu instid0(VALU_DEP_1)
	v_dual_cndmask_b32 v11, v11, v15 :: v_dual_cndmask_b32 v10, v10, v14
	v_dual_cndmask_b32 v13, v13, v15, s11 :: v_dual_cndmask_b32 v12, v12, v14, s11
	s_add_co_i32 s11, s33, 0xe0
	s_mov_b32 vcc_lo, s12
	s_wait_loadcnt_dscnt 0x0
	scratch_store_b16 off, v1, s41
	s_wait_xcnt 0x0
	s_mov_b32 s41, s11
	s_cbranch_vccnz .LBB12_845
; %bb.846:                              ;   in Loop: Header=BB12_844 Depth=2
	s_and_saveexec_b32 s11, s40
	s_cbranch_execz .LBB12_852
; %bb.847:                              ;   in Loop: Header=BB12_844 Depth=2
	s_clause 0x1
	scratch_load_u16 v1, off, s33 offset:190
	scratch_load_u16 v14, off, s33 offset:188
	s_wait_loadcnt 0x0
	v_dual_lshlrev_b32 v1, 16, v1 :: v_dual_lshlrev_b32 v14, 16, v14
	s_delay_alu instid0(VALU_DEP_1) | instskip(NEXT) | instid1(VALU_DEP_1)
	v_dual_max_num_f32 v1, v1, v1 :: v_dual_max_num_f32 v14, v14, v14
	v_dual_min_num_f32 v15, v14, v1 :: v_dual_max_num_f32 v1, v14, v1
	s_delay_alu instid0(VALU_DEP_1) | instskip(NEXT) | instid1(VALU_DEP_1)
	v_cndmask_b32_e64 v1, v1, v15, s10
	v_and_b32_e32 v14, 0x7f800000, v1
	s_delay_alu instid0(VALU_DEP_1) | instskip(SKIP_2) | instid1(SALU_CYCLE_1)
	v_cmp_ne_u32_e32 vcc_lo, 0x7f800000, v14
                                        ; implicit-def: $vgpr14
	s_wait_xcnt 0x0
	s_and_saveexec_b32 s12, vcc_lo
	s_xor_b32 s12, exec_lo, s12
; %bb.848:                              ;   in Loop: Header=BB12_844 Depth=2
	v_bfe_u32 v14, v1, 16, 1
	s_delay_alu instid0(VALU_DEP_1)
	v_add3_u32 v14, v1, v14, 0x7fff
                                        ; implicit-def: $vgpr1
; %bb.849:                              ;   in Loop: Header=BB12_844 Depth=2
	s_and_not1_saveexec_b32 s12, s12
; %bb.850:                              ;   in Loop: Header=BB12_844 Depth=2
	v_and_b32_e32 v14, 0xffff, v1
	v_or_b32_e32 v15, 0x10000, v1
	s_delay_alu instid0(VALU_DEP_2) | instskip(NEXT) | instid1(VALU_DEP_2)
	v_cmp_eq_u32_e32 vcc_lo, 0, v14
	v_cndmask_b32_e32 v14, v15, v1, vcc_lo
; %bb.851:                              ;   in Loop: Header=BB12_844 Depth=2
	s_or_b32 exec_lo, exec_lo, s12
	s_delay_alu instid0(VALU_DEP_1)
	v_lshrrev_b32_e32 v1, 16, v14
	flat_store_b16 v[2:3], v1 th:TH_STORE_NT
	s_wait_xcnt 0x0
	v_add_nc_u64_e32 v[2:3], v[2:3], v[22:23]
	scratch_store_b16 off, v1, s33 offset:188
.LBB12_852:                             ;   in Loop: Header=BB12_844 Depth=2
	s_wait_xcnt 0x0
	s_or_b32 exec_lo, exec_lo, s11
	v_sub_nc_u32_e32 v0, v0, v20
	v_add_nc_u64_e32 v[12:13], v[12:13], v[88:89]
	v_add_nc_u64_e32 v[10:11], v[10:11], v[88:89]
	s_delay_alu instid0(VALU_DEP_3)
	v_cmp_lt_i32_e64 s40, 1, v0
	s_and_saveexec_b32 s41, s40
	s_cbranch_execz .LBB12_855
; %bb.853:                              ;   in Loop: Header=BB12_844 Depth=2
	s_add_co_i32 s11, s33, 0xbc
	s_mov_b64 s[14:15], 0
	s_mov_b32 s42, s11
	s_mov_b32 s43, -1
.LBB12_854:                             ;   Parent Loop BB12_49 Depth=1
                                        ;     Parent Loop BB12_844 Depth=2
                                        ; =>    This Inner Loop Header: Depth=3
	s_cmp_eq_u32 s14, 1
	s_cselect_b32 vcc_lo, -1, 0
	s_cmp_eq_u32 s14, 0
	v_dual_cndmask_b32 v15, v13, v11 :: v_dual_cndmask_b32 v14, v12, v10
	s_cselect_b32 s11, -1, 0
	s_and_b32 s12, exec_lo, s43
	s_mov_b64 s[14:15], 1
	s_mov_b32 s43, 0
	flat_load_u16 v1, v[14:15] th:TH_LOAD_NT
	s_wait_xcnt 0x0
	v_add_nc_u64_e32 v[14:15], 64, v[14:15]
	s_delay_alu instid0(VALU_DEP_1)
	v_dual_cndmask_b32 v13, v13, v15, s11 :: v_dual_cndmask_b32 v12, v12, v14, s11
	v_dual_cndmask_b32 v11, v11, v15 :: v_dual_cndmask_b32 v10, v10, v14
	s_add_co_i32 s11, s33, 0xbe
	s_mov_b32 vcc_lo, s12
	s_wait_loadcnt_dscnt 0x0
	scratch_store_b16 off, v1, s42
	s_wait_xcnt 0x0
	s_mov_b32 s42, s11
	s_cbranch_vccnz .LBB12_854
.LBB12_855:                             ;   in Loop: Header=BB12_844 Depth=2
	s_or_b32 exec_lo, exec_lo, s41
	s_clause 0x1
	scratch_load_u16 v1, off, s33 offset:224
	scratch_load_u16 v14, off, s33 offset:192
	s_wait_loadcnt 0x0
	v_dual_lshlrev_b32 v1, 16, v1 :: v_dual_lshlrev_b32 v14, 16, v14
	s_delay_alu instid0(VALU_DEP_1) | instskip(NEXT) | instid1(VALU_DEP_1)
	v_dual_max_num_f32 v1, v1, v1 :: v_dual_max_num_f32 v14, v14, v14
	v_dual_min_num_f32 v15, v14, v1 :: v_dual_max_num_f32 v1, v14, v1
	s_delay_alu instid0(VALU_DEP_1) | instskip(NEXT) | instid1(VALU_DEP_1)
	v_cndmask_b32_e64 v14, v1, v15, s10
	v_and_b32_e32 v1, 0x7f800000, v14
	s_delay_alu instid0(VALU_DEP_1) | instskip(SKIP_2) | instid1(SALU_CYCLE_1)
	v_cmp_ne_u32_e32 vcc_lo, 0x7f800000, v1
                                        ; implicit-def: $vgpr1
	s_wait_xcnt 0x0
	s_and_saveexec_b32 s11, vcc_lo
	s_xor_b32 s11, exec_lo, s11
; %bb.856:                              ;   in Loop: Header=BB12_844 Depth=2
	v_bfe_u32 v1, v14, 16, 1
	s_delay_alu instid0(VALU_DEP_1)
	v_add3_u32 v1, v14, v1, 0x7fff
                                        ; implicit-def: $vgpr14
; %bb.857:                              ;   in Loop: Header=BB12_844 Depth=2
	s_and_not1_saveexec_b32 s11, s11
	s_cbranch_execz .LBB12_843
; %bb.858:                              ;   in Loop: Header=BB12_844 Depth=2
	v_and_b32_e32 v1, 0xffff, v14
	v_or_b32_e32 v15, 0x10000, v14
	s_delay_alu instid0(VALU_DEP_2) | instskip(NEXT) | instid1(VALU_DEP_2)
	v_cmp_eq_u32_e32 vcc_lo, 0, v1
	v_cndmask_b32_e32 v1, v15, v14, vcc_lo
	s_branch .LBB12_843
.LBB12_859:                             ;   in Loop: Header=BB12_49 Depth=1
	s_or_b32 exec_lo, exec_lo, s28
	s_delay_alu instid0(SALU_CYCLE_1)
	s_and_b32 exec_lo, exec_lo, s29
	s_cbranch_execz .LBB12_865
; %bb.860:                              ;   in Loop: Header=BB12_49 Depth=1
	s_clause 0x1
	scratch_load_u16 v0, off, s33 offset:190
	scratch_load_u16 v1, off, s33 offset:188
	s_wait_loadcnt 0x0
	v_dual_lshlrev_b32 v0, 16, v0 :: v_dual_lshlrev_b32 v1, 16, v1
	s_delay_alu instid0(VALU_DEP_1) | instskip(NEXT) | instid1(VALU_DEP_1)
	v_dual_max_num_f32 v0, v0, v0 :: v_dual_max_num_f32 v1, v1, v1
	v_dual_min_num_f32 v10, v1, v0 :: v_dual_max_num_f32 v0, v1, v0
	s_delay_alu instid0(VALU_DEP_1) | instskip(NEXT) | instid1(VALU_DEP_1)
	v_cndmask_b32_e64 v0, v0, v10, s10
	v_and_b32_e32 v1, 0x7f800000, v0
	s_delay_alu instid0(VALU_DEP_1) | instskip(SKIP_2) | instid1(SALU_CYCLE_1)
	v_cmp_ne_u32_e32 vcc_lo, 0x7f800000, v1
                                        ; implicit-def: $vgpr1
	s_wait_xcnt 0x0
	s_and_saveexec_b32 s10, vcc_lo
	s_xor_b32 s10, exec_lo, s10
; %bb.861:                              ;   in Loop: Header=BB12_49 Depth=1
	v_bfe_u32 v1, v0, 16, 1
	s_delay_alu instid0(VALU_DEP_1)
	v_add3_u32 v1, v0, v1, 0x7fff
                                        ; implicit-def: $vgpr0
; %bb.862:                              ;   in Loop: Header=BB12_49 Depth=1
	s_and_not1_saveexec_b32 s10, s10
; %bb.863:                              ;   in Loop: Header=BB12_49 Depth=1
	v_and_b32_e32 v1, 0xffff, v0
	v_or_b32_e32 v10, 0x10000, v0
	s_delay_alu instid0(VALU_DEP_2) | instskip(NEXT) | instid1(VALU_DEP_2)
	v_cmp_eq_u32_e32 vcc_lo, 0, v1
	v_cndmask_b32_e32 v1, v10, v0, vcc_lo
; %bb.864:                              ;   in Loop: Header=BB12_49 Depth=1
	s_or_b32 exec_lo, exec_lo, s10
	flat_store_d16_hi_b16 v[2:3], v1 th:TH_STORE_NT
.LBB12_865:                             ;   in Loop: Header=BB12_49 Depth=1
	s_wait_xcnt 0x0
	s_or_b32 exec_lo, exec_lo, s13
	s_wait_loadcnt 0x0
	scratch_load_b64 v[32:33], off, s33 offset:280 ; 8-byte Folded Reload
	v_cmp_ne_u32_e64 s10, 0, v62
	s_wait_xcnt 0x0
	s_and_saveexec_b32 s11, s2
	s_cbranch_execz .LBB12_884
.LBB12_866:                             ;   in Loop: Header=BB12_49 Depth=1
	s_and_saveexec_b32 s12, s3
	s_delay_alu instid0(SALU_CYCLE_1)
	s_xor_b32 s12, exec_lo, s12
	s_cbranch_execz .LBB12_881
; %bb.867:                              ;   in Loop: Header=BB12_49 Depth=1
	s_and_saveexec_b32 s13, s4
	s_cbranch_execz .LBB12_880
; %bb.868:                              ;   in Loop: Header=BB12_49 Depth=1
	s_mov_b32 s15, exec_lo
	s_mov_b32 s14, exec_lo
	v_mbcnt_lo_u32_b32 v0, s15, 0
	global_wb scope:SCOPE_DEV
	s_wait_storecnt 0x0
	s_wait_loadcnt_dscnt 0x0
	global_inv scope:SCOPE_DEV
	v_cmpx_eq_u32_e32 0, v0
	s_cbranch_execz .LBB12_870
; %bb.869:                              ;   in Loop: Header=BB12_49 Depth=1
	s_bcnt1_i32_b32 s15, s15
	s_delay_alu instid0(SALU_CYCLE_1)
	v_mov_b32_e32 v62, s15
	s_wait_loadcnt 0x0
	ds_add_u64 v0, v[62:63]
	s_trap 2
.LBB12_870:                             ;   in Loop: Header=BB12_49 Depth=1
	s_or_b32 exec_lo, exec_lo, s14
	s_trap 2
	ds_load_b64 v[0:1], v0
	s_wait_dscnt 0x0
	v_add_nc_u64_e32 v[56:57], v[56:57], v[72:73]
	s_mov_b32 s14, exec_lo
	s_delay_alu instid0(VALU_DEP_1)
	v_cmpx_lt_u64_e64 v[0:1], v[56:57]
	s_cbranch_execz .LBB12_879
; %bb.871:                              ;   in Loop: Header=BB12_49 Depth=1
	s_mov_b32 s15, 0
	s_mov_b32 s40, 0
                                        ; implicit-def: $sgpr28
                                        ; implicit-def: $sgpr29
	s_branch .LBB12_873
.LBB12_872:                             ;   in Loop: Header=BB12_873 Depth=2
	s_or_b32 exec_lo, exec_lo, s42
	s_delay_alu instid0(SALU_CYCLE_1) | instskip(NEXT) | instid1(SALU_CYCLE_1)
	s_and_b32 s41, exec_lo, s43
	s_or_b32 s15, s41, s15
	s_and_not1_b32 s28, s28, exec_lo
	s_and_b32 s41, s29, exec_lo
	s_delay_alu instid0(SALU_CYCLE_1)
	s_or_b32 s28, s28, s41
	s_and_not1_b32 exec_lo, exec_lo, s15
	s_cbranch_execz .LBB12_877
.LBB12_873:                             ;   Parent Loop BB12_49 Depth=1
                                        ; =>  This Inner Loop Header: Depth=2
	s_add_co_i32 s40, s40, 1
	s_delay_alu instid0(SALU_CYCLE_1) | instskip(SKIP_1) | instid1(SALU_CYCLE_1)
	s_cmp_lg_u32 s40, 0x2710
	s_cselect_b32 s41, -1, 0
	s_and_b32 vcc_lo, exec_lo, s41
	s_cbranch_vccz .LBB12_875
; %bb.874:                              ;   in Loop: Header=BB12_873 Depth=2
	s_mov_b32 s43, -1
	s_or_b32 s29, s29, exec_lo
	s_and_saveexec_b32 s42, s41
	s_cbranch_execz .LBB12_872
	s_branch .LBB12_876
.LBB12_875:                             ;   in Loop: Header=BB12_873 Depth=2
	s_trap 2
	ds_load_b64 v[0:1], v0
	s_and_not1_b32 s41, s41, exec_lo
	s_mov_b32 s40, 0
	s_wait_loadcnt_dscnt 0x0
	flat_load_b32 v0, v[0:1] scope:SCOPE_SYS
	s_wait_loadcnt_dscnt 0x0
	global_inv scope:SCOPE_SYS
	v_cmp_eq_u32_e32 vcc_lo, 0, v0
	s_and_b32 s42, vcc_lo, exec_lo
	s_delay_alu instid0(SALU_CYCLE_1)
	s_or_b32 s41, s41, s42
	s_mov_b32 s43, -1
	s_or_b32 s29, s29, exec_lo
	s_and_saveexec_b32 s42, s41
	s_cbranch_execz .LBB12_872
.LBB12_876:                             ;   in Loop: Header=BB12_873 Depth=2
	s_sleep 1
	s_trap 2
	ds_load_b64 v[0:1], v0
	s_wait_dscnt 0x0
	s_and_not1_b32 s29, s29, exec_lo
	v_cmp_ge_u64_e32 vcc_lo, v[0:1], v[56:57]
	s_or_not1_b32 s43, vcc_lo, exec_lo
	s_branch .LBB12_872
.LBB12_877:                             ;   in Loop: Header=BB12_49 Depth=1
	s_or_b32 exec_lo, exec_lo, s15
	s_and_saveexec_b32 s15, s28
	s_delay_alu instid0(SALU_CYCLE_1)
	s_xor_b32 s15, exec_lo, s15
	s_cbranch_execz .LBB12_879
; %bb.878:                              ;   in Loop: Header=BB12_49 Depth=1
	ds_store_b32 v0, v91
	s_trap 2
.LBB12_879:                             ;   in Loop: Header=BB12_49 Depth=1
	s_or_b32 exec_lo, exec_lo, s14
	;;#ASMSTART
	s_wakeup
	;;#ASMEND
.LBB12_880:                             ;   in Loop: Header=BB12_49 Depth=1
	s_or_b32 exec_lo, exec_lo, s13
.LBB12_881:                             ;   in Loop: Header=BB12_49 Depth=1
	s_and_not1_saveexec_b32 s12, s12
	s_cbranch_execz .LBB12_883
; %bb.882:                              ;   in Loop: Header=BB12_49 Depth=1
	global_wb scope:SCOPE_DEV
	s_wait_storecnt 0x0
	s_wait_loadcnt_dscnt 0x0
	global_inv scope:SCOPE_DEV
	s_barrier_signal -1
	s_barrier_wait -1
.LBB12_883:                             ;   in Loop: Header=BB12_49 Depth=1
	s_or_b32 exec_lo, exec_lo, s12
.LBB12_884:                             ;   in Loop: Header=BB12_49 Depth=1
	s_delay_alu instid0(SALU_CYCLE_1) | instskip(SKIP_1) | instid1(VALU_DEP_1)
	s_or_b32 exec_lo, exec_lo, s11
	v_and_b32_e32 v0, 16, v126
	v_cmp_ne_u32_e32 vcc_lo, 0, v0
	s_and_b32 s11, vcc_lo, s10
	s_delay_alu instid0(SALU_CYCLE_1)
	s_and_saveexec_b32 s10, s11
	s_cbranch_execz .LBB12_886
; %bb.885:                              ;   in Loop: Header=BB12_49 Depth=1
	global_wb scope:SCOPE_SYS
	s_wait_storecnt 0x0
	s_wait_loadcnt_dscnt 0x0
	global_inv scope:SCOPE_SYS
.LBB12_886:                             ;   in Loop: Header=BB12_49 Depth=1
	s_or_b32 exec_lo, exec_lo, s10
	v_cmp_ne_u32_e32 vcc_lo, 0, v0
	s_xor_b32 s10, s7, -1
	s_delay_alu instid0(SALU_CYCLE_1) | instskip(NEXT) | instid1(SALU_CYCLE_1)
	s_and_b32 s11, vcc_lo, s10
	s_and_saveexec_b32 s10, s11
	s_cbranch_execz .LBB12_888
; %bb.887:                              ;   in Loop: Header=BB12_49 Depth=1
	scratch_load_b64 v[0:1], off, s33 offset:272 ; 8-byte Folded Reload
	global_wb scope:SCOPE_SYS
	s_wait_storecnt 0x0
	s_wait_xcnt 0x0
	s_wait_loadcnt_dscnt 0x0
	flat_store_b32 v[0:1], v91 scope:SCOPE_SYS
.LBB12_888:                             ;   in Loop: Header=BB12_49 Depth=1
	s_wait_xcnt 0x0
	s_or_b32 exec_lo, exec_lo, s10
	v_and_b32_e32 v0, 48, v126
	s_mov_b32 s10, exec_lo
	s_delay_alu instid0(VALU_DEP_1)
	v_cmpx_ne_u32_e32 0, v0
	s_cbranch_execz .LBB12_890
; %bb.889:                              ;   in Loop: Header=BB12_49 Depth=1
	v_add_nc_u64_e32 v[8:9], 1, v[8:9]
	global_wb scope:SCOPE_SYS
	s_wait_storecnt 0x0
	s_wait_loadcnt_dscnt 0x0
	flat_store_b64 v[40:41], v[8:9] scope:SCOPE_SYS
.LBB12_890:                             ;   in Loop: Header=BB12_49 Depth=1
	s_wait_xcnt 0x0
	s_or_b32 exec_lo, exec_lo, s10
	v_mov_b32_e32 v0, v109
.LBB12_891:                             ;   in Loop: Header=BB12_49 Depth=1
	s_or_b32 exec_lo, exec_lo, s27
	s_and_saveexec_b32 s11, s26
	s_cbranch_execz .LBB12_48
; %bb.892:                              ;   in Loop: Header=BB12_49 Depth=1
	s_delay_alu instid0(VALU_DEP_1) | instskip(SKIP_1) | instid1(VALU_DEP_1)
	v_dual_sub_nc_u32 v0, v108, v0 :: v_dual_bitop2_b32 v1, 12, v126 bitop3:0x40
	s_mov_b32 s12, exec_lo
	v_min_i32_e32 v2, v109, v0
	s_delay_alu instid0(VALU_DEP_2)
	v_cmpx_ne_u32_e32 0, v1
	s_cbranch_execz .LBB12_918
; %bb.893:                              ;   in Loop: Header=BB12_49 Depth=1
	v_and_b32_e32 v62, 8, v126
	v_add_nc_u64_e32 v[10:11], 1, v[8:9]
	s_mov_b32 s13, exec_lo
	s_wait_loadcnt 0x0
	s_delay_alu instid0(VALU_DEP_2) | instskip(NEXT) | instid1(VALU_DEP_1)
	v_add_nc_u64_e32 v[0:1], v[46:47], v[62:63]
	v_cmpx_lt_u64_e64 v[0:1], v[10:11]
	s_cbranch_execz .LBB12_905
; %bb.894:                              ;   in Loop: Header=BB12_49 Depth=1
	v_and_b32_e32 v0, 64, v126
	s_mov_b32 s14, 0
	s_mov_b32 s28, 0
                                        ; implicit-def: $sgpr15
                                        ; implicit-def: $sgpr26
                                        ; implicit-def: $sgpr27
	s_delay_alu instid0(VALU_DEP_1)
	v_cmp_eq_u32_e32 vcc_lo, 0, v0
	s_branch .LBB12_898
.LBB12_895:                             ;   in Loop: Header=BB12_898 Depth=2
	s_wait_loadcnt_dscnt 0x0
	v_add_nc_u64_e32 v[12:13], v[46:47], v[62:63]
	s_or_b32 s41, s41, exec_lo
	s_delay_alu instid0(VALU_DEP_1)
	v_cmp_ge_u64_e64 s10, v[12:13], v[10:11]
	s_or_not1_b32 s40, s10, exec_lo
.LBB12_896:                             ;   in Loop: Header=BB12_898 Depth=2
	s_or_b32 exec_lo, exec_lo, s43
	s_delay_alu instid0(SALU_CYCLE_1)
	s_and_not1_b32 s10, s27, exec_lo
	s_and_b32 s27, s41, exec_lo
	s_and_not1_b32 s26, s26, exec_lo
	s_and_b32 s40, s40, exec_lo
	s_or_b32 s27, s10, s27
	s_or_b32 s26, s26, s40
.LBB12_897:                             ;   in Loop: Header=BB12_898 Depth=2
	s_or_b32 exec_lo, exec_lo, s29
	s_delay_alu instid0(SALU_CYCLE_1) | instskip(NEXT) | instid1(SALU_CYCLE_1)
	s_and_b32 s10, exec_lo, s26
	s_or_b32 s14, s10, s14
	s_and_not1_b32 s10, s15, exec_lo
	s_and_b32 s15, s27, exec_lo
	s_delay_alu instid0(SALU_CYCLE_1)
	s_or_b32 s15, s10, s15
	s_and_not1_b32 exec_lo, exec_lo, s14
	s_cbranch_execz .LBB12_902
.LBB12_898:                             ;   Parent Loop BB12_49 Depth=1
                                        ; =>  This Inner Loop Header: Depth=2
	s_sleep 1
	s_wait_loadcnt_dscnt 0x0
	flat_load_b64 v[46:47], v[40:41] scope:SCOPE_SYS
	s_or_b32 s27, s27, exec_lo
	s_or_b32 s26, s26, exec_lo
                                        ; implicit-def: $vgpr0
	s_wait_xcnt 0x0
	s_and_saveexec_b32 s29, vcc_lo
	s_cbranch_execz .LBB12_897
; %bb.899:                              ;   in Loop: Header=BB12_898 Depth=2
	s_cmp_lt_i32 s28, 0x270f
	s_mov_b32 s40, -1
	s_cselect_b32 s42, -1, 0
	s_cmp_gt_i32 s28, 0x270e
	s_cbranch_scc0 .LBB12_901
; %bb.900:                              ;   in Loop: Header=BB12_898 Depth=2
	s_trap 2
	ds_load_b64 v[0:1], v0
	s_and_not1_b32 s28, s42, exec_lo
	s_mov_b32 s41, 0
	s_wait_storecnt 0x0
	s_wait_loadcnt_dscnt 0x0
	flat_load_b32 v0, v[0:1] scope:SCOPE_SYS
	s_wait_loadcnt_dscnt 0x0
	global_inv scope:SCOPE_SYS
	v_cmp_eq_u32_e64 s10, 0, v0
	s_and_b32 s10, s10, exec_lo
	s_delay_alu instid0(SALU_CYCLE_1)
	s_or_b32 s42, s28, s10
	s_mov_b32 s28, 0
	s_and_saveexec_b32 s43, s42
	s_cbranch_execz .LBB12_896
	s_branch .LBB12_895
.LBB12_901:                             ;   in Loop: Header=BB12_898 Depth=2
	s_add_co_i32 s28, s28, 1
	s_mov_b32 s41, -1
                                        ; implicit-def: $vgpr0
	s_and_saveexec_b32 s43, s42
	s_cbranch_execz .LBB12_896
	s_branch .LBB12_895
.LBB12_902:                             ;   in Loop: Header=BB12_49 Depth=1
	s_or_b32 exec_lo, exec_lo, s14
	s_xor_b32 s10, s15, -1
	s_delay_alu instid0(SALU_CYCLE_1) | instskip(NEXT) | instid1(SALU_CYCLE_1)
	s_and_saveexec_b32 s14, s10
	s_xor_b32 s10, exec_lo, s14
	s_cbranch_execz .LBB12_904
; %bb.903:                              ;   in Loop: Header=BB12_49 Depth=1
	v_or_b32_e32 v126, 64, v126
	s_wait_storecnt 0x0
	s_wait_loadcnt_dscnt 0x0
	ds_store_b32 v0, v0
	s_trap 2
.LBB12_904:                             ;   in Loop: Header=BB12_49 Depth=1
	s_or_b32 exec_lo, exec_lo, s10
.LBB12_905:                             ;   in Loop: Header=BB12_49 Depth=1
	s_delay_alu instid0(SALU_CYCLE_1) | instskip(SKIP_3) | instid1(VALU_DEP_1)
	s_or_b32 exec_lo, exec_lo, s13
	v_and_b32_e32 v0, 0x108, v126
	s_mov_b32 s10, exec_lo
	;;#ASMSTART
	s_wakeup
	;;#ASMEND
                                        ; implicit-def: $vgpr12_vgpr13
	v_cmpx_ne_u32_e32 0x108, v0
	s_xor_b32 s10, exec_lo, s10
; %bb.906:                              ;   in Loop: Header=BB12_49 Depth=1
	v_dual_mov_b32 v13, v63 :: v_dual_bitop2_b32 v12, 7, v8 bitop3:0x40
; %bb.907:                              ;   in Loop: Header=BB12_49 Depth=1
	s_and_not1_saveexec_b32 s10, s10
	s_cbranch_execz .LBB12_909
; %bb.908:                              ;   in Loop: Header=BB12_49 Depth=1
	v_dual_ashrrev_i32 v3, 31, v2 :: v_dual_bitop2_b32 v12, 7, v8 bitop3:0x40
	v_mov_b32_e32 v13, v63
	s_delay_alu instid0(VALU_DEP_2) | instskip(NEXT) | instid1(VALU_DEP_3)
	v_mad_nc_u64_u32 v[0:1], v12, 24, v[6:7]
	v_lshlrev_b64_e32 v[8:9], 1, v[2:3]
	flat_store_b64 v[0:1], v[8:9] offset:8
.LBB12_909:                             ;   in Loop: Header=BB12_49 Depth=1
	s_wait_xcnt 0x0
	s_or_b32 exec_lo, exec_lo, s10
	v_and_b32_e32 v0, 0x100, v126
	s_mov_b32 s10, -1
	s_mov_b32 s13, exec_lo
                                        ; implicit-def: $vgpr8_vgpr9
	s_delay_alu instid0(VALU_DEP_1)
	v_cmpx_ne_u32_e32 0, v0
	s_cbranch_execz .LBB12_913
; %bb.910:                              ;   in Loop: Header=BB12_49 Depth=1
	v_mad_nc_u64_u32 v[14:15], v12, 24, v[6:7]
	s_mov_b32 s14, exec_lo
                                        ; implicit-def: $vgpr8_vgpr9
	s_delay_alu instid0(VALU_DEP_1)
	v_mad_u32 v15, v13, 24, v15
	flat_load_b32 v0, v[14:15]
	s_wait_loadcnt_dscnt 0x0
	v_cmp_ne_u32_e32 vcc_lo, 1, v0
	s_wait_xcnt 0x0
	v_cmpx_eq_u32_e32 1, v0
	s_cbranch_execz .LBB12_912
; %bb.911:                              ;   in Loop: Header=BB12_49 Depth=1
	flat_load_b32 v0, v[14:15] offset:4 scope:SCOPE_SYS
	s_wait_loadcnt_dscnt 0x0
	v_ashrrev_i32_e32 v1, 31, v0
	s_delay_alu instid0(VALU_DEP_1)
	v_lshrrev_b64 v[8:9], 1, v[0:1]
.LBB12_912:                             ;   in Loop: Header=BB12_49 Depth=1
	s_wait_xcnt 0x0
	s_or_b32 exec_lo, exec_lo, s14
	s_delay_alu instid0(SALU_CYCLE_1)
	s_or_not1_b32 s10, vcc_lo, exec_lo
.LBB12_913:                             ;   in Loop: Header=BB12_49 Depth=1
	s_or_b32 exec_lo, exec_lo, s13
	s_and_saveexec_b32 s13, s10
	s_cbranch_execz .LBB12_915
; %bb.914:                              ;   in Loop: Header=BB12_49 Depth=1
	scratch_load_b64 v[0:1], off, s33 offset:256 ; 8-byte Folded Reload
	s_wait_loadcnt 0x0
	v_mul_u64_e32 v[8:9], v[12:13], v[0:1]
.LBB12_915:                             ;   in Loop: Header=BB12_49 Depth=1
	s_wait_xcnt 0x0
	s_or_b32 exec_lo, exec_lo, s13
	v_cmp_eq_u32_e32 vcc_lo, 0, v62
	s_delay_alu instid0(VALU_DEP_2) | instskip(SKIP_3) | instid1(VALU_DEP_1)
	v_lshl_add_u64 v[0:1], v[8:9], 1, v[32:33]
	v_and_b32_e32 v12, 0x2000, v126
	s_mov_b32 s10, exec_lo
	v_cndmask_b32_e32 v3, 0xc8, v104, vcc_lo
	v_add_nc_u32_e32 v3, v0, v3
	ds_store_b64 v3, v[0:1] offset:584
	v_cmpx_ne_u32_e32 0, v12
	s_cbranch_execz .LBB12_917
; %bb.916:                              ;   in Loop: Header=BB12_49 Depth=1
	ds_load_b64 v[0:1], v0 offset:872
	s_wait_dscnt 0x0
	v_add_nc_u64_e32 v[0:1], 1, v[0:1]
	ds_store_b64 v0, v[0:1] offset:872
.LBB12_917:                             ;   in Loop: Header=BB12_49 Depth=1
	s_or_b32 exec_lo, exec_lo, s10
	v_mov_b64_e32 v[8:9], v[10:11]
.LBB12_918:                             ;   in Loop: Header=BB12_49 Depth=1
	s_or_b32 exec_lo, exec_lo, s12
	s_and_saveexec_b32 s10, s2
	s_cbranch_execz .LBB12_937
; %bb.919:                              ;   in Loop: Header=BB12_49 Depth=1
	s_and_saveexec_b32 s12, s3
	s_delay_alu instid0(SALU_CYCLE_1)
	s_xor_b32 s12, exec_lo, s12
	s_cbranch_execz .LBB12_934
; %bb.920:                              ;   in Loop: Header=BB12_49 Depth=1
	s_and_saveexec_b32 s13, s4
	s_cbranch_execz .LBB12_933
; %bb.921:                              ;   in Loop: Header=BB12_49 Depth=1
	s_mov_b32 s15, exec_lo
	s_mov_b32 s14, exec_lo
	v_mbcnt_lo_u32_b32 v0, s15, 0
	global_wb scope:SCOPE_DEV
	s_wait_storecnt 0x0
	s_wait_loadcnt_dscnt 0x0
	global_inv scope:SCOPE_DEV
	v_cmpx_eq_u32_e32 0, v0
	s_cbranch_execz .LBB12_923
; %bb.922:                              ;   in Loop: Header=BB12_49 Depth=1
	s_bcnt1_i32_b32 s15, s15
	s_delay_alu instid0(SALU_CYCLE_1)
	v_mov_b32_e32 v62, s15
	s_wait_loadcnt 0x0
	ds_add_u64 v0, v[62:63]
	s_trap 2
.LBB12_923:                             ;   in Loop: Header=BB12_49 Depth=1
	s_or_b32 exec_lo, exec_lo, s14
	s_trap 2
	ds_load_b64 v[0:1], v0
	s_wait_dscnt 0x0
	v_add_nc_u64_e32 v[56:57], v[56:57], v[72:73]
	s_mov_b32 s14, exec_lo
	s_delay_alu instid0(VALU_DEP_1)
	v_cmpx_lt_u64_e64 v[0:1], v[56:57]
	s_cbranch_execz .LBB12_932
; %bb.924:                              ;   in Loop: Header=BB12_49 Depth=1
	s_mov_b32 s15, 0
	s_mov_b32 s28, 0
                                        ; implicit-def: $sgpr26
                                        ; implicit-def: $sgpr27
	s_branch .LBB12_926
.LBB12_925:                             ;   in Loop: Header=BB12_926 Depth=2
	s_or_b32 exec_lo, exec_lo, s40
	s_delay_alu instid0(SALU_CYCLE_1) | instskip(NEXT) | instid1(SALU_CYCLE_1)
	s_and_b32 s29, exec_lo, s41
	s_or_b32 s15, s29, s15
	s_and_not1_b32 s26, s26, exec_lo
	s_and_b32 s29, s27, exec_lo
	s_delay_alu instid0(SALU_CYCLE_1)
	s_or_b32 s26, s26, s29
	s_and_not1_b32 exec_lo, exec_lo, s15
	s_cbranch_execz .LBB12_930
.LBB12_926:                             ;   Parent Loop BB12_49 Depth=1
                                        ; =>  This Inner Loop Header: Depth=2
	s_add_co_i32 s28, s28, 1
	s_delay_alu instid0(SALU_CYCLE_1) | instskip(SKIP_1) | instid1(SALU_CYCLE_1)
	s_cmp_lg_u32 s28, 0x2710
	s_cselect_b32 s29, -1, 0
	s_and_b32 vcc_lo, exec_lo, s29
	s_cbranch_vccz .LBB12_928
; %bb.927:                              ;   in Loop: Header=BB12_926 Depth=2
	s_mov_b32 s41, -1
	s_or_b32 s27, s27, exec_lo
	s_and_saveexec_b32 s40, s29
	s_cbranch_execz .LBB12_925
	s_branch .LBB12_929
.LBB12_928:                             ;   in Loop: Header=BB12_926 Depth=2
	s_trap 2
	ds_load_b64 v[0:1], v0
	s_and_not1_b32 s29, s29, exec_lo
	s_mov_b32 s28, 0
	s_wait_loadcnt_dscnt 0x0
	flat_load_b32 v0, v[0:1] scope:SCOPE_SYS
	s_wait_loadcnt_dscnt 0x0
	global_inv scope:SCOPE_SYS
	v_cmp_eq_u32_e32 vcc_lo, 0, v0
	s_and_b32 s40, vcc_lo, exec_lo
	s_delay_alu instid0(SALU_CYCLE_1)
	s_or_b32 s29, s29, s40
	s_mov_b32 s41, -1
	s_or_b32 s27, s27, exec_lo
	s_and_saveexec_b32 s40, s29
	s_cbranch_execz .LBB12_925
.LBB12_929:                             ;   in Loop: Header=BB12_926 Depth=2
	s_sleep 1
	s_trap 2
	ds_load_b64 v[0:1], v0
	s_wait_dscnt 0x0
	s_and_not1_b32 s27, s27, exec_lo
	v_cmp_ge_u64_e32 vcc_lo, v[0:1], v[56:57]
	s_or_not1_b32 s41, vcc_lo, exec_lo
	s_branch .LBB12_925
.LBB12_930:                             ;   in Loop: Header=BB12_49 Depth=1
	s_or_b32 exec_lo, exec_lo, s15
	s_and_saveexec_b32 s15, s26
	s_delay_alu instid0(SALU_CYCLE_1)
	s_xor_b32 s15, exec_lo, s15
	s_cbranch_execz .LBB12_932
; %bb.931:                              ;   in Loop: Header=BB12_49 Depth=1
	ds_store_b32 v0, v91
	s_trap 2
.LBB12_932:                             ;   in Loop: Header=BB12_49 Depth=1
	s_or_b32 exec_lo, exec_lo, s14
	;;#ASMSTART
	s_wakeup
	;;#ASMEND
.LBB12_933:                             ;   in Loop: Header=BB12_49 Depth=1
	s_or_b32 exec_lo, exec_lo, s13
.LBB12_934:                             ;   in Loop: Header=BB12_49 Depth=1
	s_and_not1_saveexec_b32 s12, s12
	s_cbranch_execz .LBB12_936
; %bb.935:                              ;   in Loop: Header=BB12_49 Depth=1
	global_wb scope:SCOPE_DEV
	s_wait_storecnt 0x0
	s_wait_loadcnt_dscnt 0x0
	global_inv scope:SCOPE_DEV
	s_barrier_signal -1
	s_barrier_wait -1
.LBB12_936:                             ;   in Loop: Header=BB12_49 Depth=1
	s_or_b32 exec_lo, exec_lo, s12
.LBB12_937:                             ;   in Loop: Header=BB12_49 Depth=1
	s_delay_alu instid0(SALU_CYCLE_1)
	s_or_b32 exec_lo, exec_lo, s10
	s_trap 2
	ds_load_b32 v0, v0
	v_cmp_lt_i32_e32 vcc_lo, 0, v2
	s_wait_dscnt 0x0
	v_readfirstlane_b32 s10, v0
	v_and_b32_e32 v0, 16, v126
	s_cmp_eq_u32 s10, 0
	s_delay_alu instid0(VALU_DEP_1) | instskip(SKIP_1) | instid1(SALU_CYCLE_1)
	v_cmp_ne_u32_e64 s10, 0, v0
	s_cselect_b32 s12, -1, 0
	s_and_b32 s12, vcc_lo, s12
	s_delay_alu instid0(SALU_CYCLE_1) | instskip(NEXT) | instid1(SALU_CYCLE_1)
	s_and_b32 s12, s10, s12
	s_and_saveexec_b32 s10, s12
	s_cbranch_execz .LBB12_939
; %bb.938:                              ;   in Loop: Header=BB12_49 Depth=1
	global_wb scope:SCOPE_SYS
	s_wait_loadcnt 0x0
	s_wait_storecnt 0x0
	global_inv scope:SCOPE_SYS
.LBB12_939:                             ;   in Loop: Header=BB12_49 Depth=1
	s_or_b32 exec_lo, exec_lo, s10
	v_cmp_ne_u32_e32 vcc_lo, 0, v0
	s_xor_b32 s10, s7, -1
	s_delay_alu instid0(SALU_CYCLE_1) | instskip(NEXT) | instid1(SALU_CYCLE_1)
	s_and_b32 s12, vcc_lo, s10
	s_and_saveexec_b32 s10, s12
	s_cbranch_execz .LBB12_941
; %bb.940:                              ;   in Loop: Header=BB12_49 Depth=1
	scratch_load_b64 v[0:1], off, s33 offset:272 ; 8-byte Folded Reload
	global_wb scope:SCOPE_SYS
	s_wait_loadcnt 0x0
	s_wait_storecnt 0x0
	s_wait_xcnt 0x0
	flat_store_b32 v[0:1], v91 scope:SCOPE_SYS
.LBB12_941:                             ;   in Loop: Header=BB12_49 Depth=1
	s_wait_xcnt 0x0
	s_or_b32 exec_lo, exec_lo, s10
	v_and_b32_e32 v0, 48, v126
	s_mov_b32 s10, exec_lo
	s_delay_alu instid0(VALU_DEP_1)
	v_cmpx_ne_u32_e32 0, v0
	s_cbranch_execz .LBB12_47
; %bb.942:                              ;   in Loop: Header=BB12_49 Depth=1
	v_add_nc_u64_e32 v[8:9], 1, v[8:9]
	global_wb scope:SCOPE_SYS
	s_wait_storecnt 0x0
	s_wait_loadcnt_dscnt 0x0
	flat_store_b64 v[40:41], v[8:9] scope:SCOPE_SYS
	s_branch .LBB12_47
.LBB12_943:
	s_or_b32 exec_lo, exec_lo, s22
	s_clause 0x3
	scratch_load_b32 v23, off, s33 offset:316
	scratch_load_b32 v31, off, s33 offset:288
	scratch_load_b64 v[24:25], off, s33 offset:292
	scratch_load_b32 v10, off, s33 offset:300
.LBB12_944:
	s_wait_xcnt 0x0
	s_or_b32 exec_lo, exec_lo, s20
                                        ; implicit-def: $vgpr0_vgpr1
                                        ; kill: killed $vgpr0_vgpr1
                                        ; implicit-def: $vgpr4_vgpr5
                                        ; implicit-def: $vgpr46_vgpr47
                                        ; implicit-def: $vgpr32_vgpr33
                                        ; implicit-def: $vgpr40_vgpr41
                                        ; implicit-def: $vgpr124
                                        ; implicit-def: $vgpr15
                                        ; implicit-def: $vgpr58_vgpr59
                                        ; implicit-def: $vgpr0
	scratch_store_b64 off, v[0:1], s33 offset:256 ; 8-byte Folded Spill
.LBB12_945:
	s_wait_xcnt 0x0
	s_and_not1_saveexec_b32 s19, s19
	s_cbranch_execz .LBB12_1834
; %bb.946:
	v_mov_b64_e32 v[56:57], 0
	s_mov_b32 s20, exec_lo
	v_cmpx_ne_u64_e32 0, v[4:5]
	s_cbranch_execz .LBB12_1833
; %bb.947:
	scratch_load_b64 v[0:1], off, s33 offset:256 ; 8-byte Folded Reload
	v_dual_mov_b32 v61, 0 :: v_dual_bitop2_b32 v44, 31, v124 bitop3:0x40
	s_wait_loadcnt 0x4
	v_lshrrev_b32_e32 v62, 5, v23
	s_lshr_b32 s2, s17, 27
	v_cmp_eq_u32_e32 vcc_lo, 32, v23
	v_mov_b32_e32 v63, v61
	s_add_co_i32 s2, s17, s2
	v_lshl_add_u32 v72, v62, 11, 0xfffff800
	v_lshl_add_u32 v74, v62, 10, 0xfffffc00
	v_dual_lshlrev_b32 v45, 9, v62 :: v_dual_lshrrev_b32 v88, 5, v124
	v_mov_b64_e32 v[104:105], 0
	s_delay_alu instid0(VALU_DEP_3)
	v_dual_ashrrev_i32 v73, 31, v72 :: v_dual_ashrrev_i32 v75, 31, v74
	v_mov_b64_e32 v[56:57], 0
	v_cmp_ge_u32_e64 s1, v124, v23
	s_ashr_i32 s21, s2, 5
	v_add_nc_u64_e32 v[90:91], 0x800, v[72:73]
	v_add_nc_u64_e32 v[92:93], 0x400, v[74:75]
	v_cmp_ne_u32_e64 s2, 32, v23
	s_wait_loadcnt 0x1
	v_cmp_ne_u32_e64 s3, v23, v10
	v_cmp_le_u32_e64 s5, v44, v15
	v_cmp_eq_u32_e64 s6, 0, v44
	s_mov_b32 s22, 0
	s_add_co_i32 s23, s33, 0xf0
	s_add_co_i32 s24, s33, 0xd0
	s_xor_b32 s25, vcc_lo, -1
	s_clause 0x2
	scratch_store_b32 off, v23, s33 offset:316
	scratch_store_b32 off, v10, s33 offset:300
	;; [unrolled: 1-line block ×3, first 2 shown]
	s_wait_loadcnt 0x0
	v_dual_mov_b32 v95, v61 :: v_dual_ashrrev_i32 v1, 31, v0
	s_clause 0x1
	scratch_store_b64 off, v[0:1], s33 offset:256
	scratch_store_b64 off, v[24:25], s33 offset:292
	s_wait_xcnt 0x1
	v_and_b32_e32 v0, 31, v31
	s_trap 2
	s_delay_alu instid0(VALU_DEP_1) | instskip(SKIP_2) | instid1(VALU_DEP_2)
	v_cmp_eq_u32_e64 s4, 0, v0
	v_lshlrev_b32_e32 v0, 6, v62
	v_add_nc_u32_e32 v78, 0xfffffe00, v45
	v_subrev_nc_u32_e32 v76, 64, v0
	s_delay_alu instid0(VALU_DEP_2) | instskip(NEXT) | instid1(VALU_DEP_2)
	v_dual_lshlrev_b32 v0, 4, v44 :: v_dual_ashrrev_i32 v79, 31, v78
	v_ashrrev_i32_e32 v77, 31, v76
	s_delay_alu instid0(VALU_DEP_2)
	v_lshl_or_b32 v94, v88, 11, v0
	s_clause 0x4
	scratch_store_b32 off, v124, s33 offset:312
	scratch_store_b64 off, v[32:33], s33 offset:280
	scratch_store_b32 off, v44, s33 offset:332
	scratch_store_b32 off, v88, s33 offset:336
	scratch_store_b64 off, v[94:95], s33 offset:340
	s_branch .LBB12_950
.LBB12_948:                             ;   in Loop: Header=BB12_950 Depth=1
	s_wait_xcnt 0x0
	s_or_b32 exec_lo, exec_lo, s7
.LBB12_949:                             ;   in Loop: Header=BB12_950 Depth=1
	s_delay_alu instid0(SALU_CYCLE_1) | instskip(SKIP_1) | instid1(VALU_DEP_1)
	s_or_b32 exec_lo, exec_lo, s10
	v_add_nc_u64_e32 v[104:105], v[104:105], v[58:59]
	v_cmp_ge_u64_e32 vcc_lo, v[104:105], v[4:5]
	s_or_b32 s22, vcc_lo, s22
	s_delay_alu instid0(SALU_CYCLE_1)
	s_and_not1_b32 exec_lo, exec_lo, s22
	s_cbranch_execz .LBB12_1832
.LBB12_950:                             ; =>This Loop Header: Depth=1
                                        ;     Child Loop BB12_959 Depth 2
                                        ;     Child Loop BB12_983 Depth 2
	;; [unrolled: 1-line block ×5, first 2 shown]
                                        ;       Child Loop BB12_1424 Depth 3
                                        ;       Child Loop BB12_1461 Depth 3
                                        ;     Child Loop BB12_1538 Depth 2
                                        ;     Child Loop BB12_1741 Depth 2
                                        ;       Child Loop BB12_1742 Depth 3
                                        ;       Child Loop BB12_1751 Depth 3
                                        ;     Child Loop BB12_1770 Depth 2
                                        ;     Child Loop BB12_1793 Depth 2
                                        ;     Child Loop BB12_1817 Depth 2
	v_sub_nc_u64_e32 v[0:1], v[4:5], v[104:105]
	s_delay_alu instid0(VALU_DEP_1) | instskip(NEXT) | instid1(VALU_DEP_1)
	v_min_u64 v[106:107], v[58:59], v[0:1]
	v_add_nc_u32_e32 v0, 15, v106
	s_delay_alu instid0(VALU_DEP_2) | instskip(NEXT) | instid1(VALU_DEP_2)
	v_cmp_eq_u64_e32 vcc_lo, 0, v[106:107]
	v_and_b32_e32 v0, 0x3ffffff0, v0
	s_or_b32 s26, s1, vcc_lo
	s_delay_alu instid0(SALU_CYCLE_1) | instskip(NEXT) | instid1(VALU_DEP_1)
	s_xor_b32 s7, s26, -1
	v_dual_mov_b32 v0, 0 :: v_dual_max_i32 v107, s21, v0
	s_wait_xcnt 0x0
	s_and_saveexec_b32 s27, s7
	s_cbranch_execz .LBB12_1786
; %bb.951:                              ;   in Loop: Header=BB12_950 Depth=1
	s_and_saveexec_b32 s7, s0
	s_cbranch_execz .LBB12_953
; %bb.952:                              ;   in Loop: Header=BB12_950 Depth=1
	s_trap 2
	ds_load_b64 v[10:11], v0
	ds_load_2addr_b64 v[0:3], v0 offset1:1
	scratch_load_b64 v[12:13], off, s33 offset:264 ; 8-byte Folded Reload
	s_wait_dscnt 0x1
	v_cmp_ne_u64_e32 vcc_lo, 0, v[10:11]
	s_wait_loadcnt 0x0
	v_add_nc_u64_e32 v[12:13], v[104:105], v[12:13]
	s_delay_alu instid0(VALU_DEP_1) | instskip(NEXT) | instid1(VALU_DEP_1)
	v_lshlrev_b64_e32 v[12:13], 1, v[12:13]
	v_add_nc_u64_e32 v[14:15], v[10:11], v[12:13]
	s_wait_dscnt 0x0
	v_add_nc_u64_e32 v[0:1], v[0:1], v[12:13]
	v_add_nc_u64_e32 v[2:3], v[2:3], v[12:13]
	s_delay_alu instid0(VALU_DEP_3)
	v_dual_cndmask_b32 v11, 0, v15 :: v_dual_cndmask_b32 v10, 0, v14
	ds_store_b64 v0, v[0:1]
	ds_store_b64 v0, v[2:3]
	;; [unrolled: 1-line block ×3, first 2 shown]
.LBB12_953:                             ;   in Loop: Header=BB12_950 Depth=1
	s_wait_xcnt 0x0
	s_or_b32 exec_lo, exec_lo, s7
	v_and_b32_e32 v0, 4, v126
	s_mov_b32 s10, exec_lo
	s_delay_alu instid0(VALU_DEP_1)
	v_cmpx_ne_u32_e32 0, v0
	s_cbranch_execz .LBB12_975
; %bb.954:                              ;   in Loop: Header=BB12_950 Depth=1
	v_add_nc_u64_e32 v[2:3], 1, v[8:9]
	s_mov_b32 s11, exec_lo
	s_wait_loadcnt 0x0
	s_delay_alu instid0(VALU_DEP_1)
	v_cmpx_lt_u64_e64 v[46:47], v[2:3]
	s_cbranch_execz .LBB12_966
; %bb.955:                              ;   in Loop: Header=BB12_950 Depth=1
	v_and_b32_e32 v0, 64, v126
	s_mov_b32 s12, 0
	s_mov_b32 s28, 0
                                        ; implicit-def: $sgpr13
                                        ; implicit-def: $sgpr14
                                        ; implicit-def: $sgpr15
	s_delay_alu instid0(VALU_DEP_1)
	v_cmp_eq_u32_e32 vcc_lo, 0, v0
	s_branch .LBB12_959
.LBB12_956:                             ;   in Loop: Header=BB12_959 Depth=2
	s_wait_loadcnt_dscnt 0x0
	v_cmp_ge_u64_e64 s7, v[46:47], v[2:3]
	s_or_b32 s41, s41, exec_lo
	s_or_not1_b32 s40, s7, exec_lo
.LBB12_957:                             ;   in Loop: Header=BB12_959 Depth=2
	s_or_b32 exec_lo, exec_lo, s43
	s_delay_alu instid0(SALU_CYCLE_1)
	s_and_not1_b32 s7, s15, exec_lo
	s_and_b32 s15, s41, exec_lo
	s_and_not1_b32 s14, s14, exec_lo
	s_and_b32 s40, s40, exec_lo
	s_or_b32 s15, s7, s15
	s_or_b32 s14, s14, s40
.LBB12_958:                             ;   in Loop: Header=BB12_959 Depth=2
	s_or_b32 exec_lo, exec_lo, s29
	s_delay_alu instid0(SALU_CYCLE_1) | instskip(NEXT) | instid1(SALU_CYCLE_1)
	s_and_b32 s7, exec_lo, s14
	s_or_b32 s12, s7, s12
	s_and_not1_b32 s7, s13, exec_lo
	s_and_b32 s13, s15, exec_lo
	s_delay_alu instid0(SALU_CYCLE_1)
	s_or_b32 s13, s7, s13
	s_and_not1_b32 exec_lo, exec_lo, s12
	s_cbranch_execz .LBB12_963
.LBB12_959:                             ;   Parent Loop BB12_950 Depth=1
                                        ; =>  This Inner Loop Header: Depth=2
	s_sleep 1
	s_wait_loadcnt_dscnt 0x0
	flat_load_b64 v[46:47], v[40:41] scope:SCOPE_SYS
	s_or_b32 s15, s15, exec_lo
	s_or_b32 s14, s14, exec_lo
                                        ; implicit-def: $vgpr0
	s_wait_xcnt 0x0
	s_and_saveexec_b32 s29, vcc_lo
	s_cbranch_execz .LBB12_958
; %bb.960:                              ;   in Loop: Header=BB12_959 Depth=2
	s_cmp_lt_i32 s28, 0x270f
	s_mov_b32 s40, -1
	s_cselect_b32 s42, -1, 0
	s_cmp_gt_i32 s28, 0x270e
	s_cbranch_scc0 .LBB12_962
; %bb.961:                              ;   in Loop: Header=BB12_959 Depth=2
	s_trap 2
	ds_load_b64 v[0:1], v0
	s_and_not1_b32 s28, s42, exec_lo
	s_mov_b32 s41, 0
	s_wait_storecnt 0x0
	s_wait_loadcnt_dscnt 0x0
	flat_load_b32 v0, v[0:1] scope:SCOPE_SYS
	s_wait_loadcnt_dscnt 0x0
	global_inv scope:SCOPE_SYS
	v_cmp_eq_u32_e64 s7, 0, v0
	s_and_b32 s7, s7, exec_lo
	s_delay_alu instid0(SALU_CYCLE_1)
	s_or_b32 s42, s28, s7
	s_mov_b32 s28, 0
	s_wait_xcnt 0x0
	s_and_saveexec_b32 s43, s42
	s_cbranch_execz .LBB12_957
	s_branch .LBB12_956
.LBB12_962:                             ;   in Loop: Header=BB12_959 Depth=2
	s_add_co_i32 s28, s28, 1
	s_mov_b32 s41, -1
                                        ; implicit-def: $vgpr0
	s_and_saveexec_b32 s43, s42
	s_cbranch_execz .LBB12_957
	s_branch .LBB12_956
.LBB12_963:                             ;   in Loop: Header=BB12_950 Depth=1
	s_or_b32 exec_lo, exec_lo, s12
	s_xor_b32 s7, s13, -1
	s_delay_alu instid0(SALU_CYCLE_1) | instskip(NEXT) | instid1(SALU_CYCLE_1)
	s_and_saveexec_b32 s12, s7
	s_xor_b32 s7, exec_lo, s12
	s_cbranch_execz .LBB12_965
; %bb.964:                              ;   in Loop: Header=BB12_950 Depth=1
	v_or_b32_e32 v126, 64, v126
	s_wait_storecnt 0x0
	s_wait_loadcnt_dscnt 0x0
	ds_store_b32 v0, v0
	s_trap 2
.LBB12_965:                             ;   in Loop: Header=BB12_950 Depth=1
	s_or_b32 exec_lo, exec_lo, s7
.LBB12_966:                             ;   in Loop: Header=BB12_950 Depth=1
	s_delay_alu instid0(SALU_CYCLE_1)
	s_or_b32 exec_lo, exec_lo, s11
	v_and_b32_e32 v0, 0x100, v126
	v_and_b32_e32 v60, 7, v8
	s_mov_b32 s7, -1
	s_mov_b32 s11, exec_lo
	;;#ASMSTART
	s_wakeup
	;;#ASMEND
                                        ; implicit-def: $vgpr8_vgpr9
	v_cmpx_ne_u32_e32 0, v0
	s_cbranch_execz .LBB12_970
; %bb.967:                              ;   in Loop: Header=BB12_950 Depth=1
	v_mad_nc_u64_u32 v[10:11], v60, 24, v[6:7]
	s_mov_b32 s12, exec_lo
                                        ; implicit-def: $vgpr8_vgpr9
	flat_load_b32 v0, v[10:11]
	s_wait_loadcnt_dscnt 0x0
	v_cmp_ne_u32_e32 vcc_lo, 1, v0
	s_wait_xcnt 0x0
	v_cmpx_eq_u32_e32 1, v0
	s_cbranch_execz .LBB12_969
; %bb.968:                              ;   in Loop: Header=BB12_950 Depth=1
	flat_load_b32 v0, v[10:11] offset:4 scope:SCOPE_SYS
	s_wait_loadcnt_dscnt 0x0
	v_ashrrev_i32_e32 v1, 31, v0
	s_delay_alu instid0(VALU_DEP_1)
	v_lshrrev_b64 v[8:9], 1, v[0:1]
.LBB12_969:                             ;   in Loop: Header=BB12_950 Depth=1
	s_wait_xcnt 0x0
	s_or_b32 exec_lo, exec_lo, s12
	s_delay_alu instid0(SALU_CYCLE_1)
	s_or_not1_b32 s7, vcc_lo, exec_lo
.LBB12_970:                             ;   in Loop: Header=BB12_950 Depth=1
	s_or_b32 exec_lo, exec_lo, s11
	s_and_saveexec_b32 s11, s7
	s_cbranch_execz .LBB12_972
; %bb.971:                              ;   in Loop: Header=BB12_950 Depth=1
	scratch_load_b64 v[0:1], off, s33 offset:256 ; 8-byte Folded Reload
	s_wait_loadcnt 0x0
	v_mul_u64_e32 v[8:9], v[60:61], v[0:1]
.LBB12_972:                             ;   in Loop: Header=BB12_950 Depth=1
	s_wait_xcnt 0x0
	s_or_b32 exec_lo, exec_lo, s11
	v_and_b32_e32 v10, 0x2000, v126
	s_delay_alu instid0(VALU_DEP_2)
	v_lshl_add_u64 v[0:1], v[8:9], 1, v[32:33]
	s_mov_b32 s7, exec_lo
	ds_store_b64 v0, v[0:1] offset:728
	v_cmpx_ne_u32_e32 0, v10
	s_cbranch_execz .LBB12_974
; %bb.973:                              ;   in Loop: Header=BB12_950 Depth=1
	ds_load_b64 v[0:1], v0 offset:872
	s_wait_dscnt 0x0
	v_add_nc_u64_e32 v[0:1], 1, v[0:1]
	ds_store_b64 v0, v[0:1] offset:872
.LBB12_974:                             ;   in Loop: Header=BB12_950 Depth=1
	s_or_b32 exec_lo, exec_lo, s7
	v_mov_b64_e32 v[8:9], v[2:3]
.LBB12_975:                             ;   in Loop: Header=BB12_950 Depth=1
	s_or_b32 exec_lo, exec_lo, s10
	s_and_saveexec_b32 s7, s2
	s_cbranch_execz .LBB12_994
; %bb.976:                              ;   in Loop: Header=BB12_950 Depth=1
	s_and_saveexec_b32 s10, s3
	s_delay_alu instid0(SALU_CYCLE_1)
	s_xor_b32 s10, exec_lo, s10
	s_cbranch_execz .LBB12_991
; %bb.977:                              ;   in Loop: Header=BB12_950 Depth=1
	s_and_saveexec_b32 s11, s4
	s_cbranch_execz .LBB12_990
; %bb.978:                              ;   in Loop: Header=BB12_950 Depth=1
	s_mov_b32 s13, exec_lo
	s_mov_b32 s12, exec_lo
	v_mbcnt_lo_u32_b32 v0, s13, 0
	global_wb scope:SCOPE_DEV
	s_wait_storecnt 0x0
	s_wait_loadcnt_dscnt 0x0
	global_inv scope:SCOPE_DEV
	v_cmpx_eq_u32_e32 0, v0
	s_cbranch_execz .LBB12_980
; %bb.979:                              ;   in Loop: Header=BB12_950 Depth=1
	s_bcnt1_i32_b32 s13, s13
	s_delay_alu instid0(SALU_CYCLE_1)
	v_mov_b32_e32 v60, s13
	s_wait_loadcnt 0x0
	ds_add_u64 v0, v[60:61]
	s_trap 2
.LBB12_980:                             ;   in Loop: Header=BB12_950 Depth=1
	s_or_b32 exec_lo, exec_lo, s12
	s_trap 2
	ds_load_b64 v[0:1], v0
	s_wait_dscnt 0x0
	v_add_nc_u64_e32 v[56:57], v[56:57], v[62:63]
	s_mov_b32 s12, exec_lo
	s_delay_alu instid0(VALU_DEP_1)
	v_cmpx_lt_u64_e64 v[0:1], v[56:57]
	s_cbranch_execz .LBB12_989
; %bb.981:                              ;   in Loop: Header=BB12_950 Depth=1
	s_mov_b32 s13, 0
	s_mov_b32 s28, 0
                                        ; implicit-def: $sgpr14
                                        ; implicit-def: $sgpr15
	s_branch .LBB12_983
.LBB12_982:                             ;   in Loop: Header=BB12_983 Depth=2
	s_or_b32 exec_lo, exec_lo, s40
	s_delay_alu instid0(SALU_CYCLE_1) | instskip(NEXT) | instid1(SALU_CYCLE_1)
	s_and_b32 s29, exec_lo, s41
	s_or_b32 s13, s29, s13
	s_and_not1_b32 s14, s14, exec_lo
	s_and_b32 s29, s15, exec_lo
	s_delay_alu instid0(SALU_CYCLE_1)
	s_or_b32 s14, s14, s29
	s_and_not1_b32 exec_lo, exec_lo, s13
	s_cbranch_execz .LBB12_987
.LBB12_983:                             ;   Parent Loop BB12_950 Depth=1
                                        ; =>  This Inner Loop Header: Depth=2
	s_add_co_i32 s28, s28, 1
	s_delay_alu instid0(SALU_CYCLE_1) | instskip(SKIP_1) | instid1(SALU_CYCLE_1)
	s_cmp_lg_u32 s28, 0x2710
	s_cselect_b32 s29, -1, 0
	s_and_b32 vcc_lo, exec_lo, s29
	s_cbranch_vccz .LBB12_985
; %bb.984:                              ;   in Loop: Header=BB12_983 Depth=2
	s_mov_b32 s41, -1
	s_or_b32 s15, s15, exec_lo
	s_and_saveexec_b32 s40, s29
	s_cbranch_execz .LBB12_982
	s_branch .LBB12_986
.LBB12_985:                             ;   in Loop: Header=BB12_983 Depth=2
	s_trap 2
	ds_load_b64 v[0:1], v0
	s_and_not1_b32 s29, s29, exec_lo
	s_mov_b32 s28, 0
	s_wait_loadcnt_dscnt 0x0
	flat_load_b32 v0, v[0:1] scope:SCOPE_SYS
	s_wait_loadcnt_dscnt 0x0
	global_inv scope:SCOPE_SYS
	v_cmp_eq_u32_e32 vcc_lo, 0, v0
	s_and_b32 s40, vcc_lo, exec_lo
	s_delay_alu instid0(SALU_CYCLE_1)
	s_or_b32 s29, s29, s40
	s_mov_b32 s41, -1
	s_or_b32 s15, s15, exec_lo
	s_wait_xcnt 0x0
	s_and_saveexec_b32 s40, s29
	s_cbranch_execz .LBB12_982
.LBB12_986:                             ;   in Loop: Header=BB12_983 Depth=2
	s_sleep 1
	s_trap 2
	ds_load_b64 v[0:1], v0
	s_wait_dscnt 0x0
	s_and_not1_b32 s15, s15, exec_lo
	v_cmp_ge_u64_e32 vcc_lo, v[0:1], v[56:57]
	s_or_not1_b32 s41, vcc_lo, exec_lo
	s_branch .LBB12_982
.LBB12_987:                             ;   in Loop: Header=BB12_950 Depth=1
	s_or_b32 exec_lo, exec_lo, s13
	s_and_saveexec_b32 s13, s14
	s_delay_alu instid0(SALU_CYCLE_1)
	s_xor_b32 s13, exec_lo, s13
	s_cbranch_execz .LBB12_989
; %bb.988:                              ;   in Loop: Header=BB12_950 Depth=1
	v_mov_b32_e32 v0, 1
	ds_store_b32 v0, v0
	s_trap 2
.LBB12_989:                             ;   in Loop: Header=BB12_950 Depth=1
	s_or_b32 exec_lo, exec_lo, s12
	;;#ASMSTART
	s_wakeup
	;;#ASMEND
.LBB12_990:                             ;   in Loop: Header=BB12_950 Depth=1
	s_or_b32 exec_lo, exec_lo, s11
.LBB12_991:                             ;   in Loop: Header=BB12_950 Depth=1
	s_and_not1_saveexec_b32 s10, s10
	s_cbranch_execz .LBB12_993
; %bb.992:                              ;   in Loop: Header=BB12_950 Depth=1
	global_wb scope:SCOPE_DEV
	s_wait_storecnt 0x0
	s_wait_loadcnt_dscnt 0x0
	global_inv scope:SCOPE_DEV
	s_barrier_signal -1
	s_barrier_wait -1
.LBB12_993:                             ;   in Loop: Header=BB12_950 Depth=1
	s_or_b32 exec_lo, exec_lo, s10
.LBB12_994:                             ;   in Loop: Header=BB12_950 Depth=1
	s_delay_alu instid0(SALU_CYCLE_1) | instskip(SKIP_3) | instid1(VALU_DEP_1)
	s_or_b32 exec_lo, exec_lo, s7
	s_trap 2
	ds_load_b32 v0, v0
	v_and_b32_e32 v1, 0x4000, v126
	v_cmp_ne_u32_e32 vcc_lo, 0, v1
	s_and_b32 s10, s25, vcc_lo
	s_delay_alu instid0(SALU_CYCLE_1)
	s_and_saveexec_b32 s7, s10
	s_cbranch_execz .LBB12_1013
; %bb.995:                              ;   in Loop: Header=BB12_950 Depth=1
	s_and_saveexec_b32 s10, s3
	s_delay_alu instid0(SALU_CYCLE_1)
	s_xor_b32 s10, exec_lo, s10
	s_cbranch_execz .LBB12_1010
; %bb.996:                              ;   in Loop: Header=BB12_950 Depth=1
	s_and_saveexec_b32 s11, s4
	s_cbranch_execz .LBB12_1009
; %bb.997:                              ;   in Loop: Header=BB12_950 Depth=1
	s_mov_b32 s13, exec_lo
	s_mov_b32 s12, exec_lo
	v_mbcnt_lo_u32_b32 v1, s13, 0
	global_wb scope:SCOPE_DEV
	s_wait_storecnt 0x0
	s_wait_loadcnt_dscnt 0x0
	global_inv scope:SCOPE_DEV
	v_cmpx_eq_u32_e32 0, v1
	s_cbranch_execz .LBB12_999
; %bb.998:                              ;   in Loop: Header=BB12_950 Depth=1
	s_bcnt1_i32_b32 s13, s13
	s_delay_alu instid0(SALU_CYCLE_1)
	v_mov_b32_e32 v60, s13
	s_wait_loadcnt 0x0
	ds_add_u64 v0, v[60:61]
	s_trap 2
.LBB12_999:                             ;   in Loop: Header=BB12_950 Depth=1
	s_or_b32 exec_lo, exec_lo, s12
	s_trap 2
	ds_load_b64 v[2:3], v0
	s_wait_dscnt 0x0
	v_add_nc_u64_e32 v[56:57], v[56:57], v[62:63]
	s_mov_b32 s12, exec_lo
	s_delay_alu instid0(VALU_DEP_1)
	v_cmpx_lt_u64_e64 v[2:3], v[56:57]
	s_cbranch_execz .LBB12_1008
; %bb.1000:                             ;   in Loop: Header=BB12_950 Depth=1
	s_mov_b32 s13, 0
	s_mov_b32 s28, 0
                                        ; implicit-def: $sgpr14
                                        ; implicit-def: $sgpr15
	s_branch .LBB12_1002
.LBB12_1001:                            ;   in Loop: Header=BB12_1002 Depth=2
	s_or_b32 exec_lo, exec_lo, s40
	s_delay_alu instid0(SALU_CYCLE_1) | instskip(NEXT) | instid1(SALU_CYCLE_1)
	s_and_b32 s29, exec_lo, s41
	s_or_b32 s13, s29, s13
	s_and_not1_b32 s14, s14, exec_lo
	s_and_b32 s29, s15, exec_lo
	s_delay_alu instid0(SALU_CYCLE_1)
	s_or_b32 s14, s14, s29
	s_and_not1_b32 exec_lo, exec_lo, s13
	s_cbranch_execz .LBB12_1006
.LBB12_1002:                            ;   Parent Loop BB12_950 Depth=1
                                        ; =>  This Inner Loop Header: Depth=2
	s_add_co_i32 s28, s28, 1
	s_delay_alu instid0(SALU_CYCLE_1) | instskip(SKIP_1) | instid1(SALU_CYCLE_1)
	s_cmp_lg_u32 s28, 0x2710
	s_cselect_b32 s29, -1, 0
	s_and_b32 vcc_lo, exec_lo, s29
	s_cbranch_vccz .LBB12_1004
; %bb.1003:                             ;   in Loop: Header=BB12_1002 Depth=2
	s_mov_b32 s41, -1
	s_or_b32 s15, s15, exec_lo
	s_and_saveexec_b32 s40, s29
	s_cbranch_execz .LBB12_1001
	s_branch .LBB12_1005
.LBB12_1004:                            ;   in Loop: Header=BB12_1002 Depth=2
	s_trap 2
	ds_load_b64 v[2:3], v0
	s_and_not1_b32 s29, s29, exec_lo
	s_mov_b32 s28, 0
	s_wait_loadcnt_dscnt 0x0
	flat_load_b32 v1, v[2:3] scope:SCOPE_SYS
	s_wait_loadcnt_dscnt 0x0
	global_inv scope:SCOPE_SYS
	v_cmp_eq_u32_e32 vcc_lo, 0, v1
	s_and_b32 s40, vcc_lo, exec_lo
	s_delay_alu instid0(SALU_CYCLE_1)
	s_or_b32 s29, s29, s40
	s_mov_b32 s41, -1
	s_or_b32 s15, s15, exec_lo
	s_wait_xcnt 0x0
	s_and_saveexec_b32 s40, s29
	s_cbranch_execz .LBB12_1001
.LBB12_1005:                            ;   in Loop: Header=BB12_1002 Depth=2
	s_sleep 1
	s_trap 2
	ds_load_b64 v[2:3], v0
	s_wait_dscnt 0x0
	s_and_not1_b32 s15, s15, exec_lo
	v_cmp_ge_u64_e32 vcc_lo, v[2:3], v[56:57]
	s_or_not1_b32 s41, vcc_lo, exec_lo
	s_branch .LBB12_1001
.LBB12_1006:                            ;   in Loop: Header=BB12_950 Depth=1
	s_or_b32 exec_lo, exec_lo, s13
	s_and_saveexec_b32 s13, s14
	s_delay_alu instid0(SALU_CYCLE_1)
	s_xor_b32 s13, exec_lo, s13
	s_cbranch_execz .LBB12_1008
; %bb.1007:                             ;   in Loop: Header=BB12_950 Depth=1
	v_mov_b32_e32 v1, 1
	ds_store_b32 v0, v1
	s_trap 2
.LBB12_1008:                            ;   in Loop: Header=BB12_950 Depth=1
	s_or_b32 exec_lo, exec_lo, s12
	;;#ASMSTART
	s_wakeup
	;;#ASMEND
.LBB12_1009:                            ;   in Loop: Header=BB12_950 Depth=1
	s_or_b32 exec_lo, exec_lo, s11
.LBB12_1010:                            ;   in Loop: Header=BB12_950 Depth=1
	s_and_not1_saveexec_b32 s10, s10
	s_cbranch_execz .LBB12_1012
; %bb.1011:                             ;   in Loop: Header=BB12_950 Depth=1
	global_wb scope:SCOPE_DEV
	s_wait_storecnt 0x0
	s_wait_loadcnt_dscnt 0x0
	global_inv scope:SCOPE_DEV
	s_barrier_signal -1
	s_barrier_wait -1
.LBB12_1012:                            ;   in Loop: Header=BB12_950 Depth=1
	s_or_b32 exec_lo, exec_lo, s10
.LBB12_1013:                            ;   in Loop: Header=BB12_950 Depth=1
	s_delay_alu instid0(SALU_CYCLE_1)
	s_or_b32 exec_lo, exec_lo, s7
	s_trap 2
	s_wait_dscnt 0x0
	ds_load_b64 v[108:109], v0
	v_min_u32_e32 v107, v107, v106
	s_wait_dscnt 0x0
	v_cmp_eq_u64_e32 vcc_lo, 0, v[108:109]
	s_cbranch_vccnz .LBB12_1021
; %bb.1014:                             ;   in Loop: Header=BB12_950 Depth=1
	s_trap 2
	ds_load_b64 v[110:111], v0
	s_wait_dscnt 0x0
	v_cmp_eq_u64_e32 vcc_lo, 0, v[110:111]
	s_cbranch_vccnz .LBB12_1021
; %bb.1015:                             ;   in Loop: Header=BB12_950 Depth=1
	s_trap 2
	ds_load_b64 v[2:3], v0
	s_mov_b32 s7, -1
	s_wait_dscnt 0x0
	v_readfirstlane_b32 s10, v2
	s_and_saveexec_b32 s11, s5
	s_cbranch_execz .LBB12_1017
; %bb.1016:                             ;   in Loop: Header=BB12_950 Depth=1
	ds_load_b32 v1, v0 offset:720
	s_wait_dscnt 0x0
	v_and_b32_e32 v1, 15, v1
	s_delay_alu instid0(VALU_DEP_1)
	v_cmp_eq_u32_e32 vcc_lo, 0, v1
	s_or_not1_b32 s7, vcc_lo, exec_lo
.LBB12_1017:                            ;   in Loop: Header=BB12_950 Depth=1
	s_or_b32 exec_lo, exec_lo, s11
	s_and_saveexec_b32 s11, s6
	s_cbranch_execz .LBB12_1019
; %bb.1018:                             ;   in Loop: Header=BB12_950 Depth=1
	ds_load_b32 v1, v0 offset:784
	s_wait_dscnt 0x0
	v_and_b32_e32 v1, 15, v1
	s_delay_alu instid0(VALU_DEP_1) | instskip(SKIP_3) | instid1(SALU_CYCLE_1)
	v_cmp_eq_u32_e32 vcc_lo, 0, v1
	s_and_b32 s12, s7, vcc_lo
	s_and_not1_b32 s7, s7, exec_lo
	s_and_b32 s12, s12, exec_lo
	s_or_b32 s7, s7, s12
.LBB12_1019:                            ;   in Loop: Header=BB12_950 Depth=1
	s_or_b32 exec_lo, exec_lo, s11
	s_xor_b32 s7, s7, -1
	s_mov_b32 s11, -1
	v_cndmask_b32_e64 v1, 0, 1, s7
	v_cmp_eq_u32_e64 s7, 0, v0
	s_delay_alu instid0(VALU_DEP_2)
	v_cmp_ne_u32_e32 vcc_lo, 0, v1
	s_cbranch_vccz .LBB12_1022
; %bb.1020:                             ;   in Loop: Header=BB12_950 Depth=1
	s_and_b32 s13, s10, 1
	s_mov_b32 s11, 0
	s_mov_b32 s28, -1
	s_branch .LBB12_1023
.LBB12_1021:                            ;   in Loop: Header=BB12_950 Depth=1
	s_mov_b32 s7, 0
	s_and_saveexec_b32 s10, s2
	s_cbranch_execnz .LBB12_1763
	s_branch .LBB12_1781
.LBB12_1022:                            ;   in Loop: Header=BB12_950 Depth=1
	s_mov_b32 s28, 0
                                        ; implicit-def: $sgpr13
.LBB12_1023:                            ;   in Loop: Header=BB12_950 Depth=1
	v_dual_cndmask_b32 v60, 0, v107, s7 :: v_dual_mov_b32 v14, 0
	s_and_not1_b32 vcc_lo, exec_lo, s11
	s_delay_alu instid0(VALU_DEP_1)
	v_lshlrev_b32_e32 v122, 1, v60
	s_cbranch_vccnz .LBB12_1287
; %bb.1024:                             ;   in Loop: Header=BB12_950 Depth=1
	v_lshrrev_b32_e32 v49, 10, v60
	v_add_nc_u64_e32 v[120:121], v[110:111], v[94:95]
	s_and_b32 s13, s10, 1
	s_mov_b32 s7, 0
	s_mov_b32 s10, exec_lo
	v_sub_nc_u32_e32 v89, v49, v88
                                        ; implicit-def: $vgpr80_vgpr81
                                        ; implicit-def: $vgpr36_vgpr37
                                        ; implicit-def: $vgpr26_vgpr27
                                        ; implicit-def: $vgpr14_vgpr15
                                        ; implicit-def: $vgpr32_vgpr33
                                        ; implicit-def: $vgpr22_vgpr23
                                        ; implicit-def: $vgpr18_vgpr19
                                        ; implicit-def: $vgpr10_vgpr11
	s_delay_alu instid0(VALU_DEP_1)
	v_cmpx_lt_i32_e32 0, v89
	s_cbranch_execz .LBB12_1289
; %bb.1025:                             ;   in Loop: Header=BB12_950 Depth=1
	s_clause 0x2
	scratch_store_b32 off, v49, s33 offset:328
	scratch_store_b32 off, v122, s33 offset:304
	scratch_store_b32 off, v60, s33 offset:272
	s_trap 2
	ds_load_b64 v[0:1], v0
	s_wait_xcnt 0x1
	v_add_nc_u64_e32 v[122:123], v[108:109], v[94:95]
	s_and_b32 s7, 0xffff, s13
	s_mov_b32 s14, 0
	s_cmp_eq_u32 s7, 0
	s_mov_b32 s11, 0
	s_cselect_b32 vcc_lo, -1, 0
                                        ; implicit-def: $sgpr12
                                        ; implicit-def: $vgpr80_vgpr81
                                        ; implicit-def: $vgpr36_vgpr37
                                        ; implicit-def: $vgpr26_vgpr27
                                        ; implicit-def: $vgpr14_vgpr15
                                        ; implicit-def: $vgpr32_vgpr33
                                        ; implicit-def: $vgpr22_vgpr23
                                        ; implicit-def: $vgpr18_vgpr19
                                        ; implicit-def: $vgpr10_vgpr11
	s_wait_dscnt 0x0
	v_add_nc_u64_e32 v[124:125], v[0:1], v[94:95]
	s_branch .LBB12_1027
.LBB12_1026:                            ;   in Loop: Header=BB12_1027 Depth=2
	s_or_b32 exec_lo, exec_lo, s15
	v_dual_lshrrev_b32 v55, 16, v68 :: v_dual_lshrrev_b32 v68, 16, v99
	v_dual_lshrrev_b32 v69, 16, v69 :: v_dual_lshrrev_b32 v70, 16, v70
	v_lshrrev_b32_e32 v96, 16, v96
	s_delay_alu instid0(VALU_DEP_3) | instskip(SKIP_4) | instid1(VALU_DEP_4)
	v_and_or_b32 v65, 0xffff0000, v65, v55
	v_lshrrev_b32_e32 v55, 16, v103
	v_and_or_b32 v64, 0xffff0000, v64, v68
	v_and_or_b32 v66, 0xffff0000, v66, v69
	v_dual_lshrrev_b32 v69, 16, v112 :: v_dual_lshrrev_b32 v31, 16, v31
	v_and_or_b32 v84, 0xffff0000, v84, v55
	v_dual_lshrrev_b32 v55, 16, v97 :: v_dual_lshrrev_b32 v68, 16, v98
	;; [unrolled: 2-line block ×3, first 2 shown]
	v_dual_lshrrev_b32 v53, 16, v53 :: v_dual_lshrrev_b32 v54, 16, v54
	s_delay_alu instid0(VALU_DEP_4)
	v_and_or_b32 v87, 0xffff0000, v87, v68
	v_and_or_b32 v68, 0xffff0000, v100, v31
	v_dual_lshrrev_b32 v31, 16, v52 :: v_dual_lshrrev_b32 v52, 16, v71
	v_and_or_b32 v71, 0xffff0000, v1, v0
	v_add_nc_u64_e32 v[0:1], v[122:123], v[72:73]
	v_and_or_b32 v50, 0xffff0000, v50, v53
	s_delay_alu instid0(VALU_DEP_4) | instskip(SKIP_4) | instid1(VALU_DEP_4)
	v_and_or_b32 v49, 0xffff0000, v49, v31
	v_dual_cndmask_b32 v31, 0, v62, s14 :: v_dual_cndmask_b32 v53, 0, v91, s14
	v_and_or_b32 v69, 0xffff0000, v101, v69
	v_and_or_b32 v70, 0xffff0000, v102, v70
	;; [unrolled: 1-line block ×3, first 2 shown]
	v_dual_sub_nc_u32 v89, v30, v31 :: v_dual_cndmask_b32 v123, v123, v1, s14
	v_cndmask_b32_e64 v52, 0x800, v90, s14
	v_add_nc_u64_e32 v[30:31], v[2:3], v[72:73]
	v_and_or_b32 v85, 0xffff0000, v85, v96
	v_and_or_b32 v86, 0xffff0000, v86, v55
	;; [unrolled: 1-line block ×3, first 2 shown]
	v_cmp_gt_i32_e64 s7, 1, v89
	s_clause 0x3
	global_store_b128 v[120:121], v[68:71], off th:TH_STORE_NT
	global_store_b128 v[120:121], v[84:87], off offset:512 th:TH_STORE_NT
	global_store_b128 v[120:121], v[64:67], off offset:1024 th:TH_STORE_NT
	;; [unrolled: 1-line block ×3, first 2 shown]
	s_wait_xcnt 0x0
	v_add_nc_u64_e32 v[120:121], v[120:121], v[52:53]
	v_dual_cndmask_b32 v122, v122, v0, s14 :: v_dual_cndmask_b32 v125, v3, v31, s14
	v_cndmask_b32_e64 v124, v2, v30, s14
	s_or_b32 s11, s7, s11
	s_and_not1_b32 s7, s12, exec_lo
	s_and_b32 s12, s14, exec_lo
	s_delay_alu instid0(SALU_CYCLE_1)
	s_or_b32 s12, s7, s12
	s_and_not1_b32 exec_lo, exec_lo, s11
	s_cbranch_execz .LBB12_1288
.LBB12_1027:                            ;   Parent Loop BB12_950 Depth=1
                                        ; =>  This Inner Loop Header: Depth=2
	s_clause 0x3
	global_load_b128 v[100:103], v[122:123], off th:TH_LOAD_NT
	global_load_b128 v[84:87], v[122:123], off offset:512 th:TH_LOAD_NT
	global_load_b128 v[64:67], v[122:123], off offset:1024 th:TH_LOAD_NT
	;; [unrolled: 1-line block ×3, first 2 shown]
	s_clause 0x3
	global_load_b128 v[112:115], v[124:125], off th:TH_LOAD_NT
	global_load_b128 v[96:99], v[124:125], off offset:512 th:TH_LOAD_NT
	global_load_b128 v[68:71], v[124:125], off offset:1024 th:TH_LOAD_NT
	;; [unrolled: 1-line block ×3, first 2 shown]
	s_wait_xcnt 0x0
	s_and_saveexec_b32 s15, s14
	s_cbranch_execz .LBB12_1157
; %bb.1028:                             ;   in Loop: Header=BB12_1027 Depth=2
	v_lshlrev_b32_e32 v1, 16, v80
	s_wait_loadcnt 0x8
	s_delay_alu instid0(VALU_DEP_1) | instskip(NEXT) | instid1(VALU_DEP_1)
	v_dual_max_num_f32 v1, v1, v1 :: v_dual_lshlrev_b32 v0, 16, v32
	v_max_num_f32_e32 v0, v0, v0
	s_delay_alu instid0(VALU_DEP_1) | instskip(NEXT) | instid1(VALU_DEP_1)
	v_dual_min_num_f32 v2, v1, v0 :: v_dual_max_num_f32 v0, v1, v0
	v_cndmask_b32_e32 v0, v0, v2, vcc_lo
                                        ; implicit-def: $vgpr2
	s_delay_alu instid0(VALU_DEP_1) | instskip(NEXT) | instid1(VALU_DEP_1)
	v_and_b32_e32 v1, 0x7f800000, v0
	v_cmp_ne_u32_e64 s7, 0x7f800000, v1
	s_and_saveexec_b32 s14, s7
	s_delay_alu instid0(SALU_CYCLE_1)
	s_xor_b32 s7, exec_lo, s14
; %bb.1029:                             ;   in Loop: Header=BB12_1027 Depth=2
	v_bfe_u32 v1, v0, 16, 1
	s_delay_alu instid0(VALU_DEP_1)
	v_add3_u32 v2, v0, v1, 0x7fff
                                        ; implicit-def: $vgpr0
; %bb.1030:                             ;   in Loop: Header=BB12_1027 Depth=2
	s_and_not1_saveexec_b32 s14, s7
; %bb.1031:                             ;   in Loop: Header=BB12_1027 Depth=2
	v_and_b32_e32 v1, 0xffff, v0
	v_or_b32_e32 v2, 0x10000, v0
	s_delay_alu instid0(VALU_DEP_2) | instskip(NEXT) | instid1(VALU_DEP_1)
	v_cmp_eq_u32_e64 s7, 0, v1
	v_cndmask_b32_e64 v2, v2, v0, s7
; %bb.1032:                             ;   in Loop: Header=BB12_1027 Depth=2
	s_or_b32 exec_lo, exec_lo, s14
	v_and_b32_e32 v0, 0xffff0000, v32
	v_and_b32_e32 v1, 0xffff0000, v80
	s_delay_alu instid0(VALU_DEP_1) | instskip(NEXT) | instid1(VALU_DEP_1)
	v_dual_max_num_f32 v0, v0, v0 :: v_dual_max_num_f32 v1, v1, v1
	v_dual_min_num_f32 v3, v1, v0 :: v_dual_max_num_f32 v0, v1, v0
	s_delay_alu instid0(VALU_DEP_1) | instskip(NEXT) | instid1(VALU_DEP_1)
	v_cndmask_b32_e32 v0, v0, v3, vcc_lo
                                        ; implicit-def: $vgpr3
	v_and_b32_e32 v1, 0x7f800000, v0
	s_delay_alu instid0(VALU_DEP_1) | instskip(SKIP_1) | instid1(SALU_CYCLE_1)
	v_cmp_ne_u32_e64 s7, 0x7f800000, v1
	s_and_saveexec_b32 s14, s7
	s_xor_b32 s7, exec_lo, s14
; %bb.1033:                             ;   in Loop: Header=BB12_1027 Depth=2
	v_bfe_u32 v1, v0, 16, 1
	s_delay_alu instid0(VALU_DEP_1)
	v_add3_u32 v3, v0, v1, 0x7fff
                                        ; implicit-def: $vgpr0
; %bb.1034:                             ;   in Loop: Header=BB12_1027 Depth=2
	s_and_not1_saveexec_b32 s14, s7
; %bb.1035:                             ;   in Loop: Header=BB12_1027 Depth=2
	v_and_b32_e32 v1, 0xffff, v0
	v_or_b32_e32 v3, 0x10000, v0
	s_delay_alu instid0(VALU_DEP_2) | instskip(NEXT) | instid1(VALU_DEP_1)
	v_cmp_eq_u32_e64 s7, 0, v1
	v_cndmask_b32_e64 v3, v3, v0, s7
; %bb.1036:                             ;   in Loop: Header=BB12_1027 Depth=2
	s_or_b32 exec_lo, exec_lo, s14
	v_lshlrev_b32_e32 v0, 16, v33
	s_delay_alu instid0(VALU_DEP_1) | instskip(NEXT) | instid1(VALU_DEP_1)
	v_dual_max_num_f32 v0, v0, v0 :: v_dual_lshlrev_b32 v1, 16, v81
	v_max_num_f32_e32 v1, v1, v1
	s_delay_alu instid0(VALU_DEP_1) | instskip(NEXT) | instid1(VALU_DEP_1)
	v_dual_min_num_f32 v30, v1, v0 :: v_dual_max_num_f32 v0, v1, v0
	v_cndmask_b32_e32 v0, v0, v30, vcc_lo
                                        ; implicit-def: $vgpr30
	s_delay_alu instid0(VALU_DEP_1) | instskip(NEXT) | instid1(VALU_DEP_1)
	v_and_b32_e32 v1, 0x7f800000, v0
	v_cmp_ne_u32_e64 s7, 0x7f800000, v1
	s_and_saveexec_b32 s14, s7
	s_delay_alu instid0(SALU_CYCLE_1)
	s_xor_b32 s7, exec_lo, s14
; %bb.1037:                             ;   in Loop: Header=BB12_1027 Depth=2
	v_bfe_u32 v1, v0, 16, 1
	s_delay_alu instid0(VALU_DEP_1)
	v_add3_u32 v30, v0, v1, 0x7fff
                                        ; implicit-def: $vgpr0
; %bb.1038:                             ;   in Loop: Header=BB12_1027 Depth=2
	s_and_not1_saveexec_b32 s14, s7
; %bb.1039:                             ;   in Loop: Header=BB12_1027 Depth=2
	v_and_b32_e32 v1, 0xffff, v0
	v_or_b32_e32 v30, 0x10000, v0
	s_delay_alu instid0(VALU_DEP_2) | instskip(NEXT) | instid1(VALU_DEP_1)
	v_cmp_eq_u32_e64 s7, 0, v1
	v_cndmask_b32_e64 v30, v30, v0, s7
; %bb.1040:                             ;   in Loop: Header=BB12_1027 Depth=2
	s_or_b32 exec_lo, exec_lo, s14
	v_and_b32_e32 v0, 0xffff0000, v33
	v_and_b32_e32 v1, 0xffff0000, v81
	s_delay_alu instid0(VALU_DEP_1) | instskip(NEXT) | instid1(VALU_DEP_1)
	v_dual_max_num_f32 v0, v0, v0 :: v_dual_max_num_f32 v1, v1, v1
	v_dual_min_num_f32 v31, v1, v0 :: v_dual_max_num_f32 v0, v1, v0
	s_delay_alu instid0(VALU_DEP_1) | instskip(NEXT) | instid1(VALU_DEP_1)
	v_cndmask_b32_e32 v0, v0, v31, vcc_lo
                                        ; implicit-def: $vgpr31
	v_and_b32_e32 v1, 0x7f800000, v0
	s_delay_alu instid0(VALU_DEP_1) | instskip(SKIP_1) | instid1(SALU_CYCLE_1)
	v_cmp_ne_u32_e64 s7, 0x7f800000, v1
	s_and_saveexec_b32 s14, s7
	s_xor_b32 s7, exec_lo, s14
; %bb.1041:                             ;   in Loop: Header=BB12_1027 Depth=2
	v_bfe_u32 v1, v0, 16, 1
	s_delay_alu instid0(VALU_DEP_1)
	v_add3_u32 v31, v0, v1, 0x7fff
                                        ; implicit-def: $vgpr0
; %bb.1042:                             ;   in Loop: Header=BB12_1027 Depth=2
	s_and_not1_saveexec_b32 s14, s7
; %bb.1043:                             ;   in Loop: Header=BB12_1027 Depth=2
	v_and_b32_e32 v1, 0xffff, v0
	v_or_b32_e32 v31, 0x10000, v0
	s_delay_alu instid0(VALU_DEP_2) | instskip(NEXT) | instid1(VALU_DEP_1)
	v_cmp_eq_u32_e64 s7, 0, v1
	v_cndmask_b32_e64 v31, v31, v0, s7
; %bb.1044:                             ;   in Loop: Header=BB12_1027 Depth=2
	s_or_b32 exec_lo, exec_lo, s14
	v_lshlrev_b32_e32 v1, 16, v82
	s_delay_alu instid0(VALU_DEP_1) | instskip(NEXT) | instid1(VALU_DEP_1)
	v_dual_max_num_f32 v1, v1, v1 :: v_dual_lshlrev_b32 v0, 16, v34
	v_max_num_f32_e32 v0, v0, v0
	s_delay_alu instid0(VALU_DEP_1) | instskip(NEXT) | instid1(VALU_DEP_1)
	v_dual_min_num_f32 v80, v1, v0 :: v_dual_max_num_f32 v0, v1, v0
	v_cndmask_b32_e32 v0, v0, v80, vcc_lo
                                        ; implicit-def: $vgpr80
	s_delay_alu instid0(VALU_DEP_1) | instskip(NEXT) | instid1(VALU_DEP_1)
	v_and_b32_e32 v1, 0x7f800000, v0
	v_cmp_ne_u32_e64 s7, 0x7f800000, v1
	s_and_saveexec_b32 s14, s7
	s_delay_alu instid0(SALU_CYCLE_1)
	s_xor_b32 s7, exec_lo, s14
; %bb.1045:                             ;   in Loop: Header=BB12_1027 Depth=2
	v_bfe_u32 v1, v0, 16, 1
	s_delay_alu instid0(VALU_DEP_1)
	v_add3_u32 v80, v0, v1, 0x7fff
                                        ; implicit-def: $vgpr0
; %bb.1046:                             ;   in Loop: Header=BB12_1027 Depth=2
	s_and_not1_saveexec_b32 s14, s7
; %bb.1047:                             ;   in Loop: Header=BB12_1027 Depth=2
	v_and_b32_e32 v1, 0xffff, v0
	v_or_b32_e32 v80, 0x10000, v0
	s_delay_alu instid0(VALU_DEP_2) | instskip(NEXT) | instid1(VALU_DEP_1)
	v_cmp_eq_u32_e64 s7, 0, v1
	v_cndmask_b32_e64 v80, v80, v0, s7
; %bb.1048:                             ;   in Loop: Header=BB12_1027 Depth=2
	s_or_b32 exec_lo, exec_lo, s14
	v_and_b32_e32 v0, 0xffff0000, v34
	v_and_b32_e32 v1, 0xffff0000, v82
                                        ; implicit-def: $vgpr82
	s_delay_alu instid0(VALU_DEP_1) | instskip(NEXT) | instid1(VALU_DEP_1)
	v_dual_max_num_f32 v0, v0, v0 :: v_dual_max_num_f32 v1, v1, v1
	v_dual_min_num_f32 v81, v1, v0 :: v_dual_max_num_f32 v0, v1, v0
	s_delay_alu instid0(VALU_DEP_1) | instskip(NEXT) | instid1(VALU_DEP_1)
	v_cndmask_b32_e32 v0, v0, v81, vcc_lo
	v_and_b32_e32 v1, 0x7f800000, v0
	s_delay_alu instid0(VALU_DEP_1) | instskip(SKIP_1) | instid1(SALU_CYCLE_1)
	v_cmp_ne_u32_e64 s7, 0x7f800000, v1
	s_and_saveexec_b32 s14, s7
	s_xor_b32 s7, exec_lo, s14
; %bb.1049:                             ;   in Loop: Header=BB12_1027 Depth=2
	v_bfe_u32 v1, v0, 16, 1
	s_delay_alu instid0(VALU_DEP_1)
	v_add3_u32 v82, v0, v1, 0x7fff
                                        ; implicit-def: $vgpr0
; %bb.1050:                             ;   in Loop: Header=BB12_1027 Depth=2
	s_and_not1_saveexec_b32 s14, s7
; %bb.1051:                             ;   in Loop: Header=BB12_1027 Depth=2
	v_and_b32_e32 v1, 0xffff, v0
	v_or_b32_e32 v81, 0x10000, v0
	s_delay_alu instid0(VALU_DEP_2) | instskip(NEXT) | instid1(VALU_DEP_1)
	v_cmp_eq_u32_e64 s7, 0, v1
	v_cndmask_b32_e64 v82, v81, v0, s7
; %bb.1052:                             ;   in Loop: Header=BB12_1027 Depth=2
	s_or_b32 exec_lo, exec_lo, s14
	v_lshlrev_b32_e32 v1, 16, v83
	v_lshlrev_b32_e32 v0, 16, v35
                                        ; implicit-def: $vgpr42
	s_delay_alu instid0(VALU_DEP_1) | instskip(NEXT) | instid1(VALU_DEP_1)
	v_dual_max_num_f32 v1, v1, v1 :: v_dual_max_num_f32 v0, v0, v0
	v_dual_min_num_f32 v81, v1, v0 :: v_dual_max_num_f32 v0, v1, v0
	s_delay_alu instid0(VALU_DEP_1) | instskip(NEXT) | instid1(VALU_DEP_1)
	v_cndmask_b32_e32 v0, v0, v81, vcc_lo
	v_and_b32_e32 v1, 0x7f800000, v0
	s_delay_alu instid0(VALU_DEP_1) | instskip(SKIP_1) | instid1(SALU_CYCLE_1)
	v_cmp_ne_u32_e64 s7, 0x7f800000, v1
	s_and_saveexec_b32 s14, s7
	s_xor_b32 s7, exec_lo, s14
; %bb.1053:                             ;   in Loop: Header=BB12_1027 Depth=2
	v_bfe_u32 v1, v0, 16, 1
	s_delay_alu instid0(VALU_DEP_1)
	v_add3_u32 v42, v0, v1, 0x7fff
                                        ; implicit-def: $vgpr0
; %bb.1054:                             ;   in Loop: Header=BB12_1027 Depth=2
	s_and_not1_saveexec_b32 s14, s7
; %bb.1055:                             ;   in Loop: Header=BB12_1027 Depth=2
	v_and_b32_e32 v1, 0xffff, v0
	v_or_b32_e32 v81, 0x10000, v0
	s_delay_alu instid0(VALU_DEP_2) | instskip(NEXT) | instid1(VALU_DEP_1)
	v_cmp_eq_u32_e64 s7, 0, v1
	v_cndmask_b32_e64 v42, v81, v0, s7
; %bb.1056:                             ;   in Loop: Header=BB12_1027 Depth=2
	s_or_b32 exec_lo, exec_lo, s14
	v_and_b32_e32 v0, 0xffff0000, v35
	v_and_b32_e32 v1, 0xffff0000, v83
	s_delay_alu instid0(VALU_DEP_1) | instskip(NEXT) | instid1(VALU_DEP_1)
	v_dual_max_num_f32 v0, v0, v0 :: v_dual_max_num_f32 v1, v1, v1
	v_dual_min_num_f32 v81, v1, v0 :: v_dual_max_num_f32 v0, v1, v0
	s_delay_alu instid0(VALU_DEP_1) | instskip(NEXT) | instid1(VALU_DEP_1)
	v_cndmask_b32_e32 v1, v0, v81, vcc_lo
	v_and_b32_e32 v0, 0x7f800000, v1
	s_delay_alu instid0(VALU_DEP_1) | instskip(SKIP_1) | instid1(SALU_CYCLE_1)
	v_cmp_ne_u32_e64 s7, 0x7f800000, v0
                                        ; implicit-def: $vgpr0
	s_and_saveexec_b32 s14, s7
	s_xor_b32 s7, exec_lo, s14
; %bb.1057:                             ;   in Loop: Header=BB12_1027 Depth=2
	v_bfe_u32 v0, v1, 16, 1
	s_delay_alu instid0(VALU_DEP_1)
	v_add3_u32 v0, v1, v0, 0x7fff
                                        ; implicit-def: $vgpr1
; %bb.1058:                             ;   in Loop: Header=BB12_1027 Depth=2
	s_and_not1_saveexec_b32 s14, s7
; %bb.1059:                             ;   in Loop: Header=BB12_1027 Depth=2
	v_and_b32_e32 v0, 0xffff, v1
	v_or_b32_e32 v81, 0x10000, v1
	s_delay_alu instid0(VALU_DEP_2) | instskip(NEXT) | instid1(VALU_DEP_1)
	v_cmp_eq_u32_e64 s7, 0, v0
	v_cndmask_b32_e64 v0, v81, v1, s7
; %bb.1060:                             ;   in Loop: Header=BB12_1027 Depth=2
	s_or_b32 exec_lo, exec_lo, s14
	v_dual_lshlrev_b32 v1, 16, v22 :: v_dual_lshlrev_b32 v81, 16, v36
	s_delay_alu instid0(VALU_DEP_1) | instskip(NEXT) | instid1(VALU_DEP_2)
	v_max_num_f32_e32 v1, v1, v1
	v_max_num_f32_e32 v81, v81, v81
	s_delay_alu instid0(VALU_DEP_1) | instskip(NEXT) | instid1(VALU_DEP_1)
	v_dual_min_num_f32 v83, v81, v1 :: v_dual_max_num_f32 v1, v81, v1
	v_cndmask_b32_e32 v81, v1, v83, vcc_lo
	s_delay_alu instid0(VALU_DEP_1) | instskip(NEXT) | instid1(VALU_DEP_1)
	v_and_b32_e32 v1, 0x7f800000, v81
	v_cmp_ne_u32_e64 s7, 0x7f800000, v1
                                        ; implicit-def: $vgpr1
	s_and_saveexec_b32 s14, s7
	s_delay_alu instid0(SALU_CYCLE_1)
	s_xor_b32 s7, exec_lo, s14
; %bb.1061:                             ;   in Loop: Header=BB12_1027 Depth=2
	v_bfe_u32 v1, v81, 16, 1
	s_delay_alu instid0(VALU_DEP_1)
	v_add3_u32 v1, v81, v1, 0x7fff
                                        ; implicit-def: $vgpr81
; %bb.1062:                             ;   in Loop: Header=BB12_1027 Depth=2
	s_and_not1_saveexec_b32 s14, s7
; %bb.1063:                             ;   in Loop: Header=BB12_1027 Depth=2
	v_and_b32_e32 v1, 0xffff, v81
	v_or_b32_e32 v83, 0x10000, v81
	s_delay_alu instid0(VALU_DEP_2) | instskip(NEXT) | instid1(VALU_DEP_1)
	v_cmp_eq_u32_e64 s7, 0, v1
	v_cndmask_b32_e64 v1, v83, v81, s7
; %bb.1064:                             ;   in Loop: Header=BB12_1027 Depth=2
	s_or_b32 exec_lo, exec_lo, s14
	v_and_b32_e32 v81, 0xffff0000, v22
	v_and_b32_e32 v36, 0xffff0000, v36
	s_delay_alu instid0(VALU_DEP_1) | instskip(NEXT) | instid1(VALU_DEP_1)
	v_dual_max_num_f32 v81, v81, v81 :: v_dual_max_num_f32 v36, v36, v36
	v_dual_min_num_f32 v83, v36, v81 :: v_dual_max_num_f32 v36, v36, v81
	s_delay_alu instid0(VALU_DEP_1) | instskip(NEXT) | instid1(VALU_DEP_1)
	v_cndmask_b32_e32 v81, v36, v83, vcc_lo
	v_and_b32_e32 v36, 0x7f800000, v81
	s_delay_alu instid0(VALU_DEP_1) | instskip(SKIP_1) | instid1(SALU_CYCLE_1)
	v_cmp_ne_u32_e64 s7, 0x7f800000, v36
                                        ; implicit-def: $vgpr36
	s_and_saveexec_b32 s14, s7
	s_xor_b32 s7, exec_lo, s14
; %bb.1065:                             ;   in Loop: Header=BB12_1027 Depth=2
	v_bfe_u32 v36, v81, 16, 1
	s_delay_alu instid0(VALU_DEP_1)
	v_add3_u32 v36, v81, v36, 0x7fff
                                        ; implicit-def: $vgpr81
; %bb.1066:                             ;   in Loop: Header=BB12_1027 Depth=2
	s_and_not1_saveexec_b32 s14, s7
; %bb.1067:                             ;   in Loop: Header=BB12_1027 Depth=2
	v_and_b32_e32 v36, 0xffff, v81
	v_or_b32_e32 v83, 0x10000, v81
	s_delay_alu instid0(VALU_DEP_2) | instskip(NEXT) | instid1(VALU_DEP_1)
	v_cmp_eq_u32_e64 s7, 0, v36
	v_cndmask_b32_e64 v36, v83, v81, s7
; %bb.1068:                             ;   in Loop: Header=BB12_1027 Depth=2
	s_or_b32 exec_lo, exec_lo, s14
	v_dual_lshlrev_b32 v81, 16, v23 :: v_dual_lshlrev_b32 v83, 16, v37
	s_delay_alu instid0(VALU_DEP_1) | instskip(NEXT) | instid1(VALU_DEP_1)
	v_dual_max_num_f32 v81, v81, v81 :: v_dual_max_num_f32 v83, v83, v83
	v_dual_min_num_f32 v116, v83, v81 :: v_dual_max_num_f32 v81, v83, v81
	s_delay_alu instid0(VALU_DEP_1) | instskip(NEXT) | instid1(VALU_DEP_1)
	v_cndmask_b32_e32 v83, v81, v116, vcc_lo
	v_and_b32_e32 v81, 0x7f800000, v83
	s_delay_alu instid0(VALU_DEP_1) | instskip(SKIP_1) | instid1(SALU_CYCLE_1)
	v_cmp_ne_u32_e64 s7, 0x7f800000, v81
                                        ; implicit-def: $vgpr81
	s_and_saveexec_b32 s14, s7
	s_xor_b32 s7, exec_lo, s14
; %bb.1069:                             ;   in Loop: Header=BB12_1027 Depth=2
	v_bfe_u32 v81, v83, 16, 1
	s_delay_alu instid0(VALU_DEP_1)
	v_add3_u32 v81, v83, v81, 0x7fff
                                        ; implicit-def: $vgpr83
; %bb.1070:                             ;   in Loop: Header=BB12_1027 Depth=2
	s_and_not1_saveexec_b32 s14, s7
; %bb.1071:                             ;   in Loop: Header=BB12_1027 Depth=2
	v_and_b32_e32 v81, 0xffff, v83
	v_or_b32_e32 v116, 0x10000, v83
	s_delay_alu instid0(VALU_DEP_2) | instskip(NEXT) | instid1(VALU_DEP_1)
	v_cmp_eq_u32_e64 s7, 0, v81
	v_cndmask_b32_e64 v81, v116, v83, s7
; %bb.1072:                             ;   in Loop: Header=BB12_1027 Depth=2
	s_or_b32 exec_lo, exec_lo, s14
	v_and_b32_e32 v83, 0xffff0000, v23
	v_and_b32_e32 v37, 0xffff0000, v37
	s_delay_alu instid0(VALU_DEP_1) | instskip(NEXT) | instid1(VALU_DEP_1)
	v_dual_max_num_f32 v83, v83, v83 :: v_dual_max_num_f32 v37, v37, v37
	v_dual_min_num_f32 v116, v37, v83 :: v_dual_max_num_f32 v37, v37, v83
	s_delay_alu instid0(VALU_DEP_1) | instskip(NEXT) | instid1(VALU_DEP_1)
	v_cndmask_b32_e32 v83, v37, v116, vcc_lo
	v_and_b32_e32 v37, 0x7f800000, v83
	s_delay_alu instid0(VALU_DEP_1) | instskip(SKIP_1) | instid1(SALU_CYCLE_1)
	v_cmp_ne_u32_e64 s7, 0x7f800000, v37
                                        ; implicit-def: $vgpr37
	s_and_saveexec_b32 s14, s7
	s_xor_b32 s7, exec_lo, s14
; %bb.1073:                             ;   in Loop: Header=BB12_1027 Depth=2
	v_bfe_u32 v37, v83, 16, 1
	s_delay_alu instid0(VALU_DEP_1)
	v_add3_u32 v37, v83, v37, 0x7fff
                                        ; implicit-def: $vgpr83
; %bb.1074:                             ;   in Loop: Header=BB12_1027 Depth=2
	s_and_not1_saveexec_b32 s14, s7
; %bb.1075:                             ;   in Loop: Header=BB12_1027 Depth=2
	v_and_b32_e32 v37, 0xffff, v83
	v_or_b32_e32 v116, 0x10000, v83
	s_delay_alu instid0(VALU_DEP_2) | instskip(NEXT) | instid1(VALU_DEP_1)
	v_cmp_eq_u32_e64 s7, 0, v37
	v_cndmask_b32_e64 v37, v116, v83, s7
; %bb.1076:                             ;   in Loop: Header=BB12_1027 Depth=2
	s_or_b32 exec_lo, exec_lo, s14
	v_dual_lshlrev_b32 v83, 16, v24 :: v_dual_lshlrev_b32 v116, 16, v38
	s_delay_alu instid0(VALU_DEP_1) | instskip(NEXT) | instid1(VALU_DEP_1)
	v_dual_max_num_f32 v83, v83, v83 :: v_dual_max_num_f32 v116, v116, v116
	v_dual_min_num_f32 v117, v116, v83 :: v_dual_max_num_f32 v83, v116, v83
	s_delay_alu instid0(VALU_DEP_1) | instskip(NEXT) | instid1(VALU_DEP_1)
	v_cndmask_b32_e32 v116, v83, v117, vcc_lo
	v_and_b32_e32 v83, 0x7f800000, v116
	s_delay_alu instid0(VALU_DEP_1) | instskip(SKIP_1) | instid1(SALU_CYCLE_1)
	v_cmp_ne_u32_e64 s7, 0x7f800000, v83
                                        ; implicit-def: $vgpr83
	s_and_saveexec_b32 s14, s7
	s_xor_b32 s7, exec_lo, s14
; %bb.1077:                             ;   in Loop: Header=BB12_1027 Depth=2
	v_bfe_u32 v83, v116, 16, 1
	s_delay_alu instid0(VALU_DEP_1)
	v_add3_u32 v83, v116, v83, 0x7fff
                                        ; implicit-def: $vgpr116
; %bb.1078:                             ;   in Loop: Header=BB12_1027 Depth=2
	s_and_not1_saveexec_b32 s14, s7
; %bb.1079:                             ;   in Loop: Header=BB12_1027 Depth=2
	v_and_b32_e32 v83, 0xffff, v116
	v_or_b32_e32 v117, 0x10000, v116
	s_delay_alu instid0(VALU_DEP_2) | instskip(NEXT) | instid1(VALU_DEP_1)
	v_cmp_eq_u32_e64 s7, 0, v83
	v_cndmask_b32_e64 v83, v117, v116, s7
; %bb.1080:                             ;   in Loop: Header=BB12_1027 Depth=2
	s_or_b32 exec_lo, exec_lo, s14
	v_and_b32_e32 v116, 0xffff0000, v24
	v_and_b32_e32 v38, 0xffff0000, v38
	s_delay_alu instid0(VALU_DEP_1) | instskip(NEXT) | instid1(VALU_DEP_1)
	v_dual_max_num_f32 v116, v116, v116 :: v_dual_max_num_f32 v38, v38, v38
	v_dual_min_num_f32 v117, v38, v116 :: v_dual_max_num_f32 v38, v38, v116
	s_delay_alu instid0(VALU_DEP_1) | instskip(NEXT) | instid1(VALU_DEP_1)
	v_cndmask_b32_e32 v116, v38, v117, vcc_lo
	v_and_b32_e32 v38, 0x7f800000, v116
	s_delay_alu instid0(VALU_DEP_1) | instskip(SKIP_1) | instid1(SALU_CYCLE_1)
	v_cmp_ne_u32_e64 s7, 0x7f800000, v38
                                        ; implicit-def: $vgpr38
	s_and_saveexec_b32 s14, s7
	s_xor_b32 s7, exec_lo, s14
; %bb.1081:                             ;   in Loop: Header=BB12_1027 Depth=2
	v_bfe_u32 v38, v116, 16, 1
	s_delay_alu instid0(VALU_DEP_1)
	v_add3_u32 v38, v116, v38, 0x7fff
                                        ; implicit-def: $vgpr116
; %bb.1082:                             ;   in Loop: Header=BB12_1027 Depth=2
	s_and_not1_saveexec_b32 s14, s7
; %bb.1083:                             ;   in Loop: Header=BB12_1027 Depth=2
	v_and_b32_e32 v38, 0xffff, v116
	v_or_b32_e32 v117, 0x10000, v116
	s_delay_alu instid0(VALU_DEP_2) | instskip(NEXT) | instid1(VALU_DEP_1)
	v_cmp_eq_u32_e64 s7, 0, v38
	v_cndmask_b32_e64 v38, v117, v116, s7
; %bb.1084:                             ;   in Loop: Header=BB12_1027 Depth=2
	s_or_b32 exec_lo, exec_lo, s14
	v_dual_lshlrev_b32 v116, 16, v25 :: v_dual_lshlrev_b32 v117, 16, v39
                                        ; implicit-def: $vgpr43
	s_delay_alu instid0(VALU_DEP_1) | instskip(NEXT) | instid1(VALU_DEP_1)
	v_dual_max_num_f32 v116, v116, v116 :: v_dual_max_num_f32 v117, v117, v117
	v_dual_min_num_f32 v118, v117, v116 :: v_dual_max_num_f32 v116, v117, v116
	s_delay_alu instid0(VALU_DEP_1) | instskip(NEXT) | instid1(VALU_DEP_1)
	v_cndmask_b32_e32 v116, v116, v118, vcc_lo
	v_and_b32_e32 v117, 0x7f800000, v116
	s_delay_alu instid0(VALU_DEP_1) | instskip(SKIP_1) | instid1(SALU_CYCLE_1)
	v_cmp_ne_u32_e64 s7, 0x7f800000, v117
	s_and_saveexec_b32 s14, s7
	s_xor_b32 s7, exec_lo, s14
; %bb.1085:                             ;   in Loop: Header=BB12_1027 Depth=2
	v_bfe_u32 v117, v116, 16, 1
	s_delay_alu instid0(VALU_DEP_1)
	v_add3_u32 v43, v116, v117, 0x7fff
                                        ; implicit-def: $vgpr116
; %bb.1086:                             ;   in Loop: Header=BB12_1027 Depth=2
	s_and_not1_saveexec_b32 s14, s7
; %bb.1087:                             ;   in Loop: Header=BB12_1027 Depth=2
	v_and_b32_e32 v117, 0xffff, v116
	v_or_b32_e32 v118, 0x10000, v116
	s_delay_alu instid0(VALU_DEP_2) | instskip(NEXT) | instid1(VALU_DEP_1)
	v_cmp_eq_u32_e64 s7, 0, v117
	v_cndmask_b32_e64 v43, v118, v116, s7
; %bb.1088:                             ;   in Loop: Header=BB12_1027 Depth=2
	s_or_b32 exec_lo, exec_lo, s14
	v_and_b32_e32 v116, 0xffff0000, v25
	v_and_b32_e32 v39, 0xffff0000, v39
	s_delay_alu instid0(VALU_DEP_1) | instskip(NEXT) | instid1(VALU_DEP_1)
	v_dual_max_num_f32 v116, v116, v116 :: v_dual_max_num_f32 v39, v39, v39
	v_dual_min_num_f32 v117, v39, v116 :: v_dual_max_num_f32 v39, v39, v116
	s_delay_alu instid0(VALU_DEP_1) | instskip(NEXT) | instid1(VALU_DEP_1)
	v_cndmask_b32_e32 v116, v39, v117, vcc_lo
	v_and_b32_e32 v39, 0x7f800000, v116
	s_delay_alu instid0(VALU_DEP_1) | instskip(SKIP_1) | instid1(SALU_CYCLE_1)
	v_cmp_ne_u32_e64 s7, 0x7f800000, v39
                                        ; implicit-def: $vgpr39
	s_and_saveexec_b32 s14, s7
	s_xor_b32 s7, exec_lo, s14
; %bb.1089:                             ;   in Loop: Header=BB12_1027 Depth=2
	v_bfe_u32 v39, v116, 16, 1
	s_delay_alu instid0(VALU_DEP_1)
	v_add3_u32 v39, v116, v39, 0x7fff
                                        ; implicit-def: $vgpr116
; %bb.1090:                             ;   in Loop: Header=BB12_1027 Depth=2
	s_and_not1_saveexec_b32 s14, s7
; %bb.1091:                             ;   in Loop: Header=BB12_1027 Depth=2
	v_and_b32_e32 v39, 0xffff, v116
	v_or_b32_e32 v117, 0x10000, v116
	s_delay_alu instid0(VALU_DEP_2) | instskip(NEXT) | instid1(VALU_DEP_1)
	v_cmp_eq_u32_e64 s7, 0, v39
	v_cndmask_b32_e64 v39, v117, v116, s7
; %bb.1092:                             ;   in Loop: Header=BB12_1027 Depth=2
	s_or_b32 exec_lo, exec_lo, s14
	v_lshlrev_b32_e32 v117, 16, v26
	v_lshlrev_b32_e32 v116, 16, v18
                                        ; implicit-def: $vgpr119
	s_delay_alu instid0(VALU_DEP_1) | instskip(NEXT) | instid1(VALU_DEP_1)
	v_dual_max_num_f32 v117, v117, v117 :: v_dual_max_num_f32 v116, v116, v116
	v_dual_min_num_f32 v118, v117, v116 :: v_dual_max_num_f32 v116, v117, v116
	s_delay_alu instid0(VALU_DEP_1) | instskip(NEXT) | instid1(VALU_DEP_1)
	v_cndmask_b32_e32 v116, v116, v118, vcc_lo
	v_and_b32_e32 v117, 0x7f800000, v116
	s_delay_alu instid0(VALU_DEP_1) | instskip(SKIP_1) | instid1(SALU_CYCLE_1)
	v_cmp_ne_u32_e64 s7, 0x7f800000, v117
	s_and_saveexec_b32 s14, s7
	s_xor_b32 s7, exec_lo, s14
; %bb.1093:                             ;   in Loop: Header=BB12_1027 Depth=2
	v_bfe_u32 v117, v116, 16, 1
	s_delay_alu instid0(VALU_DEP_1)
	v_add3_u32 v119, v116, v117, 0x7fff
                                        ; implicit-def: $vgpr116
; %bb.1094:                             ;   in Loop: Header=BB12_1027 Depth=2
	s_and_not1_saveexec_b32 s14, s7
; %bb.1095:                             ;   in Loop: Header=BB12_1027 Depth=2
	v_and_b32_e32 v117, 0xffff, v116
	v_or_b32_e32 v118, 0x10000, v116
	s_delay_alu instid0(VALU_DEP_2) | instskip(NEXT) | instid1(VALU_DEP_1)
	v_cmp_eq_u32_e64 s7, 0, v117
	v_cndmask_b32_e64 v119, v118, v116, s7
; %bb.1096:                             ;   in Loop: Header=BB12_1027 Depth=2
	s_or_b32 exec_lo, exec_lo, s14
	v_and_b32_e32 v116, 0xffff0000, v18
	v_and_b32_e32 v26, 0xffff0000, v26
	s_delay_alu instid0(VALU_DEP_1) | instskip(NEXT) | instid1(VALU_DEP_1)
	v_dual_max_num_f32 v116, v116, v116 :: v_dual_max_num_f32 v26, v26, v26
	v_dual_min_num_f32 v117, v26, v116 :: v_dual_max_num_f32 v26, v26, v116
	s_delay_alu instid0(VALU_DEP_1) | instskip(NEXT) | instid1(VALU_DEP_1)
	v_cndmask_b32_e32 v116, v26, v117, vcc_lo
	v_and_b32_e32 v26, 0x7f800000, v116
	s_delay_alu instid0(VALU_DEP_1) | instskip(SKIP_1) | instid1(SALU_CYCLE_1)
	v_cmp_ne_u32_e64 s7, 0x7f800000, v26
                                        ; implicit-def: $vgpr26
	s_and_saveexec_b32 s14, s7
	s_xor_b32 s7, exec_lo, s14
; %bb.1097:                             ;   in Loop: Header=BB12_1027 Depth=2
	v_bfe_u32 v26, v116, 16, 1
	s_delay_alu instid0(VALU_DEP_1)
	v_add3_u32 v26, v116, v26, 0x7fff
                                        ; implicit-def: $vgpr116
; %bb.1098:                             ;   in Loop: Header=BB12_1027 Depth=2
	s_and_not1_saveexec_b32 s14, s7
; %bb.1099:                             ;   in Loop: Header=BB12_1027 Depth=2
	v_and_b32_e32 v26, 0xffff, v116
	v_or_b32_e32 v117, 0x10000, v116
	s_delay_alu instid0(VALU_DEP_2) | instskip(NEXT) | instid1(VALU_DEP_1)
	v_cmp_eq_u32_e64 s7, 0, v26
	v_cndmask_b32_e64 v26, v117, v116, s7
; %bb.1100:                             ;   in Loop: Header=BB12_1027 Depth=2
	s_or_b32 exec_lo, exec_lo, s14
	v_lshlrev_b32_e32 v117, 16, v27
	v_lshlrev_b32_e32 v116, 16, v19
                                        ; implicit-def: $vgpr60
	s_delay_alu instid0(VALU_DEP_1) | instskip(NEXT) | instid1(VALU_DEP_1)
	v_dual_max_num_f32 v117, v117, v117 :: v_dual_max_num_f32 v116, v116, v116
	v_dual_min_num_f32 v118, v117, v116 :: v_dual_max_num_f32 v116, v117, v116
	s_delay_alu instid0(VALU_DEP_1) | instskip(NEXT) | instid1(VALU_DEP_1)
	v_cndmask_b32_e32 v116, v116, v118, vcc_lo
	v_and_b32_e32 v117, 0x7f800000, v116
	s_delay_alu instid0(VALU_DEP_1) | instskip(SKIP_1) | instid1(SALU_CYCLE_1)
	v_cmp_ne_u32_e64 s7, 0x7f800000, v117
	s_and_saveexec_b32 s14, s7
	s_xor_b32 s7, exec_lo, s14
; %bb.1101:                             ;   in Loop: Header=BB12_1027 Depth=2
	v_bfe_u32 v117, v116, 16, 1
	s_delay_alu instid0(VALU_DEP_1)
	v_add3_u32 v60, v116, v117, 0x7fff
                                        ; implicit-def: $vgpr116
; %bb.1102:                             ;   in Loop: Header=BB12_1027 Depth=2
	s_and_not1_saveexec_b32 s14, s7
; %bb.1103:                             ;   in Loop: Header=BB12_1027 Depth=2
	v_and_b32_e32 v117, 0xffff, v116
	v_or_b32_e32 v118, 0x10000, v116
	s_delay_alu instid0(VALU_DEP_2) | instskip(NEXT) | instid1(VALU_DEP_1)
	v_cmp_eq_u32_e64 s7, 0, v117
	v_cndmask_b32_e64 v60, v118, v116, s7
; %bb.1104:                             ;   in Loop: Header=BB12_1027 Depth=2
	s_or_b32 exec_lo, exec_lo, s14
	v_and_b32_e32 v116, 0xffff0000, v19
	v_and_b32_e32 v27, 0xffff0000, v27
	s_delay_alu instid0(VALU_DEP_1) | instskip(NEXT) | instid1(VALU_DEP_1)
	v_dual_max_num_f32 v116, v116, v116 :: v_dual_max_num_f32 v27, v27, v27
	v_dual_min_num_f32 v117, v27, v116 :: v_dual_max_num_f32 v27, v27, v116
	s_delay_alu instid0(VALU_DEP_1) | instskip(NEXT) | instid1(VALU_DEP_1)
	v_cndmask_b32_e32 v116, v27, v117, vcc_lo
	v_and_b32_e32 v27, 0x7f800000, v116
	s_delay_alu instid0(VALU_DEP_1) | instskip(SKIP_1) | instid1(SALU_CYCLE_1)
	v_cmp_ne_u32_e64 s7, 0x7f800000, v27
                                        ; implicit-def: $vgpr27
	s_and_saveexec_b32 s14, s7
	s_xor_b32 s7, exec_lo, s14
; %bb.1105:                             ;   in Loop: Header=BB12_1027 Depth=2
	v_bfe_u32 v27, v116, 16, 1
	s_delay_alu instid0(VALU_DEP_1)
	v_add3_u32 v27, v116, v27, 0x7fff
                                        ; implicit-def: $vgpr116
; %bb.1106:                             ;   in Loop: Header=BB12_1027 Depth=2
	s_and_not1_saveexec_b32 s14, s7
; %bb.1107:                             ;   in Loop: Header=BB12_1027 Depth=2
	v_and_b32_e32 v27, 0xffff, v116
	v_or_b32_e32 v117, 0x10000, v116
	s_delay_alu instid0(VALU_DEP_2) | instskip(NEXT) | instid1(VALU_DEP_1)
	v_cmp_eq_u32_e64 s7, 0, v27
	v_cndmask_b32_e64 v27, v117, v116, s7
; %bb.1108:                             ;   in Loop: Header=BB12_1027 Depth=2
	s_or_b32 exec_lo, exec_lo, s14
	v_lshlrev_b32_e32 v117, 16, v28
	s_delay_alu instid0(VALU_DEP_1) | instskip(NEXT) | instid1(VALU_DEP_1)
	v_dual_max_num_f32 v117, v117, v117 :: v_dual_lshlrev_b32 v116, 16, v20
	v_max_num_f32_e32 v116, v116, v116
	s_delay_alu instid0(VALU_DEP_1) | instskip(NEXT) | instid1(VALU_DEP_1)
	v_dual_min_num_f32 v118, v117, v116 :: v_dual_max_num_f32 v116, v117, v116
	v_cndmask_b32_e32 v116, v116, v118, vcc_lo
                                        ; implicit-def: $vgpr118
	s_delay_alu instid0(VALU_DEP_1) | instskip(NEXT) | instid1(VALU_DEP_1)
	v_and_b32_e32 v117, 0x7f800000, v116
	v_cmp_ne_u32_e64 s7, 0x7f800000, v117
	s_and_saveexec_b32 s14, s7
	s_delay_alu instid0(SALU_CYCLE_1)
	s_xor_b32 s7, exec_lo, s14
; %bb.1109:                             ;   in Loop: Header=BB12_1027 Depth=2
	v_bfe_u32 v117, v116, 16, 1
	s_delay_alu instid0(VALU_DEP_1)
	v_add3_u32 v118, v116, v117, 0x7fff
                                        ; implicit-def: $vgpr116
; %bb.1110:                             ;   in Loop: Header=BB12_1027 Depth=2
	s_and_not1_saveexec_b32 s14, s7
; %bb.1111:                             ;   in Loop: Header=BB12_1027 Depth=2
	v_and_b32_e32 v117, 0xffff, v116
	v_or_b32_e32 v118, 0x10000, v116
	s_delay_alu instid0(VALU_DEP_2) | instskip(NEXT) | instid1(VALU_DEP_1)
	v_cmp_eq_u32_e64 s7, 0, v117
	v_cndmask_b32_e64 v118, v118, v116, s7
; %bb.1112:                             ;   in Loop: Header=BB12_1027 Depth=2
	s_or_b32 exec_lo, exec_lo, s14
	v_and_b32_e32 v116, 0xffff0000, v20
	v_and_b32_e32 v28, 0xffff0000, v28
	s_delay_alu instid0(VALU_DEP_2) | instskip(NEXT) | instid1(VALU_DEP_2)
	v_max_num_f32_e32 v116, v116, v116
	v_max_num_f32_e32 v28, v28, v28
	s_delay_alu instid0(VALU_DEP_1) | instskip(NEXT) | instid1(VALU_DEP_1)
	v_dual_min_num_f32 v117, v28, v116 :: v_dual_max_num_f32 v28, v28, v116
	v_cndmask_b32_e32 v116, v28, v117, vcc_lo
	s_delay_alu instid0(VALU_DEP_1) | instskip(NEXT) | instid1(VALU_DEP_1)
	v_and_b32_e32 v28, 0x7f800000, v116
	v_cmp_ne_u32_e64 s7, 0x7f800000, v28
                                        ; implicit-def: $vgpr28
	s_and_saveexec_b32 s14, s7
	s_delay_alu instid0(SALU_CYCLE_1)
	s_xor_b32 s7, exec_lo, s14
; %bb.1113:                             ;   in Loop: Header=BB12_1027 Depth=2
	v_bfe_u32 v28, v116, 16, 1
	s_delay_alu instid0(VALU_DEP_1)
	v_add3_u32 v28, v116, v28, 0x7fff
                                        ; implicit-def: $vgpr116
; %bb.1114:                             ;   in Loop: Header=BB12_1027 Depth=2
	s_and_not1_saveexec_b32 s14, s7
; %bb.1115:                             ;   in Loop: Header=BB12_1027 Depth=2
	v_and_b32_e32 v28, 0xffff, v116
	v_or_b32_e32 v117, 0x10000, v116
	s_delay_alu instid0(VALU_DEP_2) | instskip(NEXT) | instid1(VALU_DEP_1)
	v_cmp_eq_u32_e64 s7, 0, v28
	v_cndmask_b32_e64 v28, v117, v116, s7
; %bb.1116:                             ;   in Loop: Header=BB12_1027 Depth=2
	s_or_b32 exec_lo, exec_lo, s14
	v_lshlrev_b32_e32 v116, 16, v21
	s_delay_alu instid0(VALU_DEP_1) | instskip(NEXT) | instid1(VALU_DEP_1)
	v_dual_max_num_f32 v116, v116, v116 :: v_dual_lshlrev_b32 v117, 16, v29
	v_max_num_f32_e32 v117, v117, v117
	s_delay_alu instid0(VALU_DEP_1) | instskip(NEXT) | instid1(VALU_DEP_1)
	v_dual_min_num_f32 v44, v117, v116 :: v_dual_max_num_f32 v116, v117, v116
	v_cndmask_b32_e32 v116, v116, v44, vcc_lo
                                        ; implicit-def: $vgpr44
	s_delay_alu instid0(VALU_DEP_1) | instskip(NEXT) | instid1(VALU_DEP_1)
	v_and_b32_e32 v117, 0x7f800000, v116
	v_cmp_ne_u32_e64 s7, 0x7f800000, v117
	s_and_saveexec_b32 s14, s7
	s_delay_alu instid0(SALU_CYCLE_1)
	s_xor_b32 s7, exec_lo, s14
; %bb.1117:                             ;   in Loop: Header=BB12_1027 Depth=2
	v_bfe_u32 v117, v116, 16, 1
	s_delay_alu instid0(VALU_DEP_1)
	v_add3_u32 v44, v116, v117, 0x7fff
                                        ; implicit-def: $vgpr116
; %bb.1118:                             ;   in Loop: Header=BB12_1027 Depth=2
	s_and_not1_saveexec_b32 s14, s7
; %bb.1119:                             ;   in Loop: Header=BB12_1027 Depth=2
	v_and_b32_e32 v117, 0xffff, v116
	v_or_b32_e32 v44, 0x10000, v116
	s_delay_alu instid0(VALU_DEP_2) | instskip(NEXT) | instid1(VALU_DEP_1)
	v_cmp_eq_u32_e64 s7, 0, v117
	v_cndmask_b32_e64 v44, v44, v116, s7
; %bb.1120:                             ;   in Loop: Header=BB12_1027 Depth=2
	s_or_b32 exec_lo, exec_lo, s14
	v_and_b32_e32 v116, 0xffff0000, v21
	v_and_b32_e32 v29, 0xffff0000, v29
	s_delay_alu instid0(VALU_DEP_1) | instskip(NEXT) | instid1(VALU_DEP_1)
	v_dual_max_num_f32 v116, v116, v116 :: v_dual_max_num_f32 v29, v29, v29
	v_dual_min_num_f32 v117, v29, v116 :: v_dual_max_num_f32 v29, v29, v116
	s_delay_alu instid0(VALU_DEP_1) | instskip(NEXT) | instid1(VALU_DEP_1)
	v_cndmask_b32_e32 v116, v29, v117, vcc_lo
	v_and_b32_e32 v29, 0x7f800000, v116
	s_delay_alu instid0(VALU_DEP_1) | instskip(SKIP_1) | instid1(SALU_CYCLE_1)
	v_cmp_ne_u32_e64 s7, 0x7f800000, v29
                                        ; implicit-def: $vgpr29
	s_and_saveexec_b32 s14, s7
	s_xor_b32 s7, exec_lo, s14
; %bb.1121:                             ;   in Loop: Header=BB12_1027 Depth=2
	v_bfe_u32 v29, v116, 16, 1
	s_delay_alu instid0(VALU_DEP_1)
	v_add3_u32 v29, v116, v29, 0x7fff
                                        ; implicit-def: $vgpr116
; %bb.1122:                             ;   in Loop: Header=BB12_1027 Depth=2
	s_and_not1_saveexec_b32 s14, s7
; %bb.1123:                             ;   in Loop: Header=BB12_1027 Depth=2
	v_and_b32_e32 v29, 0xffff, v116
	v_or_b32_e32 v117, 0x10000, v116
	s_delay_alu instid0(VALU_DEP_2) | instskip(NEXT) | instid1(VALU_DEP_1)
	v_cmp_eq_u32_e64 s7, 0, v29
	v_cndmask_b32_e64 v29, v117, v116, s7
; %bb.1124:                             ;   in Loop: Header=BB12_1027 Depth=2
	s_or_b32 exec_lo, exec_lo, s14
	v_lshlrev_b32_e32 v117, 16, v14
	s_delay_alu instid0(VALU_DEP_1) | instskip(NEXT) | instid1(VALU_DEP_1)
	v_dual_max_num_f32 v117, v117, v117 :: v_dual_lshlrev_b32 v116, 16, v10
	v_max_num_f32_e32 v116, v116, v116
	s_delay_alu instid0(VALU_DEP_1) | instskip(NEXT) | instid1(VALU_DEP_1)
	v_dual_min_num_f32 v45, v117, v116 :: v_dual_max_num_f32 v116, v117, v116
	v_cndmask_b32_e32 v116, v116, v45, vcc_lo
                                        ; implicit-def: $vgpr45
	s_delay_alu instid0(VALU_DEP_1) | instskip(NEXT) | instid1(VALU_DEP_1)
	v_and_b32_e32 v117, 0x7f800000, v116
	v_cmp_ne_u32_e64 s7, 0x7f800000, v117
	s_and_saveexec_b32 s14, s7
	s_delay_alu instid0(SALU_CYCLE_1)
	s_xor_b32 s7, exec_lo, s14
; %bb.1125:                             ;   in Loop: Header=BB12_1027 Depth=2
	v_bfe_u32 v117, v116, 16, 1
	s_delay_alu instid0(VALU_DEP_1)
	v_add3_u32 v45, v116, v117, 0x7fff
                                        ; implicit-def: $vgpr116
; %bb.1126:                             ;   in Loop: Header=BB12_1027 Depth=2
	s_and_not1_saveexec_b32 s14, s7
; %bb.1127:                             ;   in Loop: Header=BB12_1027 Depth=2
	v_and_b32_e32 v117, 0xffff, v116
	v_or_b32_e32 v45, 0x10000, v116
	s_delay_alu instid0(VALU_DEP_2) | instskip(NEXT) | instid1(VALU_DEP_1)
	v_cmp_eq_u32_e64 s7, 0, v117
	v_cndmask_b32_e64 v45, v45, v116, s7
; %bb.1128:                             ;   in Loop: Header=BB12_1027 Depth=2
	s_or_b32 exec_lo, exec_lo, s14
	v_and_b32_e32 v116, 0xffff0000, v10
	v_and_b32_e32 v14, 0xffff0000, v14
	s_delay_alu instid0(VALU_DEP_1) | instskip(NEXT) | instid1(VALU_DEP_1)
	v_dual_max_num_f32 v116, v116, v116 :: v_dual_max_num_f32 v14, v14, v14
	v_dual_min_num_f32 v117, v14, v116 :: v_dual_max_num_f32 v14, v14, v116
	s_delay_alu instid0(VALU_DEP_1) | instskip(NEXT) | instid1(VALU_DEP_1)
	v_cndmask_b32_e32 v116, v14, v117, vcc_lo
	v_and_b32_e32 v14, 0x7f800000, v116
	s_delay_alu instid0(VALU_DEP_1) | instskip(SKIP_1) | instid1(SALU_CYCLE_1)
	v_cmp_ne_u32_e64 s7, 0x7f800000, v14
                                        ; implicit-def: $vgpr14
	s_and_saveexec_b32 s14, s7
	s_xor_b32 s7, exec_lo, s14
; %bb.1129:                             ;   in Loop: Header=BB12_1027 Depth=2
	v_bfe_u32 v14, v116, 16, 1
	s_delay_alu instid0(VALU_DEP_1)
	v_add3_u32 v14, v116, v14, 0x7fff
                                        ; implicit-def: $vgpr116
; %bb.1130:                             ;   in Loop: Header=BB12_1027 Depth=2
	s_and_not1_saveexec_b32 s14, s7
; %bb.1131:                             ;   in Loop: Header=BB12_1027 Depth=2
	v_and_b32_e32 v14, 0xffff, v116
	v_or_b32_e32 v117, 0x10000, v116
	s_delay_alu instid0(VALU_DEP_2) | instskip(NEXT) | instid1(VALU_DEP_1)
	v_cmp_eq_u32_e64 s7, 0, v14
	v_cndmask_b32_e64 v14, v117, v116, s7
; %bb.1132:                             ;   in Loop: Header=BB12_1027 Depth=2
	s_or_b32 exec_lo, exec_lo, s14
	v_lshlrev_b32_e32 v117, 16, v15
	s_delay_alu instid0(VALU_DEP_1) | instskip(NEXT) | instid1(VALU_DEP_1)
	v_dual_max_num_f32 v117, v117, v117 :: v_dual_lshlrev_b32 v116, 16, v11
	v_max_num_f32_e32 v116, v116, v116
	s_delay_alu instid0(VALU_DEP_1) | instskip(NEXT) | instid1(VALU_DEP_1)
	v_dual_min_num_f32 v94, v117, v116 :: v_dual_max_num_f32 v116, v117, v116
	v_cndmask_b32_e32 v117, v116, v94, vcc_lo
	s_delay_alu instid0(VALU_DEP_1) | instskip(NEXT) | instid1(VALU_DEP_1)
	v_and_b32_e32 v116, 0x7f800000, v117
	v_cmp_ne_u32_e64 s7, 0x7f800000, v116
                                        ; implicit-def: $vgpr116
	s_and_saveexec_b32 s14, s7
	s_delay_alu instid0(SALU_CYCLE_1)
	s_xor_b32 s7, exec_lo, s14
; %bb.1133:                             ;   in Loop: Header=BB12_1027 Depth=2
	v_bfe_u32 v116, v117, 16, 1
	s_delay_alu instid0(VALU_DEP_1)
	v_add3_u32 v116, v117, v116, 0x7fff
                                        ; implicit-def: $vgpr117
; %bb.1134:                             ;   in Loop: Header=BB12_1027 Depth=2
	s_and_not1_saveexec_b32 s14, s7
; %bb.1135:                             ;   in Loop: Header=BB12_1027 Depth=2
	v_and_b32_e32 v116, 0xffff, v117
	v_or_b32_e32 v94, 0x10000, v117
	s_delay_alu instid0(VALU_DEP_2) | instskip(NEXT) | instid1(VALU_DEP_1)
	v_cmp_eq_u32_e64 s7, 0, v116
	v_cndmask_b32_e64 v116, v94, v117, s7
; %bb.1136:                             ;   in Loop: Header=BB12_1027 Depth=2
	s_or_b32 exec_lo, exec_lo, s14
	v_and_b32_e32 v117, 0xffff0000, v11
	v_and_b32_e32 v15, 0xffff0000, v15
	s_delay_alu instid0(VALU_DEP_1) | instskip(NEXT) | instid1(VALU_DEP_1)
	v_dual_max_num_f32 v117, v117, v117 :: v_dual_max_num_f32 v15, v15, v15
	v_dual_min_num_f32 v94, v15, v117 :: v_dual_max_num_f32 v15, v15, v117
	s_delay_alu instid0(VALU_DEP_1) | instskip(NEXT) | instid1(VALU_DEP_1)
	v_cndmask_b32_e32 v117, v15, v94, vcc_lo
	v_and_b32_e32 v15, 0x7f800000, v117
	s_delay_alu instid0(VALU_DEP_1) | instskip(SKIP_1) | instid1(SALU_CYCLE_1)
	v_cmp_ne_u32_e64 s7, 0x7f800000, v15
                                        ; implicit-def: $vgpr15
	s_and_saveexec_b32 s14, s7
	s_xor_b32 s7, exec_lo, s14
; %bb.1137:                             ;   in Loop: Header=BB12_1027 Depth=2
	v_bfe_u32 v15, v117, 16, 1
	s_delay_alu instid0(VALU_DEP_1)
	v_add3_u32 v15, v117, v15, 0x7fff
                                        ; implicit-def: $vgpr117
; %bb.1138:                             ;   in Loop: Header=BB12_1027 Depth=2
	s_and_not1_saveexec_b32 s14, s7
; %bb.1139:                             ;   in Loop: Header=BB12_1027 Depth=2
	v_and_b32_e32 v15, 0xffff, v117
	v_or_b32_e32 v94, 0x10000, v117
	s_delay_alu instid0(VALU_DEP_2) | instskip(NEXT) | instid1(VALU_DEP_1)
	v_cmp_eq_u32_e64 s7, 0, v15
	v_cndmask_b32_e64 v15, v94, v117, s7
; %bb.1140:                             ;   in Loop: Header=BB12_1027 Depth=2
	s_or_b32 exec_lo, exec_lo, s14
	v_lshlrev_b32_e32 v94, 16, v16
	s_delay_alu instid0(VALU_DEP_1) | instskip(NEXT) | instid1(VALU_DEP_1)
	v_dual_max_num_f32 v94, v94, v94 :: v_dual_lshlrev_b32 v117, 16, v12
	v_max_num_f32_e32 v117, v117, v117
	s_delay_alu instid0(VALU_DEP_1) | instskip(NEXT) | instid1(VALU_DEP_1)
	v_dual_min_num_f32 v95, v94, v117 :: v_dual_max_num_f32 v117, v94, v117
	v_cndmask_b32_e32 v94, v117, v95, vcc_lo
	s_delay_alu instid0(VALU_DEP_1) | instskip(NEXT) | instid1(VALU_DEP_1)
	v_and_b32_e32 v117, 0x7f800000, v94
	v_cmp_ne_u32_e64 s7, 0x7f800000, v117
                                        ; implicit-def: $vgpr117
	s_and_saveexec_b32 s14, s7
	s_delay_alu instid0(SALU_CYCLE_1)
	s_xor_b32 s7, exec_lo, s14
; %bb.1141:                             ;   in Loop: Header=BB12_1027 Depth=2
	v_bfe_u32 v117, v94, 16, 1
	s_delay_alu instid0(VALU_DEP_1)
	v_add3_u32 v117, v94, v117, 0x7fff
                                        ; implicit-def: $vgpr94
; %bb.1142:                             ;   in Loop: Header=BB12_1027 Depth=2
	s_and_not1_saveexec_b32 s14, s7
; %bb.1143:                             ;   in Loop: Header=BB12_1027 Depth=2
	v_and_b32_e32 v117, 0xffff, v94
	v_or_b32_e32 v95, 0x10000, v94
	s_delay_alu instid0(VALU_DEP_2) | instskip(NEXT) | instid1(VALU_DEP_1)
	v_cmp_eq_u32_e64 s7, 0, v117
	v_cndmask_b32_e64 v117, v95, v94, s7
; %bb.1144:                             ;   in Loop: Header=BB12_1027 Depth=2
	s_or_b32 exec_lo, exec_lo, s14
	v_and_b32_e32 v94, 0xffff0000, v12
	v_and_b32_e32 v16, 0xffff0000, v16
	s_delay_alu instid0(VALU_DEP_1) | instskip(NEXT) | instid1(VALU_DEP_1)
	v_dual_max_num_f32 v94, v94, v94 :: v_dual_max_num_f32 v16, v16, v16
	v_dual_min_num_f32 v95, v16, v94 :: v_dual_max_num_f32 v16, v16, v94
	s_delay_alu instid0(VALU_DEP_1) | instskip(NEXT) | instid1(VALU_DEP_1)
	v_cndmask_b32_e32 v94, v16, v95, vcc_lo
	v_and_b32_e32 v16, 0x7f800000, v94
	s_delay_alu instid0(VALU_DEP_1) | instskip(SKIP_1) | instid1(SALU_CYCLE_1)
	v_cmp_ne_u32_e64 s7, 0x7f800000, v16
                                        ; implicit-def: $vgpr16
	s_and_saveexec_b32 s14, s7
	s_xor_b32 s7, exec_lo, s14
; %bb.1145:                             ;   in Loop: Header=BB12_1027 Depth=2
	v_bfe_u32 v16, v94, 16, 1
	s_delay_alu instid0(VALU_DEP_1)
	v_add3_u32 v16, v94, v16, 0x7fff
                                        ; implicit-def: $vgpr94
; %bb.1146:                             ;   in Loop: Header=BB12_1027 Depth=2
	s_and_not1_saveexec_b32 s14, s7
; %bb.1147:                             ;   in Loop: Header=BB12_1027 Depth=2
	v_and_b32_e32 v16, 0xffff, v94
	v_or_b32_e32 v95, 0x10000, v94
	s_delay_alu instid0(VALU_DEP_2) | instskip(NEXT) | instid1(VALU_DEP_1)
	v_cmp_eq_u32_e64 s7, 0, v16
	v_cndmask_b32_e64 v16, v95, v94, s7
; %bb.1148:                             ;   in Loop: Header=BB12_1027 Depth=2
	s_or_b32 exec_lo, exec_lo, s14
	v_lshlrev_b32_e32 v95, 16, v17
	s_delay_alu instid0(VALU_DEP_1) | instskip(NEXT) | instid1(VALU_DEP_1)
	v_dual_max_num_f32 v95, v95, v95 :: v_dual_lshlrev_b32 v94, 16, v13
	v_max_num_f32_e32 v94, v94, v94
	s_delay_alu instid0(VALU_DEP_1) | instskip(NEXT) | instid1(VALU_DEP_1)
	v_dual_min_num_f32 v88, v95, v94 :: v_dual_max_num_f32 v94, v95, v94
	v_cndmask_b32_e32 v95, v94, v88, vcc_lo
                                        ; implicit-def: $vgpr94
	s_delay_alu instid0(VALU_DEP_1) | instskip(NEXT) | instid1(VALU_DEP_1)
	v_and_b32_e32 v88, 0x7f800000, v95
	v_cmp_ne_u32_e64 s7, 0x7f800000, v88
	s_and_saveexec_b32 s14, s7
	s_delay_alu instid0(SALU_CYCLE_1)
	s_xor_b32 s7, exec_lo, s14
; %bb.1149:                             ;   in Loop: Header=BB12_1027 Depth=2
	v_bfe_u32 v88, v95, 16, 1
	s_delay_alu instid0(VALU_DEP_1)
	v_add3_u32 v94, v95, v88, 0x7fff
                                        ; implicit-def: $vgpr95
; %bb.1150:                             ;   in Loop: Header=BB12_1027 Depth=2
	s_and_not1_saveexec_b32 s14, s7
; %bb.1151:                             ;   in Loop: Header=BB12_1027 Depth=2
	v_and_b32_e32 v88, 0xffff, v95
	v_or_b32_e32 v94, 0x10000, v95
	s_delay_alu instid0(VALU_DEP_2) | instskip(NEXT) | instid1(VALU_DEP_1)
	v_cmp_eq_u32_e64 s7, 0, v88
	v_cndmask_b32_e64 v94, v94, v95, s7
; %bb.1152:                             ;   in Loop: Header=BB12_1027 Depth=2
	s_or_b32 exec_lo, exec_lo, s14
	v_and_b32_e32 v88, 0xffff0000, v13
	v_and_b32_e32 v17, 0xffff0000, v17
	s_delay_alu instid0(VALU_DEP_1) | instskip(NEXT) | instid1(VALU_DEP_1)
	v_dual_max_num_f32 v88, v88, v88 :: v_dual_max_num_f32 v17, v17, v17
	v_dual_min_num_f32 v95, v17, v88 :: v_dual_max_num_f32 v17, v17, v88
	s_delay_alu instid0(VALU_DEP_1) | instskip(NEXT) | instid1(VALU_DEP_1)
	v_cndmask_b32_e32 v95, v17, v95, vcc_lo
	v_and_b32_e32 v17, 0x7f800000, v95
	s_delay_alu instid0(VALU_DEP_1) | instskip(SKIP_1) | instid1(SALU_CYCLE_1)
	v_cmp_ne_u32_e64 s7, 0x7f800000, v17
                                        ; implicit-def: $vgpr17
	s_and_saveexec_b32 s14, s7
	s_xor_b32 s7, exec_lo, s14
; %bb.1153:                             ;   in Loop: Header=BB12_1027 Depth=2
	v_bfe_u32 v17, v95, 16, 1
	s_delay_alu instid0(VALU_DEP_1)
	v_add3_u32 v17, v95, v17, 0x7fff
                                        ; implicit-def: $vgpr95
; %bb.1154:                             ;   in Loop: Header=BB12_1027 Depth=2
	s_and_not1_saveexec_b32 s14, s7
; %bb.1155:                             ;   in Loop: Header=BB12_1027 Depth=2
	v_and_b32_e32 v17, 0xffff, v95
	v_or_b32_e32 v88, 0x10000, v95
	s_delay_alu instid0(VALU_DEP_2) | instskip(NEXT) | instid1(VALU_DEP_1)
	v_cmp_eq_u32_e64 s7, 0, v17
	v_cndmask_b32_e64 v17, v88, v95, s7
; %bb.1156:                             ;   in Loop: Header=BB12_1027 Depth=2
	s_or_b32 exec_lo, exec_lo, s14
	v_lshrrev_b32_e32 v1, 16, v1
	v_dual_lshrrev_b32 v81, 16, v81 :: v_dual_lshrrev_b32 v30, 16, v30
	v_dual_lshrrev_b32 v2, 16, v2 :: v_dual_lshrrev_b32 v60, 16, v60
	v_lshrrev_b32_e32 v119, 16, v119
	s_delay_alu instid0(VALU_DEP_4) | instskip(SKIP_4) | instid1(VALU_DEP_4)
	v_and_or_b32 v36, 0xffff0000, v36, v1
	v_lshrrev_b32_e32 v1, 16, v83
	v_and_or_b32 v37, 0xffff0000, v37, v81
	v_dual_lshrrev_b32 v81, 16, v43 :: v_dual_lshrrev_b32 v83, 16, v80
	v_dual_lshrrev_b32 v118, 16, v118 :: v_dual_lshrrev_b32 v44, 16, v44
	v_and_or_b32 v38, 0xffff0000, v38, v1
	v_lshrrev_b32_e32 v1, 16, v42
	s_delay_alu instid0(VALU_DEP_4)
	v_and_or_b32 v39, 0xffff0000, v39, v81
	v_and_or_b32 v81, 0xffff0000, v31, v30
	;; [unrolled: 1-line block ×3, first 2 shown]
	v_dual_lshrrev_b32 v2, 16, v116 :: v_dual_lshrrev_b32 v3, 16, v45
	v_dual_lshrrev_b32 v30, 16, v117 :: v_dual_lshrrev_b32 v31, 16, v94
	v_and_or_b32 v82, 0xffff0000, v82, v83
	v_and_or_b32 v83, 0xffff0000, v0, v1
	;; [unrolled: 1-line block ×10, first 2 shown]
	s_clause 0x3
	global_store_b128 v[120:121], v[80:83], off th:TH_STORE_NT
	global_store_b128 v[120:121], v[36:39], off offset:512 th:TH_STORE_NT
	global_store_b128 v[120:121], v[26:29], off offset:1024 th:TH_STORE_NT
	;; [unrolled: 1-line block ×3, first 2 shown]
	s_wait_xcnt 0x0
	v_add_nc_u64_e32 v[120:121], v[120:121], v[90:91]
.LBB12_1157:                            ;   in Loop: Header=BB12_1027 Depth=2
	s_or_b32 exec_lo, exec_lo, s15
	v_sub_nc_u32_e32 v30, v89, v62
	v_add_nc_u64_e32 v[122:123], v[122:123], v[90:91]
	v_add_nc_u64_e32 v[2:3], v[124:125], v[90:91]
	s_delay_alu instid0(VALU_DEP_3)
	v_cmp_lt_i32_e64 s14, 0, v30
	s_and_saveexec_b32 s7, s14
	s_cbranch_execz .LBB12_1159
; %bb.1158:                             ;   in Loop: Header=BB12_1027 Depth=2
	s_clause 0x3
	global_load_b128 v[80:83], v[122:123], off th:TH_LOAD_NT
	global_load_b128 v[36:39], v[122:123], off offset:512 th:TH_LOAD_NT
	global_load_b128 v[26:29], v[122:123], off offset:1024 th:TH_LOAD_NT
	;; [unrolled: 1-line block ×3, first 2 shown]
	s_wait_loadcnt 0xc
	s_clause 0x3
	global_load_b128 v[32:35], v[2:3], off th:TH_LOAD_NT
	global_load_b128 v[22:25], v[2:3], off offset:512 th:TH_LOAD_NT
	global_load_b128 v[18:21], v[2:3], off offset:1024 th:TH_LOAD_NT
	;; [unrolled: 1-line block ×3, first 2 shown]
	s_wait_xcnt 0x4
	v_add_nc_u64_e32 v[122:123], 0x800, v[122:123]
	s_wait_xcnt 0x0
	v_add_nc_u64_e32 v[2:3], 0x800, v[2:3]
.LBB12_1159:                            ;   in Loop: Header=BB12_1027 Depth=2
	s_or_b32 exec_lo, exec_lo, s7
	s_wait_loadcnt 0x7
	v_lshlrev_b32_e32 v1, 16, v100
	s_wait_loadcnt 0x3
	s_delay_alu instid0(VALU_DEP_1) | instskip(NEXT) | instid1(VALU_DEP_1)
	v_dual_max_num_f32 v1, v1, v1 :: v_dual_lshlrev_b32 v0, 16, v112
	v_max_num_f32_e32 v0, v0, v0
	s_delay_alu instid0(VALU_DEP_1) | instskip(NEXT) | instid1(VALU_DEP_1)
	v_dual_min_num_f32 v31, v1, v0 :: v_dual_max_num_f32 v0, v1, v0
	v_cndmask_b32_e32 v0, v0, v31, vcc_lo
                                        ; implicit-def: $vgpr31
	s_delay_alu instid0(VALU_DEP_1) | instskip(NEXT) | instid1(VALU_DEP_1)
	v_and_b32_e32 v1, 0x7f800000, v0
	v_cmp_ne_u32_e64 s7, 0x7f800000, v1
	s_and_saveexec_b32 s15, s7
	s_delay_alu instid0(SALU_CYCLE_1)
	s_xor_b32 s7, exec_lo, s15
; %bb.1160:                             ;   in Loop: Header=BB12_1027 Depth=2
	v_bfe_u32 v1, v0, 16, 1
	s_delay_alu instid0(VALU_DEP_1)
	v_add3_u32 v31, v0, v1, 0x7fff
                                        ; implicit-def: $vgpr0
; %bb.1161:                             ;   in Loop: Header=BB12_1027 Depth=2
	s_and_not1_saveexec_b32 s15, s7
; %bb.1162:                             ;   in Loop: Header=BB12_1027 Depth=2
	v_and_b32_e32 v1, 0xffff, v0
	v_or_b32_e32 v31, 0x10000, v0
	s_delay_alu instid0(VALU_DEP_2) | instskip(NEXT) | instid1(VALU_DEP_1)
	v_cmp_eq_u32_e64 s7, 0, v1
	v_cndmask_b32_e64 v31, v31, v0, s7
; %bb.1163:                             ;   in Loop: Header=BB12_1027 Depth=2
	s_or_b32 exec_lo, exec_lo, s15
	v_and_b32_e32 v0, 0xffff0000, v112
	v_and_b32_e32 v1, 0xffff0000, v100
	s_delay_alu instid0(VALU_DEP_1) | instskip(NEXT) | instid1(VALU_DEP_1)
	v_dual_max_num_f32 v0, v0, v0 :: v_dual_max_num_f32 v1, v1, v1
	v_dual_min_num_f32 v100, v1, v0 :: v_dual_max_num_f32 v0, v1, v0
	s_delay_alu instid0(VALU_DEP_1) | instskip(NEXT) | instid1(VALU_DEP_1)
	v_cndmask_b32_e32 v0, v0, v100, vcc_lo
                                        ; implicit-def: $vgpr100
	v_and_b32_e32 v1, 0x7f800000, v0
	s_delay_alu instid0(VALU_DEP_1) | instskip(SKIP_1) | instid1(SALU_CYCLE_1)
	v_cmp_ne_u32_e64 s7, 0x7f800000, v1
	s_and_saveexec_b32 s15, s7
	s_xor_b32 s7, exec_lo, s15
; %bb.1164:                             ;   in Loop: Header=BB12_1027 Depth=2
	v_bfe_u32 v1, v0, 16, 1
	s_delay_alu instid0(VALU_DEP_1)
	v_add3_u32 v100, v0, v1, 0x7fff
                                        ; implicit-def: $vgpr0
; %bb.1165:                             ;   in Loop: Header=BB12_1027 Depth=2
	s_and_not1_saveexec_b32 s15, s7
; %bb.1166:                             ;   in Loop: Header=BB12_1027 Depth=2
	v_and_b32_e32 v1, 0xffff, v0
	v_or_b32_e32 v100, 0x10000, v0
	s_delay_alu instid0(VALU_DEP_2) | instskip(NEXT) | instid1(VALU_DEP_1)
	v_cmp_eq_u32_e64 s7, 0, v1
	v_cndmask_b32_e64 v100, v100, v0, s7
; %bb.1167:                             ;   in Loop: Header=BB12_1027 Depth=2
	s_or_b32 exec_lo, exec_lo, s15
	v_lshlrev_b32_e32 v0, 16, v113
	s_delay_alu instid0(VALU_DEP_1) | instskip(NEXT) | instid1(VALU_DEP_1)
	v_dual_max_num_f32 v0, v0, v0 :: v_dual_lshlrev_b32 v1, 16, v101
	v_max_num_f32_e32 v1, v1, v1
	s_delay_alu instid0(VALU_DEP_1) | instskip(NEXT) | instid1(VALU_DEP_1)
	v_dual_min_num_f32 v112, v1, v0 :: v_dual_max_num_f32 v0, v1, v0
	v_cndmask_b32_e32 v0, v0, v112, vcc_lo
                                        ; implicit-def: $vgpr112
	s_delay_alu instid0(VALU_DEP_1) | instskip(NEXT) | instid1(VALU_DEP_1)
	v_and_b32_e32 v1, 0x7f800000, v0
	v_cmp_ne_u32_e64 s7, 0x7f800000, v1
	s_and_saveexec_b32 s15, s7
	s_delay_alu instid0(SALU_CYCLE_1)
	s_xor_b32 s7, exec_lo, s15
; %bb.1168:                             ;   in Loop: Header=BB12_1027 Depth=2
	v_bfe_u32 v1, v0, 16, 1
	s_delay_alu instid0(VALU_DEP_1)
	v_add3_u32 v112, v0, v1, 0x7fff
                                        ; implicit-def: $vgpr0
; %bb.1169:                             ;   in Loop: Header=BB12_1027 Depth=2
	s_and_not1_saveexec_b32 s15, s7
; %bb.1170:                             ;   in Loop: Header=BB12_1027 Depth=2
	v_and_b32_e32 v1, 0xffff, v0
	v_or_b32_e32 v112, 0x10000, v0
	s_delay_alu instid0(VALU_DEP_2) | instskip(NEXT) | instid1(VALU_DEP_1)
	v_cmp_eq_u32_e64 s7, 0, v1
	v_cndmask_b32_e64 v112, v112, v0, s7
; %bb.1171:                             ;   in Loop: Header=BB12_1027 Depth=2
	s_or_b32 exec_lo, exec_lo, s15
	v_and_b32_e32 v0, 0xffff0000, v113
	v_and_b32_e32 v1, 0xffff0000, v101
	s_delay_alu instid0(VALU_DEP_1) | instskip(NEXT) | instid1(VALU_DEP_1)
	v_dual_max_num_f32 v0, v0, v0 :: v_dual_max_num_f32 v1, v1, v1
	v_dual_min_num_f32 v101, v1, v0 :: v_dual_max_num_f32 v0, v1, v0
	s_delay_alu instid0(VALU_DEP_1) | instskip(NEXT) | instid1(VALU_DEP_1)
	v_cndmask_b32_e32 v0, v0, v101, vcc_lo
                                        ; implicit-def: $vgpr101
	v_and_b32_e32 v1, 0x7f800000, v0
	s_delay_alu instid0(VALU_DEP_1) | instskip(SKIP_1) | instid1(SALU_CYCLE_1)
	v_cmp_ne_u32_e64 s7, 0x7f800000, v1
	s_and_saveexec_b32 s15, s7
	s_xor_b32 s7, exec_lo, s15
; %bb.1172:                             ;   in Loop: Header=BB12_1027 Depth=2
	v_bfe_u32 v1, v0, 16, 1
	s_delay_alu instid0(VALU_DEP_1)
	v_add3_u32 v101, v0, v1, 0x7fff
                                        ; implicit-def: $vgpr0
; %bb.1173:                             ;   in Loop: Header=BB12_1027 Depth=2
	s_and_not1_saveexec_b32 s15, s7
; %bb.1174:                             ;   in Loop: Header=BB12_1027 Depth=2
	v_and_b32_e32 v1, 0xffff, v0
	v_or_b32_e32 v101, 0x10000, v0
	s_delay_alu instid0(VALU_DEP_2) | instskip(NEXT) | instid1(VALU_DEP_1)
	v_cmp_eq_u32_e64 s7, 0, v1
	v_cndmask_b32_e64 v101, v101, v0, s7
; %bb.1175:                             ;   in Loop: Header=BB12_1027 Depth=2
	s_or_b32 exec_lo, exec_lo, s15
	v_lshlrev_b32_e32 v1, 16, v102
	s_delay_alu instid0(VALU_DEP_1) | instskip(NEXT) | instid1(VALU_DEP_1)
	v_dual_max_num_f32 v1, v1, v1 :: v_dual_lshlrev_b32 v0, 16, v114
	v_max_num_f32_e32 v0, v0, v0
	s_delay_alu instid0(VALU_DEP_1) | instskip(NEXT) | instid1(VALU_DEP_1)
	v_dual_min_num_f32 v113, v1, v0 :: v_dual_max_num_f32 v0, v1, v0
	v_cndmask_b32_e32 v0, v0, v113, vcc_lo
                                        ; implicit-def: $vgpr113
	s_delay_alu instid0(VALU_DEP_1) | instskip(NEXT) | instid1(VALU_DEP_1)
	v_and_b32_e32 v1, 0x7f800000, v0
	v_cmp_ne_u32_e64 s7, 0x7f800000, v1
	s_and_saveexec_b32 s15, s7
	s_delay_alu instid0(SALU_CYCLE_1)
	s_xor_b32 s7, exec_lo, s15
; %bb.1176:                             ;   in Loop: Header=BB12_1027 Depth=2
	v_bfe_u32 v1, v0, 16, 1
	s_delay_alu instid0(VALU_DEP_1)
	v_add3_u32 v113, v0, v1, 0x7fff
                                        ; implicit-def: $vgpr0
; %bb.1177:                             ;   in Loop: Header=BB12_1027 Depth=2
	s_and_not1_saveexec_b32 s15, s7
; %bb.1178:                             ;   in Loop: Header=BB12_1027 Depth=2
	v_and_b32_e32 v1, 0xffff, v0
	v_or_b32_e32 v113, 0x10000, v0
	s_delay_alu instid0(VALU_DEP_2) | instskip(NEXT) | instid1(VALU_DEP_1)
	v_cmp_eq_u32_e64 s7, 0, v1
	v_cndmask_b32_e64 v113, v113, v0, s7
; %bb.1179:                             ;   in Loop: Header=BB12_1027 Depth=2
	s_or_b32 exec_lo, exec_lo, s15
	v_and_b32_e32 v0, 0xffff0000, v114
	v_and_b32_e32 v1, 0xffff0000, v102
	s_delay_alu instid0(VALU_DEP_1) | instskip(NEXT) | instid1(VALU_DEP_1)
	v_dual_max_num_f32 v0, v0, v0 :: v_dual_max_num_f32 v1, v1, v1
	v_dual_min_num_f32 v102, v1, v0 :: v_dual_max_num_f32 v0, v1, v0
	s_delay_alu instid0(VALU_DEP_1) | instskip(NEXT) | instid1(VALU_DEP_1)
	v_cndmask_b32_e32 v0, v0, v102, vcc_lo
                                        ; implicit-def: $vgpr102
	v_and_b32_e32 v1, 0x7f800000, v0
	s_delay_alu instid0(VALU_DEP_1) | instskip(SKIP_1) | instid1(SALU_CYCLE_1)
	v_cmp_ne_u32_e64 s7, 0x7f800000, v1
	s_and_saveexec_b32 s15, s7
	s_xor_b32 s7, exec_lo, s15
; %bb.1180:                             ;   in Loop: Header=BB12_1027 Depth=2
	v_bfe_u32 v1, v0, 16, 1
	s_delay_alu instid0(VALU_DEP_1)
	v_add3_u32 v102, v0, v1, 0x7fff
                                        ; implicit-def: $vgpr0
; %bb.1181:                             ;   in Loop: Header=BB12_1027 Depth=2
	s_and_not1_saveexec_b32 s15, s7
; %bb.1182:                             ;   in Loop: Header=BB12_1027 Depth=2
	v_and_b32_e32 v1, 0xffff, v0
	v_or_b32_e32 v102, 0x10000, v0
	s_delay_alu instid0(VALU_DEP_2) | instskip(NEXT) | instid1(VALU_DEP_1)
	v_cmp_eq_u32_e64 s7, 0, v1
	v_cndmask_b32_e64 v102, v102, v0, s7
; %bb.1183:                             ;   in Loop: Header=BB12_1027 Depth=2
	s_or_b32 exec_lo, exec_lo, s15
	v_lshlrev_b32_e32 v1, 16, v103
	s_delay_alu instid0(VALU_DEP_1) | instskip(NEXT) | instid1(VALU_DEP_1)
	v_dual_max_num_f32 v1, v1, v1 :: v_dual_lshlrev_b32 v0, 16, v115
	v_max_num_f32_e32 v0, v0, v0
	s_delay_alu instid0(VALU_DEP_1) | instskip(NEXT) | instid1(VALU_DEP_1)
	v_dual_min_num_f32 v114, v1, v0 :: v_dual_max_num_f32 v0, v1, v0
	v_cndmask_b32_e32 v1, v0, v114, vcc_lo
	s_delay_alu instid0(VALU_DEP_1) | instskip(NEXT) | instid1(VALU_DEP_1)
	v_and_b32_e32 v0, 0x7f800000, v1
	v_cmp_ne_u32_e64 s7, 0x7f800000, v0
                                        ; implicit-def: $vgpr0
	s_and_saveexec_b32 s15, s7
	s_delay_alu instid0(SALU_CYCLE_1)
	s_xor_b32 s7, exec_lo, s15
; %bb.1184:                             ;   in Loop: Header=BB12_1027 Depth=2
	v_bfe_u32 v0, v1, 16, 1
	s_delay_alu instid0(VALU_DEP_1)
	v_add3_u32 v0, v1, v0, 0x7fff
                                        ; implicit-def: $vgpr1
; %bb.1185:                             ;   in Loop: Header=BB12_1027 Depth=2
	s_and_not1_saveexec_b32 s15, s7
; %bb.1186:                             ;   in Loop: Header=BB12_1027 Depth=2
	v_and_b32_e32 v0, 0xffff, v1
	v_or_b32_e32 v114, 0x10000, v1
	s_delay_alu instid0(VALU_DEP_2) | instskip(NEXT) | instid1(VALU_DEP_1)
	v_cmp_eq_u32_e64 s7, 0, v0
	v_cndmask_b32_e64 v0, v114, v1, s7
; %bb.1187:                             ;   in Loop: Header=BB12_1027 Depth=2
	s_or_b32 exec_lo, exec_lo, s15
	v_and_b32_e32 v1, 0xffff0000, v115
	v_and_b32_e32 v103, 0xffff0000, v103
	s_delay_alu instid0(VALU_DEP_1) | instskip(NEXT) | instid1(VALU_DEP_1)
	v_dual_max_num_f32 v1, v1, v1 :: v_dual_max_num_f32 v103, v103, v103
	v_dual_min_num_f32 v114, v103, v1 :: v_dual_max_num_f32 v1, v103, v1
	s_delay_alu instid0(VALU_DEP_1) | instskip(NEXT) | instid1(VALU_DEP_1)
	v_cndmask_b32_e32 v103, v1, v114, vcc_lo
	v_and_b32_e32 v1, 0x7f800000, v103
	s_delay_alu instid0(VALU_DEP_1) | instskip(SKIP_1) | instid1(SALU_CYCLE_1)
	v_cmp_ne_u32_e64 s7, 0x7f800000, v1
                                        ; implicit-def: $vgpr1
	s_and_saveexec_b32 s15, s7
	s_xor_b32 s7, exec_lo, s15
; %bb.1188:                             ;   in Loop: Header=BB12_1027 Depth=2
	v_bfe_u32 v1, v103, 16, 1
	s_delay_alu instid0(VALU_DEP_1)
	v_add3_u32 v1, v103, v1, 0x7fff
                                        ; implicit-def: $vgpr103
; %bb.1189:                             ;   in Loop: Header=BB12_1027 Depth=2
	s_and_not1_saveexec_b32 s15, s7
; %bb.1190:                             ;   in Loop: Header=BB12_1027 Depth=2
	v_and_b32_e32 v1, 0xffff, v103
	v_or_b32_e32 v114, 0x10000, v103
	s_delay_alu instid0(VALU_DEP_2) | instskip(NEXT) | instid1(VALU_DEP_1)
	v_cmp_eq_u32_e64 s7, 0, v1
	v_cndmask_b32_e64 v1, v114, v103, s7
; %bb.1191:                             ;   in Loop: Header=BB12_1027 Depth=2
	s_or_b32 exec_lo, exec_lo, s15
	v_lshlrev_b32_e32 v114, 16, v84
	s_wait_loadcnt 0x2
	s_delay_alu instid0(VALU_DEP_1) | instskip(NEXT) | instid1(VALU_DEP_1)
	v_dual_max_num_f32 v114, v114, v114 :: v_dual_lshlrev_b32 v103, 16, v96
	v_max_num_f32_e32 v103, v103, v103
	s_delay_alu instid0(VALU_DEP_1) | instskip(NEXT) | instid1(VALU_DEP_1)
	v_dual_min_num_f32 v115, v114, v103 :: v_dual_max_num_f32 v103, v114, v103
	v_cndmask_b32_e32 v114, v103, v115, vcc_lo
	s_delay_alu instid0(VALU_DEP_1) | instskip(NEXT) | instid1(VALU_DEP_1)
	v_and_b32_e32 v103, 0x7f800000, v114
	v_cmp_ne_u32_e64 s7, 0x7f800000, v103
                                        ; implicit-def: $vgpr103
	s_and_saveexec_b32 s15, s7
	s_delay_alu instid0(SALU_CYCLE_1)
	s_xor_b32 s7, exec_lo, s15
; %bb.1192:                             ;   in Loop: Header=BB12_1027 Depth=2
	v_bfe_u32 v103, v114, 16, 1
	s_delay_alu instid0(VALU_DEP_1)
	v_add3_u32 v103, v114, v103, 0x7fff
                                        ; implicit-def: $vgpr114
; %bb.1193:                             ;   in Loop: Header=BB12_1027 Depth=2
	s_and_not1_saveexec_b32 s15, s7
; %bb.1194:                             ;   in Loop: Header=BB12_1027 Depth=2
	v_and_b32_e32 v103, 0xffff, v114
	v_or_b32_e32 v115, 0x10000, v114
	s_delay_alu instid0(VALU_DEP_2) | instskip(NEXT) | instid1(VALU_DEP_1)
	v_cmp_eq_u32_e64 s7, 0, v103
	v_cndmask_b32_e64 v103, v115, v114, s7
; %bb.1195:                             ;   in Loop: Header=BB12_1027 Depth=2
	s_or_b32 exec_lo, exec_lo, s15
	v_and_b32_e32 v96, 0xffff0000, v96
	v_and_b32_e32 v84, 0xffff0000, v84
	s_delay_alu instid0(VALU_DEP_2) | instskip(NEXT) | instid1(VALU_DEP_2)
	v_max_num_f32_e32 v96, v96, v96
	v_max_num_f32_e32 v84, v84, v84
	s_delay_alu instid0(VALU_DEP_1) | instskip(NEXT) | instid1(VALU_DEP_1)
	v_dual_min_num_f32 v114, v84, v96 :: v_dual_max_num_f32 v84, v84, v96
	v_cndmask_b32_e32 v96, v84, v114, vcc_lo
	s_delay_alu instid0(VALU_DEP_1) | instskip(NEXT) | instid1(VALU_DEP_1)
	v_and_b32_e32 v84, 0x7f800000, v96
	v_cmp_ne_u32_e64 s7, 0x7f800000, v84
                                        ; implicit-def: $vgpr84
	s_and_saveexec_b32 s15, s7
	s_delay_alu instid0(SALU_CYCLE_1)
	s_xor_b32 s7, exec_lo, s15
; %bb.1196:                             ;   in Loop: Header=BB12_1027 Depth=2
	v_bfe_u32 v84, v96, 16, 1
	s_delay_alu instid0(VALU_DEP_1)
	v_add3_u32 v84, v96, v84, 0x7fff
                                        ; implicit-def: $vgpr96
; %bb.1197:                             ;   in Loop: Header=BB12_1027 Depth=2
	s_and_not1_saveexec_b32 s15, s7
; %bb.1198:                             ;   in Loop: Header=BB12_1027 Depth=2
	v_and_b32_e32 v84, 0xffff, v96
	v_or_b32_e32 v114, 0x10000, v96
	s_delay_alu instid0(VALU_DEP_2) | instskip(NEXT) | instid1(VALU_DEP_1)
	v_cmp_eq_u32_e64 s7, 0, v84
	v_cndmask_b32_e64 v84, v114, v96, s7
; %bb.1199:                             ;   in Loop: Header=BB12_1027 Depth=2
	s_or_b32 exec_lo, exec_lo, s15
	v_lshlrev_b32_e32 v114, 16, v85
	s_delay_alu instid0(VALU_DEP_1) | instskip(NEXT) | instid1(VALU_DEP_1)
	v_dual_lshlrev_b32 v96, 16, v97 :: v_dual_max_num_f32 v114, v114, v114
	v_max_num_f32_e32 v96, v96, v96
	s_delay_alu instid0(VALU_DEP_1) | instskip(NEXT) | instid1(VALU_DEP_1)
	v_dual_min_num_f32 v115, v114, v96 :: v_dual_max_num_f32 v96, v114, v96
	v_cndmask_b32_e32 v114, v96, v115, vcc_lo
	s_delay_alu instid0(VALU_DEP_1) | instskip(NEXT) | instid1(VALU_DEP_1)
	v_and_b32_e32 v96, 0x7f800000, v114
	v_cmp_ne_u32_e64 s7, 0x7f800000, v96
                                        ; implicit-def: $vgpr96
	s_and_saveexec_b32 s15, s7
	s_delay_alu instid0(SALU_CYCLE_1)
	s_xor_b32 s7, exec_lo, s15
; %bb.1200:                             ;   in Loop: Header=BB12_1027 Depth=2
	v_bfe_u32 v96, v114, 16, 1
	s_delay_alu instid0(VALU_DEP_1)
	v_add3_u32 v96, v114, v96, 0x7fff
                                        ; implicit-def: $vgpr114
; %bb.1201:                             ;   in Loop: Header=BB12_1027 Depth=2
	s_and_not1_saveexec_b32 s15, s7
; %bb.1202:                             ;   in Loop: Header=BB12_1027 Depth=2
	v_and_b32_e32 v96, 0xffff, v114
	v_or_b32_e32 v115, 0x10000, v114
	s_delay_alu instid0(VALU_DEP_2) | instskip(NEXT) | instid1(VALU_DEP_1)
	v_cmp_eq_u32_e64 s7, 0, v96
	v_cndmask_b32_e64 v96, v115, v114, s7
; %bb.1203:                             ;   in Loop: Header=BB12_1027 Depth=2
	s_or_b32 exec_lo, exec_lo, s15
	v_and_b32_e32 v97, 0xffff0000, v97
	v_and_b32_e32 v85, 0xffff0000, v85
	s_delay_alu instid0(VALU_DEP_2) | instskip(NEXT) | instid1(VALU_DEP_2)
	v_max_num_f32_e32 v97, v97, v97
	v_max_num_f32_e32 v85, v85, v85
	s_delay_alu instid0(VALU_DEP_1) | instskip(NEXT) | instid1(VALU_DEP_1)
	v_dual_min_num_f32 v114, v85, v97 :: v_dual_max_num_f32 v85, v85, v97
	v_cndmask_b32_e32 v97, v85, v114, vcc_lo
	s_delay_alu instid0(VALU_DEP_1) | instskip(NEXT) | instid1(VALU_DEP_1)
	v_and_b32_e32 v85, 0x7f800000, v97
	v_cmp_ne_u32_e64 s7, 0x7f800000, v85
                                        ; implicit-def: $vgpr85
	s_and_saveexec_b32 s15, s7
	s_delay_alu instid0(SALU_CYCLE_1)
	s_xor_b32 s7, exec_lo, s15
; %bb.1204:                             ;   in Loop: Header=BB12_1027 Depth=2
	v_bfe_u32 v85, v97, 16, 1
	s_delay_alu instid0(VALU_DEP_1)
	v_add3_u32 v85, v97, v85, 0x7fff
                                        ; implicit-def: $vgpr97
; %bb.1205:                             ;   in Loop: Header=BB12_1027 Depth=2
	s_and_not1_saveexec_b32 s15, s7
; %bb.1206:                             ;   in Loop: Header=BB12_1027 Depth=2
	v_and_b32_e32 v85, 0xffff, v97
	v_or_b32_e32 v114, 0x10000, v97
	s_delay_alu instid0(VALU_DEP_2) | instskip(NEXT) | instid1(VALU_DEP_1)
	v_cmp_eq_u32_e64 s7, 0, v85
	v_cndmask_b32_e64 v85, v114, v97, s7
; %bb.1207:                             ;   in Loop: Header=BB12_1027 Depth=2
	s_or_b32 exec_lo, exec_lo, s15
	v_lshlrev_b32_e32 v97, 16, v98
	s_delay_alu instid0(VALU_DEP_1) | instskip(NEXT) | instid1(VALU_DEP_1)
	v_dual_max_num_f32 v97, v97, v97 :: v_dual_lshlrev_b32 v114, 16, v86
	v_max_num_f32_e32 v114, v114, v114
	s_delay_alu instid0(VALU_DEP_1) | instskip(NEXT) | instid1(VALU_DEP_1)
	v_dual_min_num_f32 v115, v114, v97 :: v_dual_max_num_f32 v97, v114, v97
	v_cndmask_b32_e32 v114, v97, v115, vcc_lo
	s_delay_alu instid0(VALU_DEP_1) | instskip(NEXT) | instid1(VALU_DEP_1)
	v_and_b32_e32 v97, 0x7f800000, v114
	v_cmp_ne_u32_e64 s7, 0x7f800000, v97
                                        ; implicit-def: $vgpr97
	s_and_saveexec_b32 s15, s7
	s_delay_alu instid0(SALU_CYCLE_1)
	s_xor_b32 s7, exec_lo, s15
; %bb.1208:                             ;   in Loop: Header=BB12_1027 Depth=2
	v_bfe_u32 v97, v114, 16, 1
	s_delay_alu instid0(VALU_DEP_1)
	v_add3_u32 v97, v114, v97, 0x7fff
                                        ; implicit-def: $vgpr114
; %bb.1209:                             ;   in Loop: Header=BB12_1027 Depth=2
	s_and_not1_saveexec_b32 s15, s7
; %bb.1210:                             ;   in Loop: Header=BB12_1027 Depth=2
	v_and_b32_e32 v97, 0xffff, v114
	v_or_b32_e32 v115, 0x10000, v114
	s_delay_alu instid0(VALU_DEP_2) | instskip(NEXT) | instid1(VALU_DEP_1)
	v_cmp_eq_u32_e64 s7, 0, v97
	v_cndmask_b32_e64 v97, v115, v114, s7
; %bb.1211:                             ;   in Loop: Header=BB12_1027 Depth=2
	s_or_b32 exec_lo, exec_lo, s15
	v_and_b32_e32 v98, 0xffff0000, v98
	v_and_b32_e32 v86, 0xffff0000, v86
	s_delay_alu instid0(VALU_DEP_2) | instskip(NEXT) | instid1(VALU_DEP_2)
	v_max_num_f32_e32 v98, v98, v98
	v_max_num_f32_e32 v86, v86, v86
	s_delay_alu instid0(VALU_DEP_1) | instskip(NEXT) | instid1(VALU_DEP_1)
	v_dual_min_num_f32 v114, v86, v98 :: v_dual_max_num_f32 v86, v86, v98
	v_cndmask_b32_e32 v98, v86, v114, vcc_lo
	s_delay_alu instid0(VALU_DEP_1) | instskip(NEXT) | instid1(VALU_DEP_1)
	v_and_b32_e32 v86, 0x7f800000, v98
	v_cmp_ne_u32_e64 s7, 0x7f800000, v86
                                        ; implicit-def: $vgpr86
	s_and_saveexec_b32 s15, s7
	s_delay_alu instid0(SALU_CYCLE_1)
	s_xor_b32 s7, exec_lo, s15
; %bb.1212:                             ;   in Loop: Header=BB12_1027 Depth=2
	v_bfe_u32 v86, v98, 16, 1
	s_delay_alu instid0(VALU_DEP_1)
	v_add3_u32 v86, v98, v86, 0x7fff
                                        ; implicit-def: $vgpr98
; %bb.1213:                             ;   in Loop: Header=BB12_1027 Depth=2
	s_and_not1_saveexec_b32 s15, s7
; %bb.1214:                             ;   in Loop: Header=BB12_1027 Depth=2
	v_and_b32_e32 v86, 0xffff, v98
	v_or_b32_e32 v114, 0x10000, v98
	s_delay_alu instid0(VALU_DEP_2) | instskip(NEXT) | instid1(VALU_DEP_1)
	v_cmp_eq_u32_e64 s7, 0, v86
	v_cndmask_b32_e64 v86, v114, v98, s7
; %bb.1215:                             ;   in Loop: Header=BB12_1027 Depth=2
	s_or_b32 exec_lo, exec_lo, s15
	v_lshlrev_b32_e32 v114, 16, v87
	s_delay_alu instid0(VALU_DEP_1) | instskip(NEXT) | instid1(VALU_DEP_1)
	v_dual_lshlrev_b32 v98, 16, v99 :: v_dual_max_num_f32 v114, v114, v114
	v_max_num_f32_e32 v98, v98, v98
	s_delay_alu instid0(VALU_DEP_1) | instskip(NEXT) | instid1(VALU_DEP_1)
	v_dual_min_num_f32 v115, v114, v98 :: v_dual_max_num_f32 v98, v114, v98
	v_cndmask_b32_e32 v114, v98, v115, vcc_lo
	s_delay_alu instid0(VALU_DEP_1) | instskip(NEXT) | instid1(VALU_DEP_1)
	v_and_b32_e32 v98, 0x7f800000, v114
	v_cmp_ne_u32_e64 s7, 0x7f800000, v98
                                        ; implicit-def: $vgpr98
	s_and_saveexec_b32 s15, s7
	s_delay_alu instid0(SALU_CYCLE_1)
	s_xor_b32 s7, exec_lo, s15
; %bb.1216:                             ;   in Loop: Header=BB12_1027 Depth=2
	v_bfe_u32 v98, v114, 16, 1
	s_delay_alu instid0(VALU_DEP_1)
	v_add3_u32 v98, v114, v98, 0x7fff
                                        ; implicit-def: $vgpr114
; %bb.1217:                             ;   in Loop: Header=BB12_1027 Depth=2
	s_and_not1_saveexec_b32 s15, s7
; %bb.1218:                             ;   in Loop: Header=BB12_1027 Depth=2
	v_and_b32_e32 v98, 0xffff, v114
	v_or_b32_e32 v115, 0x10000, v114
	s_delay_alu instid0(VALU_DEP_2) | instskip(NEXT) | instid1(VALU_DEP_1)
	v_cmp_eq_u32_e64 s7, 0, v98
	v_cndmask_b32_e64 v98, v115, v114, s7
; %bb.1219:                             ;   in Loop: Header=BB12_1027 Depth=2
	s_or_b32 exec_lo, exec_lo, s15
	v_and_b32_e32 v99, 0xffff0000, v99
	v_and_b32_e32 v87, 0xffff0000, v87
	s_delay_alu instid0(VALU_DEP_2) | instskip(NEXT) | instid1(VALU_DEP_2)
	v_max_num_f32_e32 v99, v99, v99
	v_max_num_f32_e32 v87, v87, v87
	s_delay_alu instid0(VALU_DEP_1) | instskip(NEXT) | instid1(VALU_DEP_1)
	v_dual_min_num_f32 v114, v87, v99 :: v_dual_max_num_f32 v87, v87, v99
	v_cndmask_b32_e32 v99, v87, v114, vcc_lo
	s_delay_alu instid0(VALU_DEP_1) | instskip(NEXT) | instid1(VALU_DEP_1)
	v_and_b32_e32 v87, 0x7f800000, v99
	v_cmp_ne_u32_e64 s7, 0x7f800000, v87
                                        ; implicit-def: $vgpr87
	s_and_saveexec_b32 s15, s7
	s_delay_alu instid0(SALU_CYCLE_1)
	s_xor_b32 s7, exec_lo, s15
; %bb.1220:                             ;   in Loop: Header=BB12_1027 Depth=2
	v_bfe_u32 v87, v99, 16, 1
	s_delay_alu instid0(VALU_DEP_1)
	v_add3_u32 v87, v99, v87, 0x7fff
                                        ; implicit-def: $vgpr99
; %bb.1221:                             ;   in Loop: Header=BB12_1027 Depth=2
	s_and_not1_saveexec_b32 s15, s7
; %bb.1222:                             ;   in Loop: Header=BB12_1027 Depth=2
	v_and_b32_e32 v87, 0xffff, v99
	v_or_b32_e32 v114, 0x10000, v99
	s_delay_alu instid0(VALU_DEP_2) | instskip(NEXT) | instid1(VALU_DEP_1)
	v_cmp_eq_u32_e64 s7, 0, v87
	v_cndmask_b32_e64 v87, v114, v99, s7
; %bb.1223:                             ;   in Loop: Header=BB12_1027 Depth=2
	s_or_b32 exec_lo, exec_lo, s15
	v_lshlrev_b32_e32 v114, 16, v64
	s_wait_loadcnt 0x1
	s_delay_alu instid0(VALU_DEP_1) | instskip(NEXT) | instid1(VALU_DEP_1)
	v_dual_max_num_f32 v114, v114, v114 :: v_dual_lshlrev_b32 v99, 16, v68
	v_max_num_f32_e32 v99, v99, v99
	s_delay_alu instid0(VALU_DEP_1) | instskip(NEXT) | instid1(VALU_DEP_1)
	v_dual_min_num_f32 v115, v114, v99 :: v_dual_max_num_f32 v99, v114, v99
	v_cndmask_b32_e32 v114, v99, v115, vcc_lo
	s_delay_alu instid0(VALU_DEP_1) | instskip(NEXT) | instid1(VALU_DEP_1)
	v_and_b32_e32 v99, 0x7f800000, v114
	v_cmp_ne_u32_e64 s7, 0x7f800000, v99
                                        ; implicit-def: $vgpr99
	s_and_saveexec_b32 s15, s7
	s_delay_alu instid0(SALU_CYCLE_1)
	s_xor_b32 s7, exec_lo, s15
; %bb.1224:                             ;   in Loop: Header=BB12_1027 Depth=2
	v_bfe_u32 v99, v114, 16, 1
	s_delay_alu instid0(VALU_DEP_1)
	v_add3_u32 v99, v114, v99, 0x7fff
                                        ; implicit-def: $vgpr114
; %bb.1225:                             ;   in Loop: Header=BB12_1027 Depth=2
	s_and_not1_saveexec_b32 s15, s7
; %bb.1226:                             ;   in Loop: Header=BB12_1027 Depth=2
	v_and_b32_e32 v99, 0xffff, v114
	v_or_b32_e32 v115, 0x10000, v114
	s_delay_alu instid0(VALU_DEP_2) | instskip(NEXT) | instid1(VALU_DEP_1)
	v_cmp_eq_u32_e64 s7, 0, v99
	v_cndmask_b32_e64 v99, v115, v114, s7
; %bb.1227:                             ;   in Loop: Header=BB12_1027 Depth=2
	s_or_b32 exec_lo, exec_lo, s15
	v_and_b32_e32 v68, 0xffff0000, v68
	v_and_b32_e32 v64, 0xffff0000, v64
	s_delay_alu instid0(VALU_DEP_2) | instskip(NEXT) | instid1(VALU_DEP_2)
	v_max_num_f32_e32 v68, v68, v68
	v_max_num_f32_e32 v64, v64, v64
	s_delay_alu instid0(VALU_DEP_1) | instskip(NEXT) | instid1(VALU_DEP_1)
	v_dual_min_num_f32 v114, v64, v68 :: v_dual_max_num_f32 v64, v64, v68
	v_cndmask_b32_e32 v68, v64, v114, vcc_lo
	s_delay_alu instid0(VALU_DEP_1) | instskip(NEXT) | instid1(VALU_DEP_1)
	v_and_b32_e32 v64, 0x7f800000, v68
	v_cmp_ne_u32_e64 s7, 0x7f800000, v64
                                        ; implicit-def: $vgpr64
	s_and_saveexec_b32 s15, s7
	s_delay_alu instid0(SALU_CYCLE_1)
	s_xor_b32 s7, exec_lo, s15
; %bb.1228:                             ;   in Loop: Header=BB12_1027 Depth=2
	v_bfe_u32 v64, v68, 16, 1
	s_delay_alu instid0(VALU_DEP_1)
	v_add3_u32 v64, v68, v64, 0x7fff
                                        ; implicit-def: $vgpr68
; %bb.1229:                             ;   in Loop: Header=BB12_1027 Depth=2
	s_and_not1_saveexec_b32 s15, s7
; %bb.1230:                             ;   in Loop: Header=BB12_1027 Depth=2
	v_and_b32_e32 v64, 0xffff, v68
	v_or_b32_e32 v114, 0x10000, v68
	s_delay_alu instid0(VALU_DEP_2) | instskip(NEXT) | instid1(VALU_DEP_1)
	v_cmp_eq_u32_e64 s7, 0, v64
	v_cndmask_b32_e64 v64, v114, v68, s7
; %bb.1231:                             ;   in Loop: Header=BB12_1027 Depth=2
	s_or_b32 exec_lo, exec_lo, s15
	v_lshlrev_b32_e32 v114, 16, v65
	s_delay_alu instid0(VALU_DEP_1) | instskip(NEXT) | instid1(VALU_DEP_1)
	v_dual_lshlrev_b32 v68, 16, v69 :: v_dual_max_num_f32 v114, v114, v114
	v_max_num_f32_e32 v68, v68, v68
	s_delay_alu instid0(VALU_DEP_1) | instskip(NEXT) | instid1(VALU_DEP_1)
	v_dual_min_num_f32 v115, v114, v68 :: v_dual_max_num_f32 v68, v114, v68
	v_cndmask_b32_e32 v114, v68, v115, vcc_lo
	s_delay_alu instid0(VALU_DEP_1) | instskip(NEXT) | instid1(VALU_DEP_1)
	v_and_b32_e32 v68, 0x7f800000, v114
	v_cmp_ne_u32_e64 s7, 0x7f800000, v68
                                        ; implicit-def: $vgpr68
	s_and_saveexec_b32 s15, s7
	s_delay_alu instid0(SALU_CYCLE_1)
	s_xor_b32 s7, exec_lo, s15
; %bb.1232:                             ;   in Loop: Header=BB12_1027 Depth=2
	v_bfe_u32 v68, v114, 16, 1
	s_delay_alu instid0(VALU_DEP_1)
	v_add3_u32 v68, v114, v68, 0x7fff
                                        ; implicit-def: $vgpr114
; %bb.1233:                             ;   in Loop: Header=BB12_1027 Depth=2
	s_and_not1_saveexec_b32 s15, s7
; %bb.1234:                             ;   in Loop: Header=BB12_1027 Depth=2
	v_and_b32_e32 v68, 0xffff, v114
	v_or_b32_e32 v115, 0x10000, v114
	s_delay_alu instid0(VALU_DEP_2) | instskip(NEXT) | instid1(VALU_DEP_1)
	v_cmp_eq_u32_e64 s7, 0, v68
	v_cndmask_b32_e64 v68, v115, v114, s7
; %bb.1235:                             ;   in Loop: Header=BB12_1027 Depth=2
	s_or_b32 exec_lo, exec_lo, s15
	v_and_b32_e32 v69, 0xffff0000, v69
	v_and_b32_e32 v65, 0xffff0000, v65
	s_delay_alu instid0(VALU_DEP_2) | instskip(NEXT) | instid1(VALU_DEP_2)
	v_max_num_f32_e32 v69, v69, v69
	v_max_num_f32_e32 v65, v65, v65
	s_delay_alu instid0(VALU_DEP_1) | instskip(NEXT) | instid1(VALU_DEP_1)
	v_dual_min_num_f32 v114, v65, v69 :: v_dual_max_num_f32 v65, v65, v69
	v_cndmask_b32_e32 v69, v65, v114, vcc_lo
	s_delay_alu instid0(VALU_DEP_1) | instskip(NEXT) | instid1(VALU_DEP_1)
	v_and_b32_e32 v65, 0x7f800000, v69
	v_cmp_ne_u32_e64 s7, 0x7f800000, v65
                                        ; implicit-def: $vgpr65
	s_and_saveexec_b32 s15, s7
	s_delay_alu instid0(SALU_CYCLE_1)
	s_xor_b32 s7, exec_lo, s15
; %bb.1236:                             ;   in Loop: Header=BB12_1027 Depth=2
	v_bfe_u32 v65, v69, 16, 1
	s_delay_alu instid0(VALU_DEP_1)
	v_add3_u32 v65, v69, v65, 0x7fff
                                        ; implicit-def: $vgpr69
; %bb.1237:                             ;   in Loop: Header=BB12_1027 Depth=2
	s_and_not1_saveexec_b32 s15, s7
; %bb.1238:                             ;   in Loop: Header=BB12_1027 Depth=2
	v_and_b32_e32 v65, 0xffff, v69
	v_or_b32_e32 v114, 0x10000, v69
	s_delay_alu instid0(VALU_DEP_2) | instskip(NEXT) | instid1(VALU_DEP_1)
	v_cmp_eq_u32_e64 s7, 0, v65
	v_cndmask_b32_e64 v65, v114, v69, s7
; %bb.1239:                             ;   in Loop: Header=BB12_1027 Depth=2
	s_or_b32 exec_lo, exec_lo, s15
	v_lshlrev_b32_e32 v69, 16, v70
	s_delay_alu instid0(VALU_DEP_1) | instskip(NEXT) | instid1(VALU_DEP_1)
	v_dual_max_num_f32 v69, v69, v69 :: v_dual_lshlrev_b32 v114, 16, v66
	v_max_num_f32_e32 v114, v114, v114
	s_delay_alu instid0(VALU_DEP_1) | instskip(NEXT) | instid1(VALU_DEP_1)
	v_dual_min_num_f32 v115, v114, v69 :: v_dual_max_num_f32 v69, v114, v69
	v_cndmask_b32_e32 v114, v69, v115, vcc_lo
	s_delay_alu instid0(VALU_DEP_1) | instskip(NEXT) | instid1(VALU_DEP_1)
	v_and_b32_e32 v69, 0x7f800000, v114
	v_cmp_ne_u32_e64 s7, 0x7f800000, v69
                                        ; implicit-def: $vgpr69
	s_and_saveexec_b32 s15, s7
	s_delay_alu instid0(SALU_CYCLE_1)
	s_xor_b32 s7, exec_lo, s15
; %bb.1240:                             ;   in Loop: Header=BB12_1027 Depth=2
	v_bfe_u32 v69, v114, 16, 1
	s_delay_alu instid0(VALU_DEP_1)
	v_add3_u32 v69, v114, v69, 0x7fff
                                        ; implicit-def: $vgpr114
; %bb.1241:                             ;   in Loop: Header=BB12_1027 Depth=2
	s_and_not1_saveexec_b32 s15, s7
; %bb.1242:                             ;   in Loop: Header=BB12_1027 Depth=2
	v_and_b32_e32 v69, 0xffff, v114
	v_or_b32_e32 v115, 0x10000, v114
	s_delay_alu instid0(VALU_DEP_2) | instskip(NEXT) | instid1(VALU_DEP_1)
	v_cmp_eq_u32_e64 s7, 0, v69
	v_cndmask_b32_e64 v69, v115, v114, s7
; %bb.1243:                             ;   in Loop: Header=BB12_1027 Depth=2
	s_or_b32 exec_lo, exec_lo, s15
	v_and_b32_e32 v70, 0xffff0000, v70
	v_and_b32_e32 v66, 0xffff0000, v66
	s_delay_alu instid0(VALU_DEP_2) | instskip(NEXT) | instid1(VALU_DEP_2)
	v_max_num_f32_e32 v70, v70, v70
	v_max_num_f32_e32 v66, v66, v66
	s_delay_alu instid0(VALU_DEP_1) | instskip(NEXT) | instid1(VALU_DEP_1)
	v_dual_min_num_f32 v114, v66, v70 :: v_dual_max_num_f32 v66, v66, v70
	v_cndmask_b32_e32 v70, v66, v114, vcc_lo
	s_delay_alu instid0(VALU_DEP_1) | instskip(NEXT) | instid1(VALU_DEP_1)
	v_and_b32_e32 v66, 0x7f800000, v70
	v_cmp_ne_u32_e64 s7, 0x7f800000, v66
                                        ; implicit-def: $vgpr66
	s_and_saveexec_b32 s15, s7
	s_delay_alu instid0(SALU_CYCLE_1)
	s_xor_b32 s7, exec_lo, s15
; %bb.1244:                             ;   in Loop: Header=BB12_1027 Depth=2
	v_bfe_u32 v66, v70, 16, 1
	s_delay_alu instid0(VALU_DEP_1)
	v_add3_u32 v66, v70, v66, 0x7fff
                                        ; implicit-def: $vgpr70
; %bb.1245:                             ;   in Loop: Header=BB12_1027 Depth=2
	s_and_not1_saveexec_b32 s15, s7
; %bb.1246:                             ;   in Loop: Header=BB12_1027 Depth=2
	v_and_b32_e32 v66, 0xffff, v70
	v_or_b32_e32 v114, 0x10000, v70
	s_delay_alu instid0(VALU_DEP_2) | instskip(NEXT) | instid1(VALU_DEP_1)
	v_cmp_eq_u32_e64 s7, 0, v66
	v_cndmask_b32_e64 v66, v114, v70, s7
; %bb.1247:                             ;   in Loop: Header=BB12_1027 Depth=2
	s_or_b32 exec_lo, exec_lo, s15
	v_lshlrev_b32_e32 v114, 16, v67
	s_delay_alu instid0(VALU_DEP_1) | instskip(NEXT) | instid1(VALU_DEP_1)
	v_dual_lshlrev_b32 v70, 16, v71 :: v_dual_max_num_f32 v114, v114, v114
	v_max_num_f32_e32 v70, v70, v70
	s_delay_alu instid0(VALU_DEP_1) | instskip(NEXT) | instid1(VALU_DEP_1)
	v_dual_min_num_f32 v115, v114, v70 :: v_dual_max_num_f32 v70, v114, v70
	v_cndmask_b32_e32 v114, v70, v115, vcc_lo
	s_delay_alu instid0(VALU_DEP_1) | instskip(NEXT) | instid1(VALU_DEP_1)
	v_and_b32_e32 v70, 0x7f800000, v114
	v_cmp_ne_u32_e64 s7, 0x7f800000, v70
                                        ; implicit-def: $vgpr70
	s_and_saveexec_b32 s15, s7
	s_delay_alu instid0(SALU_CYCLE_1)
	s_xor_b32 s7, exec_lo, s15
; %bb.1248:                             ;   in Loop: Header=BB12_1027 Depth=2
	v_bfe_u32 v70, v114, 16, 1
	s_delay_alu instid0(VALU_DEP_1)
	v_add3_u32 v70, v114, v70, 0x7fff
                                        ; implicit-def: $vgpr114
; %bb.1249:                             ;   in Loop: Header=BB12_1027 Depth=2
	s_and_not1_saveexec_b32 s15, s7
; %bb.1250:                             ;   in Loop: Header=BB12_1027 Depth=2
	v_and_b32_e32 v70, 0xffff, v114
	v_or_b32_e32 v115, 0x10000, v114
	s_delay_alu instid0(VALU_DEP_2) | instskip(NEXT) | instid1(VALU_DEP_1)
	v_cmp_eq_u32_e64 s7, 0, v70
	v_cndmask_b32_e64 v70, v115, v114, s7
; %bb.1251:                             ;   in Loop: Header=BB12_1027 Depth=2
	s_or_b32 exec_lo, exec_lo, s15
	v_and_b32_e32 v71, 0xffff0000, v71
	v_and_b32_e32 v67, 0xffff0000, v67
	s_delay_alu instid0(VALU_DEP_2) | instskip(NEXT) | instid1(VALU_DEP_2)
	v_max_num_f32_e32 v71, v71, v71
	v_max_num_f32_e32 v67, v67, v67
	s_delay_alu instid0(VALU_DEP_1) | instskip(NEXT) | instid1(VALU_DEP_1)
	v_dual_min_num_f32 v114, v67, v71 :: v_dual_max_num_f32 v67, v67, v71
	v_cndmask_b32_e32 v71, v67, v114, vcc_lo
	s_delay_alu instid0(VALU_DEP_1) | instskip(NEXT) | instid1(VALU_DEP_1)
	v_and_b32_e32 v67, 0x7f800000, v71
	v_cmp_ne_u32_e64 s7, 0x7f800000, v67
                                        ; implicit-def: $vgpr67
	s_and_saveexec_b32 s15, s7
	s_delay_alu instid0(SALU_CYCLE_1)
	s_xor_b32 s7, exec_lo, s15
; %bb.1252:                             ;   in Loop: Header=BB12_1027 Depth=2
	v_bfe_u32 v67, v71, 16, 1
	s_delay_alu instid0(VALU_DEP_1)
	v_add3_u32 v67, v71, v67, 0x7fff
                                        ; implicit-def: $vgpr71
; %bb.1253:                             ;   in Loop: Header=BB12_1027 Depth=2
	s_and_not1_saveexec_b32 s15, s7
; %bb.1254:                             ;   in Loop: Header=BB12_1027 Depth=2
	v_and_b32_e32 v67, 0xffff, v71
	v_or_b32_e32 v114, 0x10000, v71
	s_delay_alu instid0(VALU_DEP_2) | instskip(NEXT) | instid1(VALU_DEP_1)
	v_cmp_eq_u32_e64 s7, 0, v67
	v_cndmask_b32_e64 v67, v114, v71, s7
; %bb.1255:                             ;   in Loop: Header=BB12_1027 Depth=2
	s_or_b32 exec_lo, exec_lo, s15
	v_lshlrev_b32_e32 v114, 16, v48
	s_wait_loadcnt 0x0
	s_delay_alu instid0(VALU_DEP_1) | instskip(NEXT) | instid1(VALU_DEP_1)
	v_dual_max_num_f32 v114, v114, v114 :: v_dual_lshlrev_b32 v71, 16, v52
	v_max_num_f32_e32 v71, v71, v71
	s_delay_alu instid0(VALU_DEP_1) | instskip(NEXT) | instid1(VALU_DEP_1)
	v_dual_min_num_f32 v115, v114, v71 :: v_dual_max_num_f32 v71, v114, v71
	v_cndmask_b32_e32 v114, v71, v115, vcc_lo
	s_delay_alu instid0(VALU_DEP_1) | instskip(NEXT) | instid1(VALU_DEP_1)
	v_and_b32_e32 v71, 0x7f800000, v114
	v_cmp_ne_u32_e64 s7, 0x7f800000, v71
                                        ; implicit-def: $vgpr71
	s_and_saveexec_b32 s15, s7
	s_delay_alu instid0(SALU_CYCLE_1)
	s_xor_b32 s7, exec_lo, s15
; %bb.1256:                             ;   in Loop: Header=BB12_1027 Depth=2
	v_bfe_u32 v71, v114, 16, 1
	s_delay_alu instid0(VALU_DEP_1)
	v_add3_u32 v71, v114, v71, 0x7fff
                                        ; implicit-def: $vgpr114
; %bb.1257:                             ;   in Loop: Header=BB12_1027 Depth=2
	s_and_not1_saveexec_b32 s15, s7
; %bb.1258:                             ;   in Loop: Header=BB12_1027 Depth=2
	v_and_b32_e32 v71, 0xffff, v114
	v_or_b32_e32 v115, 0x10000, v114
	s_delay_alu instid0(VALU_DEP_2) | instskip(NEXT) | instid1(VALU_DEP_1)
	v_cmp_eq_u32_e64 s7, 0, v71
	v_cndmask_b32_e64 v71, v115, v114, s7
; %bb.1259:                             ;   in Loop: Header=BB12_1027 Depth=2
	s_or_b32 exec_lo, exec_lo, s15
	v_and_b32_e32 v52, 0xffff0000, v52
	v_and_b32_e32 v48, 0xffff0000, v48
	s_delay_alu instid0(VALU_DEP_2) | instskip(NEXT) | instid1(VALU_DEP_2)
	v_max_num_f32_e32 v52, v52, v52
	v_max_num_f32_e32 v48, v48, v48
	s_delay_alu instid0(VALU_DEP_1) | instskip(NEXT) | instid1(VALU_DEP_1)
	v_dual_min_num_f32 v114, v48, v52 :: v_dual_max_num_f32 v48, v48, v52
	v_cndmask_b32_e32 v52, v48, v114, vcc_lo
	s_delay_alu instid0(VALU_DEP_1) | instskip(NEXT) | instid1(VALU_DEP_1)
	v_and_b32_e32 v48, 0x7f800000, v52
	v_cmp_ne_u32_e64 s7, 0x7f800000, v48
                                        ; implicit-def: $vgpr48
	s_and_saveexec_b32 s15, s7
	s_delay_alu instid0(SALU_CYCLE_1)
	s_xor_b32 s7, exec_lo, s15
; %bb.1260:                             ;   in Loop: Header=BB12_1027 Depth=2
	v_bfe_u32 v48, v52, 16, 1
	s_delay_alu instid0(VALU_DEP_1)
	v_add3_u32 v48, v52, v48, 0x7fff
                                        ; implicit-def: $vgpr52
; %bb.1261:                             ;   in Loop: Header=BB12_1027 Depth=2
	s_and_not1_saveexec_b32 s15, s7
; %bb.1262:                             ;   in Loop: Header=BB12_1027 Depth=2
	v_and_b32_e32 v48, 0xffff, v52
	v_or_b32_e32 v114, 0x10000, v52
	s_delay_alu instid0(VALU_DEP_2) | instskip(NEXT) | instid1(VALU_DEP_1)
	v_cmp_eq_u32_e64 s7, 0, v48
	v_cndmask_b32_e64 v48, v114, v52, s7
; %bb.1263:                             ;   in Loop: Header=BB12_1027 Depth=2
	s_or_b32 exec_lo, exec_lo, s15
	v_lshlrev_b32_e32 v114, 16, v49
	s_delay_alu instid0(VALU_DEP_1) | instskip(NEXT) | instid1(VALU_DEP_1)
	v_dual_lshlrev_b32 v52, 16, v53 :: v_dual_max_num_f32 v114, v114, v114
	v_max_num_f32_e32 v52, v52, v52
	s_delay_alu instid0(VALU_DEP_1) | instskip(NEXT) | instid1(VALU_DEP_1)
	v_dual_min_num_f32 v115, v114, v52 :: v_dual_max_num_f32 v52, v114, v52
	v_cndmask_b32_e32 v114, v52, v115, vcc_lo
	s_delay_alu instid0(VALU_DEP_1) | instskip(NEXT) | instid1(VALU_DEP_1)
	v_and_b32_e32 v52, 0x7f800000, v114
	v_cmp_ne_u32_e64 s7, 0x7f800000, v52
                                        ; implicit-def: $vgpr52
	s_and_saveexec_b32 s15, s7
	s_delay_alu instid0(SALU_CYCLE_1)
	s_xor_b32 s7, exec_lo, s15
; %bb.1264:                             ;   in Loop: Header=BB12_1027 Depth=2
	v_bfe_u32 v52, v114, 16, 1
	s_delay_alu instid0(VALU_DEP_1)
	v_add3_u32 v52, v114, v52, 0x7fff
                                        ; implicit-def: $vgpr114
; %bb.1265:                             ;   in Loop: Header=BB12_1027 Depth=2
	s_and_not1_saveexec_b32 s15, s7
; %bb.1266:                             ;   in Loop: Header=BB12_1027 Depth=2
	v_and_b32_e32 v52, 0xffff, v114
	v_or_b32_e32 v115, 0x10000, v114
	s_delay_alu instid0(VALU_DEP_2) | instskip(NEXT) | instid1(VALU_DEP_1)
	v_cmp_eq_u32_e64 s7, 0, v52
	v_cndmask_b32_e64 v52, v115, v114, s7
; %bb.1267:                             ;   in Loop: Header=BB12_1027 Depth=2
	s_or_b32 exec_lo, exec_lo, s15
	v_and_b32_e32 v53, 0xffff0000, v53
	v_and_b32_e32 v49, 0xffff0000, v49
	s_delay_alu instid0(VALU_DEP_2) | instskip(NEXT) | instid1(VALU_DEP_2)
	v_max_num_f32_e32 v53, v53, v53
	v_max_num_f32_e32 v49, v49, v49
	s_delay_alu instid0(VALU_DEP_1) | instskip(NEXT) | instid1(VALU_DEP_1)
	v_dual_min_num_f32 v114, v49, v53 :: v_dual_max_num_f32 v49, v49, v53
	v_cndmask_b32_e32 v53, v49, v114, vcc_lo
	s_delay_alu instid0(VALU_DEP_1) | instskip(NEXT) | instid1(VALU_DEP_1)
	v_and_b32_e32 v49, 0x7f800000, v53
	v_cmp_ne_u32_e64 s7, 0x7f800000, v49
                                        ; implicit-def: $vgpr49
	s_and_saveexec_b32 s15, s7
	s_delay_alu instid0(SALU_CYCLE_1)
	s_xor_b32 s7, exec_lo, s15
; %bb.1268:                             ;   in Loop: Header=BB12_1027 Depth=2
	v_bfe_u32 v49, v53, 16, 1
	s_delay_alu instid0(VALU_DEP_1)
	v_add3_u32 v49, v53, v49, 0x7fff
                                        ; implicit-def: $vgpr53
; %bb.1269:                             ;   in Loop: Header=BB12_1027 Depth=2
	s_and_not1_saveexec_b32 s15, s7
; %bb.1270:                             ;   in Loop: Header=BB12_1027 Depth=2
	v_and_b32_e32 v49, 0xffff, v53
	v_or_b32_e32 v114, 0x10000, v53
	s_delay_alu instid0(VALU_DEP_2) | instskip(NEXT) | instid1(VALU_DEP_1)
	v_cmp_eq_u32_e64 s7, 0, v49
	v_cndmask_b32_e64 v49, v114, v53, s7
; %bb.1271:                             ;   in Loop: Header=BB12_1027 Depth=2
	s_or_b32 exec_lo, exec_lo, s15
	v_lshlrev_b32_e32 v53, 16, v54
	s_delay_alu instid0(VALU_DEP_1) | instskip(NEXT) | instid1(VALU_DEP_1)
	v_dual_max_num_f32 v53, v53, v53 :: v_dual_lshlrev_b32 v114, 16, v50
	v_max_num_f32_e32 v114, v114, v114
	s_delay_alu instid0(VALU_DEP_1) | instskip(NEXT) | instid1(VALU_DEP_1)
	v_dual_min_num_f32 v115, v114, v53 :: v_dual_max_num_f32 v53, v114, v53
	v_cndmask_b32_e32 v114, v53, v115, vcc_lo
	s_delay_alu instid0(VALU_DEP_1) | instskip(NEXT) | instid1(VALU_DEP_1)
	v_and_b32_e32 v53, 0x7f800000, v114
	v_cmp_ne_u32_e64 s7, 0x7f800000, v53
                                        ; implicit-def: $vgpr53
	s_and_saveexec_b32 s15, s7
	s_delay_alu instid0(SALU_CYCLE_1)
	s_xor_b32 s7, exec_lo, s15
; %bb.1272:                             ;   in Loop: Header=BB12_1027 Depth=2
	v_bfe_u32 v53, v114, 16, 1
	s_delay_alu instid0(VALU_DEP_1)
	v_add3_u32 v53, v114, v53, 0x7fff
                                        ; implicit-def: $vgpr114
; %bb.1273:                             ;   in Loop: Header=BB12_1027 Depth=2
	s_and_not1_saveexec_b32 s15, s7
; %bb.1274:                             ;   in Loop: Header=BB12_1027 Depth=2
	v_and_b32_e32 v53, 0xffff, v114
	v_or_b32_e32 v115, 0x10000, v114
	s_delay_alu instid0(VALU_DEP_2) | instskip(NEXT) | instid1(VALU_DEP_1)
	v_cmp_eq_u32_e64 s7, 0, v53
	v_cndmask_b32_e64 v53, v115, v114, s7
; %bb.1275:                             ;   in Loop: Header=BB12_1027 Depth=2
	s_or_b32 exec_lo, exec_lo, s15
	v_and_b32_e32 v54, 0xffff0000, v54
	v_and_b32_e32 v50, 0xffff0000, v50
	s_delay_alu instid0(VALU_DEP_2) | instskip(NEXT) | instid1(VALU_DEP_2)
	v_max_num_f32_e32 v54, v54, v54
	v_max_num_f32_e32 v50, v50, v50
	s_delay_alu instid0(VALU_DEP_1) | instskip(NEXT) | instid1(VALU_DEP_1)
	v_dual_min_num_f32 v114, v50, v54 :: v_dual_max_num_f32 v50, v50, v54
	v_cndmask_b32_e32 v54, v50, v114, vcc_lo
	s_delay_alu instid0(VALU_DEP_1) | instskip(NEXT) | instid1(VALU_DEP_1)
	v_and_b32_e32 v50, 0x7f800000, v54
	v_cmp_ne_u32_e64 s7, 0x7f800000, v50
                                        ; implicit-def: $vgpr50
	s_and_saveexec_b32 s15, s7
	s_delay_alu instid0(SALU_CYCLE_1)
	s_xor_b32 s7, exec_lo, s15
; %bb.1276:                             ;   in Loop: Header=BB12_1027 Depth=2
	v_bfe_u32 v50, v54, 16, 1
	s_delay_alu instid0(VALU_DEP_1)
	v_add3_u32 v50, v54, v50, 0x7fff
                                        ; implicit-def: $vgpr54
; %bb.1277:                             ;   in Loop: Header=BB12_1027 Depth=2
	s_and_not1_saveexec_b32 s15, s7
; %bb.1278:                             ;   in Loop: Header=BB12_1027 Depth=2
	v_and_b32_e32 v50, 0xffff, v54
	v_or_b32_e32 v114, 0x10000, v54
	s_delay_alu instid0(VALU_DEP_2) | instskip(NEXT) | instid1(VALU_DEP_1)
	v_cmp_eq_u32_e64 s7, 0, v50
	v_cndmask_b32_e64 v50, v114, v54, s7
; %bb.1279:                             ;   in Loop: Header=BB12_1027 Depth=2
	s_or_b32 exec_lo, exec_lo, s15
	v_lshlrev_b32_e32 v114, 16, v51
	s_delay_alu instid0(VALU_DEP_1) | instskip(NEXT) | instid1(VALU_DEP_1)
	v_dual_lshlrev_b32 v54, 16, v55 :: v_dual_max_num_f32 v114, v114, v114
	v_max_num_f32_e32 v54, v54, v54
	s_delay_alu instid0(VALU_DEP_1) | instskip(NEXT) | instid1(VALU_DEP_1)
	v_dual_min_num_f32 v115, v114, v54 :: v_dual_max_num_f32 v54, v114, v54
	v_cndmask_b32_e32 v114, v54, v115, vcc_lo
	s_delay_alu instid0(VALU_DEP_1) | instskip(NEXT) | instid1(VALU_DEP_1)
	v_and_b32_e32 v54, 0x7f800000, v114
	v_cmp_ne_u32_e64 s7, 0x7f800000, v54
                                        ; implicit-def: $vgpr54
	s_and_saveexec_b32 s15, s7
	s_delay_alu instid0(SALU_CYCLE_1)
	s_xor_b32 s7, exec_lo, s15
; %bb.1280:                             ;   in Loop: Header=BB12_1027 Depth=2
	v_bfe_u32 v54, v114, 16, 1
	s_delay_alu instid0(VALU_DEP_1)
	v_add3_u32 v54, v114, v54, 0x7fff
                                        ; implicit-def: $vgpr114
; %bb.1281:                             ;   in Loop: Header=BB12_1027 Depth=2
	s_and_not1_saveexec_b32 s15, s7
; %bb.1282:                             ;   in Loop: Header=BB12_1027 Depth=2
	v_and_b32_e32 v54, 0xffff, v114
	v_or_b32_e32 v115, 0x10000, v114
	s_delay_alu instid0(VALU_DEP_2) | instskip(NEXT) | instid1(VALU_DEP_1)
	v_cmp_eq_u32_e64 s7, 0, v54
	v_cndmask_b32_e64 v54, v115, v114, s7
; %bb.1283:                             ;   in Loop: Header=BB12_1027 Depth=2
	s_or_b32 exec_lo, exec_lo, s15
	v_and_b32_e32 v55, 0xffff0000, v55
	v_and_b32_e32 v51, 0xffff0000, v51
	s_delay_alu instid0(VALU_DEP_2) | instskip(NEXT) | instid1(VALU_DEP_2)
	v_max_num_f32_e32 v55, v55, v55
	v_max_num_f32_e32 v51, v51, v51
	s_delay_alu instid0(VALU_DEP_1) | instskip(NEXT) | instid1(VALU_DEP_1)
	v_dual_min_num_f32 v114, v51, v55 :: v_dual_max_num_f32 v51, v51, v55
	v_cndmask_b32_e32 v55, v51, v114, vcc_lo
	s_delay_alu instid0(VALU_DEP_1) | instskip(NEXT) | instid1(VALU_DEP_1)
	v_and_b32_e32 v51, 0x7f800000, v55
	v_cmp_ne_u32_e64 s7, 0x7f800000, v51
                                        ; implicit-def: $vgpr51
	s_and_saveexec_b32 s15, s7
	s_delay_alu instid0(SALU_CYCLE_1)
	s_xor_b32 s7, exec_lo, s15
; %bb.1284:                             ;   in Loop: Header=BB12_1027 Depth=2
	v_bfe_u32 v51, v55, 16, 1
	s_delay_alu instid0(VALU_DEP_1)
	v_add3_u32 v51, v55, v51, 0x7fff
                                        ; implicit-def: $vgpr55
; %bb.1285:                             ;   in Loop: Header=BB12_1027 Depth=2
	s_and_not1_saveexec_b32 s15, s7
	s_cbranch_execz .LBB12_1026
; %bb.1286:                             ;   in Loop: Header=BB12_1027 Depth=2
	v_and_b32_e32 v51, 0xffff, v55
	v_or_b32_e32 v114, 0x10000, v55
	s_delay_alu instid0(VALU_DEP_2) | instskip(NEXT) | instid1(VALU_DEP_1)
	v_cmp_eq_u32_e64 s7, 0, v51
	v_cndmask_b32_e64 v51, v114, v55, s7
	s_branch .LBB12_1026
.LBB12_1287:                            ;   in Loop: Header=BB12_950 Depth=1
	v_dual_mov_b32 v0, v124 :: v_dual_mov_b32 v15, v44
	s_and_saveexec_b32 s14, s28
	s_cbranch_execnz .LBB12_1535
	s_branch .LBB12_1762
.LBB12_1288:                            ;   in Loop: Header=BB12_950 Depth=1
	s_or_b32 exec_lo, exec_lo, s11
	s_clause 0x6
	scratch_load_b32 v124, off, s33 offset:312
	scratch_load_b32 v44, off, s33 offset:332
	;; [unrolled: 1-line block ×3, first 2 shown]
	scratch_load_b64 v[94:95], off, s33 offset:340
	scratch_load_b32 v60, off, s33 offset:272
	scratch_load_b32 v122, off, s33 offset:304
	scratch_load_b32 v49, off, s33 offset:328
	v_lshlrev_b32_e32 v45, 9, v62
	s_and_b32 s7, s12, exec_lo
.LBB12_1289:                            ;   in Loop: Header=BB12_950 Depth=1
	s_wait_xcnt 0x0
	s_or_b32 exec_lo, exec_lo, s10
	s_and_saveexec_b32 s10, s7
	s_cbranch_execz .LBB12_1419
; %bb.1290:                             ;   in Loop: Header=BB12_950 Depth=1
	s_and_b32 s7, 0xffff, s13
	s_delay_alu instid0(SALU_CYCLE_1) | instskip(SKIP_3) | instid1(VALU_DEP_1)
	s_cmp_eq_u32 s7, 0
	s_cselect_b32 vcc_lo, -1, 0
	v_lshlrev_b32_e32 v1, 16, v80
	s_wait_loadcnt 0x0
	v_dual_max_num_f32 v1, v1, v1 :: v_dual_lshlrev_b32 v0, 16, v32
	s_delay_alu instid0(VALU_DEP_1) | instskip(NEXT) | instid1(VALU_DEP_1)
	v_max_num_f32_e32 v0, v0, v0
	v_dual_min_num_f32 v2, v1, v0 :: v_dual_max_num_f32 v0, v1, v0
	s_delay_alu instid0(VALU_DEP_1) | instskip(NEXT) | instid1(VALU_DEP_1)
	v_cndmask_b32_e32 v0, v0, v2, vcc_lo
                                        ; implicit-def: $vgpr2
	v_and_b32_e32 v1, 0x7f800000, v0
	s_delay_alu instid0(VALU_DEP_1) | instskip(SKIP_1) | instid1(SALU_CYCLE_1)
	v_cmp_ne_u32_e64 s7, 0x7f800000, v1
	s_and_saveexec_b32 s11, s7
	s_xor_b32 s7, exec_lo, s11
; %bb.1291:                             ;   in Loop: Header=BB12_950 Depth=1
	v_bfe_u32 v1, v0, 16, 1
	s_delay_alu instid0(VALU_DEP_1)
	v_add3_u32 v2, v0, v1, 0x7fff
                                        ; implicit-def: $vgpr0
; %bb.1292:                             ;   in Loop: Header=BB12_950 Depth=1
	s_and_not1_saveexec_b32 s11, s7
; %bb.1293:                             ;   in Loop: Header=BB12_950 Depth=1
	v_and_b32_e32 v1, 0xffff, v0
	v_or_b32_e32 v2, 0x10000, v0
	s_delay_alu instid0(VALU_DEP_2) | instskip(NEXT) | instid1(VALU_DEP_1)
	v_cmp_eq_u32_e64 s7, 0, v1
	v_cndmask_b32_e64 v2, v2, v0, s7
; %bb.1294:                             ;   in Loop: Header=BB12_950 Depth=1
	s_or_b32 exec_lo, exec_lo, s11
	v_and_b32_e32 v0, 0xffff0000, v32
	v_and_b32_e32 v1, 0xffff0000, v80
	s_delay_alu instid0(VALU_DEP_1) | instskip(NEXT) | instid1(VALU_DEP_1)
	v_dual_max_num_f32 v0, v0, v0 :: v_dual_max_num_f32 v1, v1, v1
	v_dual_min_num_f32 v3, v1, v0 :: v_dual_max_num_f32 v0, v1, v0
	s_delay_alu instid0(VALU_DEP_1) | instskip(NEXT) | instid1(VALU_DEP_1)
	v_cndmask_b32_e32 v0, v0, v3, vcc_lo
                                        ; implicit-def: $vgpr3
	v_and_b32_e32 v1, 0x7f800000, v0
	s_delay_alu instid0(VALU_DEP_1) | instskip(SKIP_1) | instid1(SALU_CYCLE_1)
	v_cmp_ne_u32_e64 s7, 0x7f800000, v1
	s_and_saveexec_b32 s11, s7
	s_xor_b32 s7, exec_lo, s11
; %bb.1295:                             ;   in Loop: Header=BB12_950 Depth=1
	v_bfe_u32 v1, v0, 16, 1
	s_delay_alu instid0(VALU_DEP_1)
	v_add3_u32 v3, v0, v1, 0x7fff
                                        ; implicit-def: $vgpr0
; %bb.1296:                             ;   in Loop: Header=BB12_950 Depth=1
	s_and_not1_saveexec_b32 s11, s7
; %bb.1297:                             ;   in Loop: Header=BB12_950 Depth=1
	v_and_b32_e32 v1, 0xffff, v0
	v_or_b32_e32 v3, 0x10000, v0
	s_delay_alu instid0(VALU_DEP_2) | instskip(NEXT) | instid1(VALU_DEP_1)
	v_cmp_eq_u32_e64 s7, 0, v1
	v_cndmask_b32_e64 v3, v3, v0, s7
; %bb.1298:                             ;   in Loop: Header=BB12_950 Depth=1
	s_or_b32 exec_lo, exec_lo, s11
	v_lshlrev_b32_e32 v0, 16, v33
	s_delay_alu instid0(VALU_DEP_1) | instskip(NEXT) | instid1(VALU_DEP_1)
	v_dual_max_num_f32 v0, v0, v0 :: v_dual_lshlrev_b32 v1, 16, v81
	v_max_num_f32_e32 v1, v1, v1
	s_delay_alu instid0(VALU_DEP_1) | instskip(NEXT) | instid1(VALU_DEP_1)
	v_dual_min_num_f32 v30, v1, v0 :: v_dual_max_num_f32 v0, v1, v0
	v_cndmask_b32_e32 v0, v0, v30, vcc_lo
                                        ; implicit-def: $vgpr30
	s_delay_alu instid0(VALU_DEP_1) | instskip(NEXT) | instid1(VALU_DEP_1)
	v_and_b32_e32 v1, 0x7f800000, v0
	v_cmp_ne_u32_e64 s7, 0x7f800000, v1
	s_and_saveexec_b32 s11, s7
	s_delay_alu instid0(SALU_CYCLE_1)
	s_xor_b32 s7, exec_lo, s11
; %bb.1299:                             ;   in Loop: Header=BB12_950 Depth=1
	v_bfe_u32 v1, v0, 16, 1
	s_delay_alu instid0(VALU_DEP_1)
	v_add3_u32 v30, v0, v1, 0x7fff
                                        ; implicit-def: $vgpr0
; %bb.1300:                             ;   in Loop: Header=BB12_950 Depth=1
	s_and_not1_saveexec_b32 s11, s7
; %bb.1301:                             ;   in Loop: Header=BB12_950 Depth=1
	v_and_b32_e32 v1, 0xffff, v0
	v_or_b32_e32 v30, 0x10000, v0
	s_delay_alu instid0(VALU_DEP_2) | instskip(NEXT) | instid1(VALU_DEP_1)
	v_cmp_eq_u32_e64 s7, 0, v1
	v_cndmask_b32_e64 v30, v30, v0, s7
; %bb.1302:                             ;   in Loop: Header=BB12_950 Depth=1
	s_or_b32 exec_lo, exec_lo, s11
	v_and_b32_e32 v0, 0xffff0000, v33
	v_and_b32_e32 v1, 0xffff0000, v81
	s_delay_alu instid0(VALU_DEP_1) | instskip(NEXT) | instid1(VALU_DEP_1)
	v_dual_max_num_f32 v0, v0, v0 :: v_dual_max_num_f32 v1, v1, v1
	v_dual_min_num_f32 v31, v1, v0 :: v_dual_max_num_f32 v0, v1, v0
	s_delay_alu instid0(VALU_DEP_1) | instskip(NEXT) | instid1(VALU_DEP_1)
	v_cndmask_b32_e32 v0, v0, v31, vcc_lo
                                        ; implicit-def: $vgpr31
	v_and_b32_e32 v1, 0x7f800000, v0
	s_delay_alu instid0(VALU_DEP_1) | instskip(SKIP_1) | instid1(SALU_CYCLE_1)
	v_cmp_ne_u32_e64 s7, 0x7f800000, v1
	s_and_saveexec_b32 s11, s7
	s_xor_b32 s7, exec_lo, s11
; %bb.1303:                             ;   in Loop: Header=BB12_950 Depth=1
	v_bfe_u32 v1, v0, 16, 1
	s_delay_alu instid0(VALU_DEP_1)
	v_add3_u32 v31, v0, v1, 0x7fff
                                        ; implicit-def: $vgpr0
; %bb.1304:                             ;   in Loop: Header=BB12_950 Depth=1
	s_and_not1_saveexec_b32 s11, s7
; %bb.1305:                             ;   in Loop: Header=BB12_950 Depth=1
	v_and_b32_e32 v1, 0xffff, v0
	v_or_b32_e32 v31, 0x10000, v0
	s_delay_alu instid0(VALU_DEP_2) | instskip(NEXT) | instid1(VALU_DEP_1)
	v_cmp_eq_u32_e64 s7, 0, v1
	v_cndmask_b32_e64 v31, v31, v0, s7
; %bb.1306:                             ;   in Loop: Header=BB12_950 Depth=1
	s_or_b32 exec_lo, exec_lo, s11
	v_lshlrev_b32_e32 v1, 16, v82
	s_delay_alu instid0(VALU_DEP_1) | instskip(NEXT) | instid1(VALU_DEP_1)
	v_dual_max_num_f32 v1, v1, v1 :: v_dual_lshlrev_b32 v0, 16, v34
	v_max_num_f32_e32 v0, v0, v0
	s_delay_alu instid0(VALU_DEP_1) | instskip(NEXT) | instid1(VALU_DEP_1)
	v_dual_min_num_f32 v32, v1, v0 :: v_dual_max_num_f32 v0, v1, v0
	v_cndmask_b32_e32 v0, v0, v32, vcc_lo
                                        ; implicit-def: $vgpr32
	s_delay_alu instid0(VALU_DEP_1) | instskip(NEXT) | instid1(VALU_DEP_1)
	v_and_b32_e32 v1, 0x7f800000, v0
	v_cmp_ne_u32_e64 s7, 0x7f800000, v1
	s_and_saveexec_b32 s11, s7
	s_delay_alu instid0(SALU_CYCLE_1)
	s_xor_b32 s7, exec_lo, s11
; %bb.1307:                             ;   in Loop: Header=BB12_950 Depth=1
	v_bfe_u32 v1, v0, 16, 1
	s_delay_alu instid0(VALU_DEP_1)
	v_add3_u32 v32, v0, v1, 0x7fff
                                        ; implicit-def: $vgpr0
; %bb.1308:                             ;   in Loop: Header=BB12_950 Depth=1
	s_and_not1_saveexec_b32 s11, s7
; %bb.1309:                             ;   in Loop: Header=BB12_950 Depth=1
	v_and_b32_e32 v1, 0xffff, v0
	v_or_b32_e32 v32, 0x10000, v0
	s_delay_alu instid0(VALU_DEP_2) | instskip(NEXT) | instid1(VALU_DEP_1)
	v_cmp_eq_u32_e64 s7, 0, v1
	v_cndmask_b32_e64 v32, v32, v0, s7
; %bb.1310:                             ;   in Loop: Header=BB12_950 Depth=1
	s_or_b32 exec_lo, exec_lo, s11
	v_and_b32_e32 v0, 0xffff0000, v34
	v_and_b32_e32 v1, 0xffff0000, v82
	s_delay_alu instid0(VALU_DEP_1) | instskip(NEXT) | instid1(VALU_DEP_1)
	v_dual_max_num_f32 v0, v0, v0 :: v_dual_max_num_f32 v1, v1, v1
	v_dual_min_num_f32 v33, v1, v0 :: v_dual_max_num_f32 v0, v1, v0
	s_delay_alu instid0(VALU_DEP_1) | instskip(NEXT) | instid1(VALU_DEP_1)
	v_cndmask_b32_e32 v0, v0, v33, vcc_lo
                                        ; implicit-def: $vgpr33
	v_and_b32_e32 v1, 0x7f800000, v0
	s_delay_alu instid0(VALU_DEP_1) | instskip(SKIP_1) | instid1(SALU_CYCLE_1)
	v_cmp_ne_u32_e64 s7, 0x7f800000, v1
	s_and_saveexec_b32 s11, s7
	s_xor_b32 s7, exec_lo, s11
; %bb.1311:                             ;   in Loop: Header=BB12_950 Depth=1
	v_bfe_u32 v1, v0, 16, 1
	s_delay_alu instid0(VALU_DEP_1)
	v_add3_u32 v33, v0, v1, 0x7fff
                                        ; implicit-def: $vgpr0
; %bb.1312:                             ;   in Loop: Header=BB12_950 Depth=1
	s_and_not1_saveexec_b32 s11, s7
; %bb.1313:                             ;   in Loop: Header=BB12_950 Depth=1
	v_and_b32_e32 v1, 0xffff, v0
	v_or_b32_e32 v33, 0x10000, v0
	s_delay_alu instid0(VALU_DEP_2) | instskip(NEXT) | instid1(VALU_DEP_1)
	v_cmp_eq_u32_e64 s7, 0, v1
	v_cndmask_b32_e64 v33, v33, v0, s7
; %bb.1314:                             ;   in Loop: Header=BB12_950 Depth=1
	s_or_b32 exec_lo, exec_lo, s11
	v_lshlrev_b32_e32 v1, 16, v83
	s_delay_alu instid0(VALU_DEP_1) | instskip(NEXT) | instid1(VALU_DEP_1)
	v_dual_max_num_f32 v1, v1, v1 :: v_dual_lshlrev_b32 v0, 16, v35
	v_max_num_f32_e32 v0, v0, v0
	s_delay_alu instid0(VALU_DEP_1) | instskip(NEXT) | instid1(VALU_DEP_1)
	v_dual_min_num_f32 v34, v1, v0 :: v_dual_max_num_f32 v0, v1, v0
	v_cndmask_b32_e32 v1, v0, v34, vcc_lo
	s_delay_alu instid0(VALU_DEP_1) | instskip(NEXT) | instid1(VALU_DEP_1)
	v_and_b32_e32 v0, 0x7f800000, v1
	v_cmp_ne_u32_e64 s7, 0x7f800000, v0
                                        ; implicit-def: $vgpr0
	s_and_saveexec_b32 s11, s7
	s_delay_alu instid0(SALU_CYCLE_1)
	s_xor_b32 s7, exec_lo, s11
; %bb.1315:                             ;   in Loop: Header=BB12_950 Depth=1
	v_bfe_u32 v0, v1, 16, 1
	s_delay_alu instid0(VALU_DEP_1)
	v_add3_u32 v0, v1, v0, 0x7fff
                                        ; implicit-def: $vgpr1
; %bb.1316:                             ;   in Loop: Header=BB12_950 Depth=1
	s_and_not1_saveexec_b32 s11, s7
; %bb.1317:                             ;   in Loop: Header=BB12_950 Depth=1
	v_and_b32_e32 v0, 0xffff, v1
	v_or_b32_e32 v34, 0x10000, v1
	s_delay_alu instid0(VALU_DEP_2) | instskip(NEXT) | instid1(VALU_DEP_1)
	v_cmp_eq_u32_e64 s7, 0, v0
	v_cndmask_b32_e64 v0, v34, v1, s7
; %bb.1318:                             ;   in Loop: Header=BB12_950 Depth=1
	s_or_b32 exec_lo, exec_lo, s11
	v_and_b32_e32 v1, 0xffff0000, v35
	v_and_b32_e32 v34, 0xffff0000, v83
	s_delay_alu instid0(VALU_DEP_1) | instskip(NEXT) | instid1(VALU_DEP_1)
	v_dual_max_num_f32 v1, v1, v1 :: v_dual_max_num_f32 v34, v34, v34
	v_dual_min_num_f32 v35, v34, v1 :: v_dual_max_num_f32 v1, v34, v1
	s_delay_alu instid0(VALU_DEP_1) | instskip(NEXT) | instid1(VALU_DEP_1)
	v_cndmask_b32_e32 v34, v1, v35, vcc_lo
	v_and_b32_e32 v1, 0x7f800000, v34
	s_delay_alu instid0(VALU_DEP_1) | instskip(SKIP_1) | instid1(SALU_CYCLE_1)
	v_cmp_ne_u32_e64 s7, 0x7f800000, v1
                                        ; implicit-def: $vgpr1
	s_and_saveexec_b32 s11, s7
	s_xor_b32 s7, exec_lo, s11
; %bb.1319:                             ;   in Loop: Header=BB12_950 Depth=1
	v_bfe_u32 v1, v34, 16, 1
	s_delay_alu instid0(VALU_DEP_1)
	v_add3_u32 v1, v34, v1, 0x7fff
                                        ; implicit-def: $vgpr34
; %bb.1320:                             ;   in Loop: Header=BB12_950 Depth=1
	s_and_not1_saveexec_b32 s11, s7
; %bb.1321:                             ;   in Loop: Header=BB12_950 Depth=1
	v_and_b32_e32 v1, 0xffff, v34
	v_or_b32_e32 v35, 0x10000, v34
	s_delay_alu instid0(VALU_DEP_2) | instskip(NEXT) | instid1(VALU_DEP_1)
	v_cmp_eq_u32_e64 s7, 0, v1
	v_cndmask_b32_e64 v1, v35, v34, s7
; %bb.1322:                             ;   in Loop: Header=BB12_950 Depth=1
	s_or_b32 exec_lo, exec_lo, s11
	v_dual_lshlrev_b32 v34, 16, v22 :: v_dual_lshlrev_b32 v35, 16, v36
	s_delay_alu instid0(VALU_DEP_1) | instskip(NEXT) | instid1(VALU_DEP_1)
	v_dual_max_num_f32 v34, v34, v34 :: v_dual_max_num_f32 v35, v35, v35
	v_dual_min_num_f32 v48, v35, v34 :: v_dual_max_num_f32 v34, v35, v34
	s_delay_alu instid0(VALU_DEP_1) | instskip(NEXT) | instid1(VALU_DEP_1)
	v_cndmask_b32_e32 v35, v34, v48, vcc_lo
	v_and_b32_e32 v34, 0x7f800000, v35
	s_delay_alu instid0(VALU_DEP_1) | instskip(SKIP_1) | instid1(SALU_CYCLE_1)
	v_cmp_ne_u32_e64 s7, 0x7f800000, v34
                                        ; implicit-def: $vgpr34
	s_and_saveexec_b32 s11, s7
	s_xor_b32 s7, exec_lo, s11
; %bb.1323:                             ;   in Loop: Header=BB12_950 Depth=1
	v_bfe_u32 v34, v35, 16, 1
	s_delay_alu instid0(VALU_DEP_1)
	v_add3_u32 v34, v35, v34, 0x7fff
                                        ; implicit-def: $vgpr35
; %bb.1324:                             ;   in Loop: Header=BB12_950 Depth=1
	s_and_not1_saveexec_b32 s11, s7
; %bb.1325:                             ;   in Loop: Header=BB12_950 Depth=1
	v_and_b32_e32 v34, 0xffff, v35
	v_or_b32_e32 v48, 0x10000, v35
	s_delay_alu instid0(VALU_DEP_2) | instskip(NEXT) | instid1(VALU_DEP_1)
	v_cmp_eq_u32_e64 s7, 0, v34
	v_cndmask_b32_e64 v34, v48, v35, s7
; %bb.1326:                             ;   in Loop: Header=BB12_950 Depth=1
	s_or_b32 exec_lo, exec_lo, s11
	v_and_b32_e32 v22, 0xffff0000, v22
	v_and_b32_e32 v35, 0xffff0000, v36
	s_delay_alu instid0(VALU_DEP_1) | instskip(NEXT) | instid1(VALU_DEP_1)
	v_dual_max_num_f32 v22, v22, v22 :: v_dual_max_num_f32 v35, v35, v35
	v_dual_min_num_f32 v36, v35, v22 :: v_dual_max_num_f32 v22, v35, v22
	s_delay_alu instid0(VALU_DEP_1) | instskip(NEXT) | instid1(VALU_DEP_1)
	v_cndmask_b32_e32 v35, v22, v36, vcc_lo
	v_and_b32_e32 v22, 0x7f800000, v35
	s_delay_alu instid0(VALU_DEP_1) | instskip(SKIP_1) | instid1(SALU_CYCLE_1)
	v_cmp_ne_u32_e64 s7, 0x7f800000, v22
                                        ; implicit-def: $vgpr22
	s_and_saveexec_b32 s11, s7
	s_xor_b32 s7, exec_lo, s11
; %bb.1327:                             ;   in Loop: Header=BB12_950 Depth=1
	v_bfe_u32 v22, v35, 16, 1
	s_delay_alu instid0(VALU_DEP_1)
	v_add3_u32 v22, v35, v22, 0x7fff
                                        ; implicit-def: $vgpr35
; %bb.1328:                             ;   in Loop: Header=BB12_950 Depth=1
	s_and_not1_saveexec_b32 s11, s7
; %bb.1329:                             ;   in Loop: Header=BB12_950 Depth=1
	v_and_b32_e32 v22, 0xffff, v35
	v_or_b32_e32 v36, 0x10000, v35
	s_delay_alu instid0(VALU_DEP_2) | instskip(NEXT) | instid1(VALU_DEP_1)
	v_cmp_eq_u32_e64 s7, 0, v22
	v_cndmask_b32_e64 v22, v36, v35, s7
; %bb.1330:                             ;   in Loop: Header=BB12_950 Depth=1
	s_or_b32 exec_lo, exec_lo, s11
	v_dual_lshlrev_b32 v35, 16, v23 :: v_dual_lshlrev_b32 v36, 16, v37
	s_delay_alu instid0(VALU_DEP_1) | instskip(NEXT) | instid1(VALU_DEP_1)
	v_dual_max_num_f32 v35, v35, v35 :: v_dual_max_num_f32 v36, v36, v36
	v_dual_min_num_f32 v48, v36, v35 :: v_dual_max_num_f32 v35, v36, v35
	s_delay_alu instid0(VALU_DEP_1) | instskip(NEXT) | instid1(VALU_DEP_1)
	v_cndmask_b32_e32 v36, v35, v48, vcc_lo
	v_and_b32_e32 v35, 0x7f800000, v36
	s_delay_alu instid0(VALU_DEP_1) | instskip(SKIP_1) | instid1(SALU_CYCLE_1)
	v_cmp_ne_u32_e64 s7, 0x7f800000, v35
                                        ; implicit-def: $vgpr35
	s_and_saveexec_b32 s11, s7
	s_xor_b32 s7, exec_lo, s11
; %bb.1331:                             ;   in Loop: Header=BB12_950 Depth=1
	v_bfe_u32 v35, v36, 16, 1
	s_delay_alu instid0(VALU_DEP_1)
	v_add3_u32 v35, v36, v35, 0x7fff
                                        ; implicit-def: $vgpr36
; %bb.1332:                             ;   in Loop: Header=BB12_950 Depth=1
	s_and_not1_saveexec_b32 s11, s7
; %bb.1333:                             ;   in Loop: Header=BB12_950 Depth=1
	v_and_b32_e32 v35, 0xffff, v36
	v_or_b32_e32 v48, 0x10000, v36
	s_delay_alu instid0(VALU_DEP_2) | instskip(NEXT) | instid1(VALU_DEP_1)
	v_cmp_eq_u32_e64 s7, 0, v35
	v_cndmask_b32_e64 v35, v48, v36, s7
; %bb.1334:                             ;   in Loop: Header=BB12_950 Depth=1
	s_or_b32 exec_lo, exec_lo, s11
	v_and_b32_e32 v23, 0xffff0000, v23
	v_and_b32_e32 v36, 0xffff0000, v37
	s_delay_alu instid0(VALU_DEP_1) | instskip(NEXT) | instid1(VALU_DEP_1)
	v_dual_max_num_f32 v23, v23, v23 :: v_dual_max_num_f32 v36, v36, v36
	v_dual_min_num_f32 v37, v36, v23 :: v_dual_max_num_f32 v23, v36, v23
	s_delay_alu instid0(VALU_DEP_1) | instskip(NEXT) | instid1(VALU_DEP_1)
	v_cndmask_b32_e32 v36, v23, v37, vcc_lo
	v_and_b32_e32 v23, 0x7f800000, v36
	s_delay_alu instid0(VALU_DEP_1) | instskip(SKIP_1) | instid1(SALU_CYCLE_1)
	v_cmp_ne_u32_e64 s7, 0x7f800000, v23
                                        ; implicit-def: $vgpr23
	s_and_saveexec_b32 s11, s7
	s_xor_b32 s7, exec_lo, s11
; %bb.1335:                             ;   in Loop: Header=BB12_950 Depth=1
	v_bfe_u32 v23, v36, 16, 1
	s_delay_alu instid0(VALU_DEP_1)
	v_add3_u32 v23, v36, v23, 0x7fff
                                        ; implicit-def: $vgpr36
; %bb.1336:                             ;   in Loop: Header=BB12_950 Depth=1
	s_and_not1_saveexec_b32 s11, s7
; %bb.1337:                             ;   in Loop: Header=BB12_950 Depth=1
	v_and_b32_e32 v23, 0xffff, v36
	v_or_b32_e32 v37, 0x10000, v36
	s_delay_alu instid0(VALU_DEP_2) | instskip(NEXT) | instid1(VALU_DEP_1)
	v_cmp_eq_u32_e64 s7, 0, v23
	v_cndmask_b32_e64 v23, v37, v36, s7
; %bb.1338:                             ;   in Loop: Header=BB12_950 Depth=1
	s_or_b32 exec_lo, exec_lo, s11
	v_dual_lshlrev_b32 v36, 16, v24 :: v_dual_lshlrev_b32 v37, 16, v38
	s_delay_alu instid0(VALU_DEP_1) | instskip(NEXT) | instid1(VALU_DEP_1)
	v_dual_max_num_f32 v36, v36, v36 :: v_dual_max_num_f32 v37, v37, v37
	v_dual_min_num_f32 v48, v37, v36 :: v_dual_max_num_f32 v36, v37, v36
	s_delay_alu instid0(VALU_DEP_1) | instskip(NEXT) | instid1(VALU_DEP_1)
	v_cndmask_b32_e32 v37, v36, v48, vcc_lo
	v_and_b32_e32 v36, 0x7f800000, v37
	s_delay_alu instid0(VALU_DEP_1) | instskip(SKIP_1) | instid1(SALU_CYCLE_1)
	v_cmp_ne_u32_e64 s7, 0x7f800000, v36
                                        ; implicit-def: $vgpr36
	s_and_saveexec_b32 s11, s7
	s_xor_b32 s7, exec_lo, s11
; %bb.1339:                             ;   in Loop: Header=BB12_950 Depth=1
	v_bfe_u32 v36, v37, 16, 1
	s_delay_alu instid0(VALU_DEP_1)
	v_add3_u32 v36, v37, v36, 0x7fff
                                        ; implicit-def: $vgpr37
; %bb.1340:                             ;   in Loop: Header=BB12_950 Depth=1
	s_and_not1_saveexec_b32 s11, s7
; %bb.1341:                             ;   in Loop: Header=BB12_950 Depth=1
	v_and_b32_e32 v36, 0xffff, v37
	v_or_b32_e32 v48, 0x10000, v37
	s_delay_alu instid0(VALU_DEP_2) | instskip(NEXT) | instid1(VALU_DEP_1)
	v_cmp_eq_u32_e64 s7, 0, v36
	v_cndmask_b32_e64 v36, v48, v37, s7
; %bb.1342:                             ;   in Loop: Header=BB12_950 Depth=1
	s_or_b32 exec_lo, exec_lo, s11
	v_and_b32_e32 v24, 0xffff0000, v24
	v_and_b32_e32 v37, 0xffff0000, v38
	s_delay_alu instid0(VALU_DEP_1) | instskip(NEXT) | instid1(VALU_DEP_1)
	v_dual_max_num_f32 v24, v24, v24 :: v_dual_max_num_f32 v37, v37, v37
	v_dual_min_num_f32 v38, v37, v24 :: v_dual_max_num_f32 v24, v37, v24
	s_delay_alu instid0(VALU_DEP_1) | instskip(NEXT) | instid1(VALU_DEP_1)
	v_cndmask_b32_e32 v37, v24, v38, vcc_lo
	v_and_b32_e32 v24, 0x7f800000, v37
	s_delay_alu instid0(VALU_DEP_1) | instskip(SKIP_1) | instid1(SALU_CYCLE_1)
	v_cmp_ne_u32_e64 s7, 0x7f800000, v24
                                        ; implicit-def: $vgpr24
	s_and_saveexec_b32 s11, s7
	s_xor_b32 s7, exec_lo, s11
; %bb.1343:                             ;   in Loop: Header=BB12_950 Depth=1
	v_bfe_u32 v24, v37, 16, 1
	s_delay_alu instid0(VALU_DEP_1)
	v_add3_u32 v24, v37, v24, 0x7fff
                                        ; implicit-def: $vgpr37
; %bb.1344:                             ;   in Loop: Header=BB12_950 Depth=1
	s_and_not1_saveexec_b32 s11, s7
; %bb.1345:                             ;   in Loop: Header=BB12_950 Depth=1
	v_and_b32_e32 v24, 0xffff, v37
	v_or_b32_e32 v38, 0x10000, v37
	s_delay_alu instid0(VALU_DEP_2) | instskip(NEXT) | instid1(VALU_DEP_1)
	v_cmp_eq_u32_e64 s7, 0, v24
	v_cndmask_b32_e64 v24, v38, v37, s7
; %bb.1346:                             ;   in Loop: Header=BB12_950 Depth=1
	s_or_b32 exec_lo, exec_lo, s11
	v_dual_lshlrev_b32 v37, 16, v25 :: v_dual_lshlrev_b32 v38, 16, v39
	s_delay_alu instid0(VALU_DEP_1) | instskip(NEXT) | instid1(VALU_DEP_1)
	v_dual_max_num_f32 v37, v37, v37 :: v_dual_max_num_f32 v38, v38, v38
	v_dual_min_num_f32 v48, v38, v37 :: v_dual_max_num_f32 v37, v38, v37
	s_delay_alu instid0(VALU_DEP_1) | instskip(NEXT) | instid1(VALU_DEP_1)
	v_cndmask_b32_e32 v38, v37, v48, vcc_lo
	v_and_b32_e32 v37, 0x7f800000, v38
	s_delay_alu instid0(VALU_DEP_1) | instskip(SKIP_1) | instid1(SALU_CYCLE_1)
	v_cmp_ne_u32_e64 s7, 0x7f800000, v37
                                        ; implicit-def: $vgpr37
	s_and_saveexec_b32 s11, s7
	s_xor_b32 s7, exec_lo, s11
; %bb.1347:                             ;   in Loop: Header=BB12_950 Depth=1
	v_bfe_u32 v37, v38, 16, 1
	s_delay_alu instid0(VALU_DEP_1)
	v_add3_u32 v37, v38, v37, 0x7fff
                                        ; implicit-def: $vgpr38
; %bb.1348:                             ;   in Loop: Header=BB12_950 Depth=1
	s_and_not1_saveexec_b32 s11, s7
; %bb.1349:                             ;   in Loop: Header=BB12_950 Depth=1
	v_and_b32_e32 v37, 0xffff, v38
	v_or_b32_e32 v48, 0x10000, v38
	s_delay_alu instid0(VALU_DEP_2) | instskip(NEXT) | instid1(VALU_DEP_1)
	v_cmp_eq_u32_e64 s7, 0, v37
	v_cndmask_b32_e64 v37, v48, v38, s7
; %bb.1350:                             ;   in Loop: Header=BB12_950 Depth=1
	s_or_b32 exec_lo, exec_lo, s11
	v_and_b32_e32 v25, 0xffff0000, v25
	v_and_b32_e32 v38, 0xffff0000, v39
	s_delay_alu instid0(VALU_DEP_1) | instskip(NEXT) | instid1(VALU_DEP_1)
	v_dual_max_num_f32 v25, v25, v25 :: v_dual_max_num_f32 v38, v38, v38
	v_dual_min_num_f32 v39, v38, v25 :: v_dual_max_num_f32 v25, v38, v25
	s_delay_alu instid0(VALU_DEP_1) | instskip(NEXT) | instid1(VALU_DEP_1)
	v_cndmask_b32_e32 v38, v25, v39, vcc_lo
	v_and_b32_e32 v25, 0x7f800000, v38
	s_delay_alu instid0(VALU_DEP_1) | instskip(SKIP_1) | instid1(SALU_CYCLE_1)
	v_cmp_ne_u32_e64 s7, 0x7f800000, v25
                                        ; implicit-def: $vgpr25
	s_and_saveexec_b32 s11, s7
	s_xor_b32 s7, exec_lo, s11
; %bb.1351:                             ;   in Loop: Header=BB12_950 Depth=1
	v_bfe_u32 v25, v38, 16, 1
	s_delay_alu instid0(VALU_DEP_1)
	v_add3_u32 v25, v38, v25, 0x7fff
                                        ; implicit-def: $vgpr38
; %bb.1352:                             ;   in Loop: Header=BB12_950 Depth=1
	s_and_not1_saveexec_b32 s11, s7
; %bb.1353:                             ;   in Loop: Header=BB12_950 Depth=1
	v_and_b32_e32 v25, 0xffff, v38
	v_or_b32_e32 v39, 0x10000, v38
	s_delay_alu instid0(VALU_DEP_2) | instskip(NEXT) | instid1(VALU_DEP_1)
	v_cmp_eq_u32_e64 s7, 0, v25
	v_cndmask_b32_e64 v25, v39, v38, s7
; %bb.1354:                             ;   in Loop: Header=BB12_950 Depth=1
	s_or_b32 exec_lo, exec_lo, s11
	v_lshlrev_b32_e32 v39, 16, v26
	s_delay_alu instid0(VALU_DEP_1) | instskip(NEXT) | instid1(VALU_DEP_1)
	v_dual_max_num_f32 v39, v39, v39 :: v_dual_lshlrev_b32 v38, 16, v18
	v_max_num_f32_e32 v38, v38, v38
	s_delay_alu instid0(VALU_DEP_1) | instskip(NEXT) | instid1(VALU_DEP_1)
	v_dual_min_num_f32 v48, v39, v38 :: v_dual_max_num_f32 v38, v39, v38
	v_cndmask_b32_e32 v39, v38, v48, vcc_lo
	s_delay_alu instid0(VALU_DEP_1) | instskip(NEXT) | instid1(VALU_DEP_1)
	v_and_b32_e32 v38, 0x7f800000, v39
	v_cmp_ne_u32_e64 s7, 0x7f800000, v38
                                        ; implicit-def: $vgpr38
	s_and_saveexec_b32 s11, s7
	s_delay_alu instid0(SALU_CYCLE_1)
	s_xor_b32 s7, exec_lo, s11
; %bb.1355:                             ;   in Loop: Header=BB12_950 Depth=1
	v_bfe_u32 v38, v39, 16, 1
	s_delay_alu instid0(VALU_DEP_1)
	v_add3_u32 v38, v39, v38, 0x7fff
                                        ; implicit-def: $vgpr39
; %bb.1356:                             ;   in Loop: Header=BB12_950 Depth=1
	s_and_not1_saveexec_b32 s11, s7
; %bb.1357:                             ;   in Loop: Header=BB12_950 Depth=1
	v_and_b32_e32 v38, 0xffff, v39
	v_or_b32_e32 v48, 0x10000, v39
	s_delay_alu instid0(VALU_DEP_2) | instskip(NEXT) | instid1(VALU_DEP_1)
	v_cmp_eq_u32_e64 s7, 0, v38
	v_cndmask_b32_e64 v38, v48, v39, s7
; %bb.1358:                             ;   in Loop: Header=BB12_950 Depth=1
	s_or_b32 exec_lo, exec_lo, s11
	v_and_b32_e32 v18, 0xffff0000, v18
	v_and_b32_e32 v26, 0xffff0000, v26
	s_delay_alu instid0(VALU_DEP_2) | instskip(NEXT) | instid1(VALU_DEP_2)
	v_max_num_f32_e32 v18, v18, v18
	v_max_num_f32_e32 v26, v26, v26
	s_delay_alu instid0(VALU_DEP_1) | instskip(NEXT) | instid1(VALU_DEP_1)
	v_dual_min_num_f32 v39, v26, v18 :: v_dual_max_num_f32 v18, v26, v18
	v_cndmask_b32_e32 v26, v18, v39, vcc_lo
	s_delay_alu instid0(VALU_DEP_1) | instskip(NEXT) | instid1(VALU_DEP_1)
	v_and_b32_e32 v18, 0x7f800000, v26
	v_cmp_ne_u32_e64 s7, 0x7f800000, v18
                                        ; implicit-def: $vgpr18
	s_and_saveexec_b32 s11, s7
	s_delay_alu instid0(SALU_CYCLE_1)
	s_xor_b32 s7, exec_lo, s11
; %bb.1359:                             ;   in Loop: Header=BB12_950 Depth=1
	v_bfe_u32 v18, v26, 16, 1
	s_delay_alu instid0(VALU_DEP_1)
	v_add3_u32 v18, v26, v18, 0x7fff
                                        ; implicit-def: $vgpr26
; %bb.1360:                             ;   in Loop: Header=BB12_950 Depth=1
	s_and_not1_saveexec_b32 s11, s7
; %bb.1361:                             ;   in Loop: Header=BB12_950 Depth=1
	v_and_b32_e32 v18, 0xffff, v26
	v_or_b32_e32 v39, 0x10000, v26
	s_delay_alu instid0(VALU_DEP_2) | instskip(NEXT) | instid1(VALU_DEP_1)
	v_cmp_eq_u32_e64 s7, 0, v18
	v_cndmask_b32_e64 v18, v39, v26, s7
; %bb.1362:                             ;   in Loop: Header=BB12_950 Depth=1
	s_or_b32 exec_lo, exec_lo, s11
	v_lshlrev_b32_e32 v26, 16, v19
	s_delay_alu instid0(VALU_DEP_1) | instskip(NEXT) | instid1(VALU_DEP_1)
	v_dual_max_num_f32 v26, v26, v26 :: v_dual_lshlrev_b32 v39, 16, v27
	v_max_num_f32_e32 v39, v39, v39
	s_delay_alu instid0(VALU_DEP_1) | instskip(NEXT) | instid1(VALU_DEP_1)
	v_dual_min_num_f32 v48, v39, v26 :: v_dual_max_num_f32 v26, v39, v26
	v_cndmask_b32_e32 v39, v26, v48, vcc_lo
	s_delay_alu instid0(VALU_DEP_1) | instskip(NEXT) | instid1(VALU_DEP_1)
	v_and_b32_e32 v26, 0x7f800000, v39
	v_cmp_ne_u32_e64 s7, 0x7f800000, v26
                                        ; implicit-def: $vgpr26
	s_and_saveexec_b32 s11, s7
	s_delay_alu instid0(SALU_CYCLE_1)
	s_xor_b32 s7, exec_lo, s11
; %bb.1363:                             ;   in Loop: Header=BB12_950 Depth=1
	v_bfe_u32 v26, v39, 16, 1
	s_delay_alu instid0(VALU_DEP_1)
	v_add3_u32 v26, v39, v26, 0x7fff
                                        ; implicit-def: $vgpr39
; %bb.1364:                             ;   in Loop: Header=BB12_950 Depth=1
	s_and_not1_saveexec_b32 s11, s7
; %bb.1365:                             ;   in Loop: Header=BB12_950 Depth=1
	v_and_b32_e32 v26, 0xffff, v39
	v_or_b32_e32 v48, 0x10000, v39
	s_delay_alu instid0(VALU_DEP_2) | instskip(NEXT) | instid1(VALU_DEP_1)
	v_cmp_eq_u32_e64 s7, 0, v26
	v_cndmask_b32_e64 v26, v48, v39, s7
; %bb.1366:                             ;   in Loop: Header=BB12_950 Depth=1
	s_or_b32 exec_lo, exec_lo, s11
	v_and_b32_e32 v19, 0xffff0000, v19
	v_and_b32_e32 v27, 0xffff0000, v27
	s_delay_alu instid0(VALU_DEP_2) | instskip(NEXT) | instid1(VALU_DEP_2)
	v_max_num_f32_e32 v19, v19, v19
	v_max_num_f32_e32 v27, v27, v27
	s_delay_alu instid0(VALU_DEP_1) | instskip(NEXT) | instid1(VALU_DEP_1)
	v_dual_min_num_f32 v39, v27, v19 :: v_dual_max_num_f32 v19, v27, v19
	v_cndmask_b32_e32 v27, v19, v39, vcc_lo
	s_delay_alu instid0(VALU_DEP_1) | instskip(NEXT) | instid1(VALU_DEP_1)
	v_and_b32_e32 v19, 0x7f800000, v27
	v_cmp_ne_u32_e64 s7, 0x7f800000, v19
                                        ; implicit-def: $vgpr19
	s_and_saveexec_b32 s11, s7
	s_delay_alu instid0(SALU_CYCLE_1)
	s_xor_b32 s7, exec_lo, s11
; %bb.1367:                             ;   in Loop: Header=BB12_950 Depth=1
	v_bfe_u32 v19, v27, 16, 1
	s_delay_alu instid0(VALU_DEP_1)
	v_add3_u32 v19, v27, v19, 0x7fff
                                        ; implicit-def: $vgpr27
; %bb.1368:                             ;   in Loop: Header=BB12_950 Depth=1
	s_and_not1_saveexec_b32 s11, s7
; %bb.1369:                             ;   in Loop: Header=BB12_950 Depth=1
	v_and_b32_e32 v19, 0xffff, v27
	v_or_b32_e32 v39, 0x10000, v27
	s_delay_alu instid0(VALU_DEP_2) | instskip(NEXT) | instid1(VALU_DEP_1)
	v_cmp_eq_u32_e64 s7, 0, v19
	v_cndmask_b32_e64 v19, v39, v27, s7
; %bb.1370:                             ;   in Loop: Header=BB12_950 Depth=1
	s_or_b32 exec_lo, exec_lo, s11
	v_lshlrev_b32_e32 v39, 16, v28
	s_delay_alu instid0(VALU_DEP_1) | instskip(NEXT) | instid1(VALU_DEP_1)
	v_dual_lshlrev_b32 v27, 16, v20 :: v_dual_max_num_f32 v39, v39, v39
	v_max_num_f32_e32 v27, v27, v27
	s_delay_alu instid0(VALU_DEP_1) | instskip(NEXT) | instid1(VALU_DEP_1)
	v_dual_min_num_f32 v48, v39, v27 :: v_dual_max_num_f32 v27, v39, v27
	v_cndmask_b32_e32 v39, v27, v48, vcc_lo
	s_delay_alu instid0(VALU_DEP_1) | instskip(NEXT) | instid1(VALU_DEP_1)
	v_and_b32_e32 v27, 0x7f800000, v39
	v_cmp_ne_u32_e64 s7, 0x7f800000, v27
                                        ; implicit-def: $vgpr27
	s_and_saveexec_b32 s11, s7
	s_delay_alu instid0(SALU_CYCLE_1)
	s_xor_b32 s7, exec_lo, s11
; %bb.1371:                             ;   in Loop: Header=BB12_950 Depth=1
	v_bfe_u32 v27, v39, 16, 1
	s_delay_alu instid0(VALU_DEP_1)
	v_add3_u32 v27, v39, v27, 0x7fff
                                        ; implicit-def: $vgpr39
; %bb.1372:                             ;   in Loop: Header=BB12_950 Depth=1
	s_and_not1_saveexec_b32 s11, s7
; %bb.1373:                             ;   in Loop: Header=BB12_950 Depth=1
	v_and_b32_e32 v27, 0xffff, v39
	v_or_b32_e32 v48, 0x10000, v39
	s_delay_alu instid0(VALU_DEP_2) | instskip(NEXT) | instid1(VALU_DEP_1)
	v_cmp_eq_u32_e64 s7, 0, v27
	v_cndmask_b32_e64 v27, v48, v39, s7
; %bb.1374:                             ;   in Loop: Header=BB12_950 Depth=1
	s_or_b32 exec_lo, exec_lo, s11
	v_and_b32_e32 v20, 0xffff0000, v20
	v_and_b32_e32 v28, 0xffff0000, v28
	s_delay_alu instid0(VALU_DEP_2) | instskip(NEXT) | instid1(VALU_DEP_2)
	v_max_num_f32_e32 v20, v20, v20
	v_max_num_f32_e32 v28, v28, v28
	s_delay_alu instid0(VALU_DEP_1) | instskip(NEXT) | instid1(VALU_DEP_1)
	v_dual_min_num_f32 v39, v28, v20 :: v_dual_max_num_f32 v20, v28, v20
	v_cndmask_b32_e32 v28, v20, v39, vcc_lo
	s_delay_alu instid0(VALU_DEP_1) | instskip(NEXT) | instid1(VALU_DEP_1)
	v_and_b32_e32 v20, 0x7f800000, v28
	v_cmp_ne_u32_e64 s7, 0x7f800000, v20
                                        ; implicit-def: $vgpr20
	s_and_saveexec_b32 s11, s7
	s_delay_alu instid0(SALU_CYCLE_1)
	s_xor_b32 s7, exec_lo, s11
; %bb.1375:                             ;   in Loop: Header=BB12_950 Depth=1
	v_bfe_u32 v20, v28, 16, 1
	s_delay_alu instid0(VALU_DEP_1)
	v_add3_u32 v20, v28, v20, 0x7fff
                                        ; implicit-def: $vgpr28
; %bb.1376:                             ;   in Loop: Header=BB12_950 Depth=1
	s_and_not1_saveexec_b32 s11, s7
; %bb.1377:                             ;   in Loop: Header=BB12_950 Depth=1
	v_and_b32_e32 v20, 0xffff, v28
	v_or_b32_e32 v39, 0x10000, v28
	s_delay_alu instid0(VALU_DEP_2) | instskip(NEXT) | instid1(VALU_DEP_1)
	v_cmp_eq_u32_e64 s7, 0, v20
	v_cndmask_b32_e64 v20, v39, v28, s7
; %bb.1378:                             ;   in Loop: Header=BB12_950 Depth=1
	s_or_b32 exec_lo, exec_lo, s11
	v_lshlrev_b32_e32 v39, 16, v29
	s_delay_alu instid0(VALU_DEP_1) | instskip(NEXT) | instid1(VALU_DEP_1)
	v_dual_max_num_f32 v39, v39, v39 :: v_dual_lshlrev_b32 v28, 16, v21
	v_max_num_f32_e32 v28, v28, v28
	s_delay_alu instid0(VALU_DEP_1) | instskip(NEXT) | instid1(VALU_DEP_1)
	v_dual_min_num_f32 v48, v39, v28 :: v_dual_max_num_f32 v28, v39, v28
	v_cndmask_b32_e32 v39, v28, v48, vcc_lo
	s_delay_alu instid0(VALU_DEP_1) | instskip(NEXT) | instid1(VALU_DEP_1)
	v_and_b32_e32 v28, 0x7f800000, v39
	v_cmp_ne_u32_e64 s7, 0x7f800000, v28
                                        ; implicit-def: $vgpr28
	s_and_saveexec_b32 s11, s7
	s_delay_alu instid0(SALU_CYCLE_1)
	s_xor_b32 s7, exec_lo, s11
; %bb.1379:                             ;   in Loop: Header=BB12_950 Depth=1
	v_bfe_u32 v28, v39, 16, 1
	s_delay_alu instid0(VALU_DEP_1)
	v_add3_u32 v28, v39, v28, 0x7fff
                                        ; implicit-def: $vgpr39
; %bb.1380:                             ;   in Loop: Header=BB12_950 Depth=1
	s_and_not1_saveexec_b32 s11, s7
; %bb.1381:                             ;   in Loop: Header=BB12_950 Depth=1
	v_and_b32_e32 v28, 0xffff, v39
	v_or_b32_e32 v48, 0x10000, v39
	s_delay_alu instid0(VALU_DEP_2) | instskip(NEXT) | instid1(VALU_DEP_1)
	v_cmp_eq_u32_e64 s7, 0, v28
	v_cndmask_b32_e64 v28, v48, v39, s7
; %bb.1382:                             ;   in Loop: Header=BB12_950 Depth=1
	s_or_b32 exec_lo, exec_lo, s11
	v_and_b32_e32 v21, 0xffff0000, v21
	v_and_b32_e32 v29, 0xffff0000, v29
	s_delay_alu instid0(VALU_DEP_2) | instskip(NEXT) | instid1(VALU_DEP_2)
	v_max_num_f32_e32 v21, v21, v21
	v_max_num_f32_e32 v29, v29, v29
	s_delay_alu instid0(VALU_DEP_1) | instskip(NEXT) | instid1(VALU_DEP_1)
	v_dual_min_num_f32 v39, v29, v21 :: v_dual_max_num_f32 v21, v29, v21
	v_cndmask_b32_e32 v29, v21, v39, vcc_lo
	s_delay_alu instid0(VALU_DEP_1) | instskip(NEXT) | instid1(VALU_DEP_1)
	v_and_b32_e32 v21, 0x7f800000, v29
	v_cmp_ne_u32_e64 s7, 0x7f800000, v21
                                        ; implicit-def: $vgpr21
	s_and_saveexec_b32 s11, s7
	s_delay_alu instid0(SALU_CYCLE_1)
	s_xor_b32 s7, exec_lo, s11
; %bb.1383:                             ;   in Loop: Header=BB12_950 Depth=1
	v_bfe_u32 v21, v29, 16, 1
	s_delay_alu instid0(VALU_DEP_1)
	v_add3_u32 v21, v29, v21, 0x7fff
                                        ; implicit-def: $vgpr29
; %bb.1384:                             ;   in Loop: Header=BB12_950 Depth=1
	s_and_not1_saveexec_b32 s11, s7
; %bb.1385:                             ;   in Loop: Header=BB12_950 Depth=1
	v_and_b32_e32 v21, 0xffff, v29
	v_or_b32_e32 v39, 0x10000, v29
	s_delay_alu instid0(VALU_DEP_2) | instskip(NEXT) | instid1(VALU_DEP_1)
	v_cmp_eq_u32_e64 s7, 0, v21
	v_cndmask_b32_e64 v21, v39, v29, s7
; %bb.1386:                             ;   in Loop: Header=BB12_950 Depth=1
	s_or_b32 exec_lo, exec_lo, s11
	v_lshlrev_b32_e32 v39, 16, v14
	s_delay_alu instid0(VALU_DEP_1) | instskip(NEXT) | instid1(VALU_DEP_1)
	v_dual_lshlrev_b32 v29, 16, v10 :: v_dual_max_num_f32 v39, v39, v39
	v_max_num_f32_e32 v29, v29, v29
	s_delay_alu instid0(VALU_DEP_1) | instskip(NEXT) | instid1(VALU_DEP_1)
	v_dual_min_num_f32 v48, v39, v29 :: v_dual_max_num_f32 v29, v39, v29
	v_cndmask_b32_e32 v39, v29, v48, vcc_lo
	s_delay_alu instid0(VALU_DEP_1) | instskip(NEXT) | instid1(VALU_DEP_1)
	v_and_b32_e32 v29, 0x7f800000, v39
	v_cmp_ne_u32_e64 s7, 0x7f800000, v29
                                        ; implicit-def: $vgpr29
	s_and_saveexec_b32 s11, s7
	s_delay_alu instid0(SALU_CYCLE_1)
	s_xor_b32 s7, exec_lo, s11
; %bb.1387:                             ;   in Loop: Header=BB12_950 Depth=1
	v_bfe_u32 v29, v39, 16, 1
	s_delay_alu instid0(VALU_DEP_1)
	v_add3_u32 v29, v39, v29, 0x7fff
                                        ; implicit-def: $vgpr39
; %bb.1388:                             ;   in Loop: Header=BB12_950 Depth=1
	s_and_not1_saveexec_b32 s11, s7
; %bb.1389:                             ;   in Loop: Header=BB12_950 Depth=1
	v_and_b32_e32 v29, 0xffff, v39
	v_or_b32_e32 v48, 0x10000, v39
	s_delay_alu instid0(VALU_DEP_2) | instskip(NEXT) | instid1(VALU_DEP_1)
	v_cmp_eq_u32_e64 s7, 0, v29
	v_cndmask_b32_e64 v29, v48, v39, s7
; %bb.1390:                             ;   in Loop: Header=BB12_950 Depth=1
	s_or_b32 exec_lo, exec_lo, s11
	v_and_b32_e32 v10, 0xffff0000, v10
	v_and_b32_e32 v14, 0xffff0000, v14
	s_delay_alu instid0(VALU_DEP_2) | instskip(NEXT) | instid1(VALU_DEP_2)
	v_max_num_f32_e32 v10, v10, v10
	v_max_num_f32_e32 v14, v14, v14
	s_delay_alu instid0(VALU_DEP_1) | instskip(NEXT) | instid1(VALU_DEP_1)
	v_dual_min_num_f32 v39, v14, v10 :: v_dual_max_num_f32 v10, v14, v10
	v_cndmask_b32_e32 v14, v10, v39, vcc_lo
	s_delay_alu instid0(VALU_DEP_1) | instskip(NEXT) | instid1(VALU_DEP_1)
	v_and_b32_e32 v10, 0x7f800000, v14
	v_cmp_ne_u32_e64 s7, 0x7f800000, v10
                                        ; implicit-def: $vgpr10
	s_and_saveexec_b32 s11, s7
	s_delay_alu instid0(SALU_CYCLE_1)
	s_xor_b32 s7, exec_lo, s11
; %bb.1391:                             ;   in Loop: Header=BB12_950 Depth=1
	v_bfe_u32 v10, v14, 16, 1
	s_delay_alu instid0(VALU_DEP_1)
	v_add3_u32 v10, v14, v10, 0x7fff
                                        ; implicit-def: $vgpr14
; %bb.1392:                             ;   in Loop: Header=BB12_950 Depth=1
	s_and_not1_saveexec_b32 s11, s7
; %bb.1393:                             ;   in Loop: Header=BB12_950 Depth=1
	v_and_b32_e32 v10, 0xffff, v14
	v_or_b32_e32 v39, 0x10000, v14
	s_delay_alu instid0(VALU_DEP_2) | instskip(NEXT) | instid1(VALU_DEP_1)
	v_cmp_eq_u32_e64 s7, 0, v10
	v_cndmask_b32_e64 v10, v39, v14, s7
; %bb.1394:                             ;   in Loop: Header=BB12_950 Depth=1
	s_or_b32 exec_lo, exec_lo, s11
	v_lshlrev_b32_e32 v14, 16, v11
	s_delay_alu instid0(VALU_DEP_1) | instskip(NEXT) | instid1(VALU_DEP_1)
	v_dual_max_num_f32 v14, v14, v14 :: v_dual_lshlrev_b32 v39, 16, v15
	v_max_num_f32_e32 v39, v39, v39
	s_delay_alu instid0(VALU_DEP_1) | instskip(NEXT) | instid1(VALU_DEP_1)
	v_dual_min_num_f32 v48, v39, v14 :: v_dual_max_num_f32 v14, v39, v14
	v_cndmask_b32_e32 v39, v14, v48, vcc_lo
	s_delay_alu instid0(VALU_DEP_1) | instskip(NEXT) | instid1(VALU_DEP_1)
	v_and_b32_e32 v14, 0x7f800000, v39
	v_cmp_ne_u32_e64 s7, 0x7f800000, v14
                                        ; implicit-def: $vgpr14
	s_and_saveexec_b32 s11, s7
	s_delay_alu instid0(SALU_CYCLE_1)
	s_xor_b32 s7, exec_lo, s11
; %bb.1395:                             ;   in Loop: Header=BB12_950 Depth=1
	v_bfe_u32 v14, v39, 16, 1
	s_delay_alu instid0(VALU_DEP_1)
	v_add3_u32 v14, v39, v14, 0x7fff
                                        ; implicit-def: $vgpr39
; %bb.1396:                             ;   in Loop: Header=BB12_950 Depth=1
	s_and_not1_saveexec_b32 s11, s7
; %bb.1397:                             ;   in Loop: Header=BB12_950 Depth=1
	v_and_b32_e32 v14, 0xffff, v39
	v_or_b32_e32 v48, 0x10000, v39
	s_delay_alu instid0(VALU_DEP_2) | instskip(NEXT) | instid1(VALU_DEP_1)
	v_cmp_eq_u32_e64 s7, 0, v14
	v_cndmask_b32_e64 v14, v48, v39, s7
; %bb.1398:                             ;   in Loop: Header=BB12_950 Depth=1
	s_or_b32 exec_lo, exec_lo, s11
	v_and_b32_e32 v11, 0xffff0000, v11
	v_and_b32_e32 v15, 0xffff0000, v15
	s_delay_alu instid0(VALU_DEP_2) | instskip(NEXT) | instid1(VALU_DEP_2)
	v_max_num_f32_e32 v11, v11, v11
	v_max_num_f32_e32 v15, v15, v15
	s_delay_alu instid0(VALU_DEP_1) | instskip(NEXT) | instid1(VALU_DEP_1)
	v_dual_min_num_f32 v39, v15, v11 :: v_dual_max_num_f32 v11, v15, v11
	v_cndmask_b32_e32 v15, v11, v39, vcc_lo
	s_delay_alu instid0(VALU_DEP_1) | instskip(NEXT) | instid1(VALU_DEP_1)
	v_and_b32_e32 v11, 0x7f800000, v15
	v_cmp_ne_u32_e64 s7, 0x7f800000, v11
                                        ; implicit-def: $vgpr11
	s_and_saveexec_b32 s11, s7
	s_delay_alu instid0(SALU_CYCLE_1)
	s_xor_b32 s7, exec_lo, s11
; %bb.1399:                             ;   in Loop: Header=BB12_950 Depth=1
	v_bfe_u32 v11, v15, 16, 1
	s_delay_alu instid0(VALU_DEP_1)
	v_add3_u32 v11, v15, v11, 0x7fff
                                        ; implicit-def: $vgpr15
; %bb.1400:                             ;   in Loop: Header=BB12_950 Depth=1
	s_and_not1_saveexec_b32 s11, s7
; %bb.1401:                             ;   in Loop: Header=BB12_950 Depth=1
	v_and_b32_e32 v11, 0xffff, v15
	v_or_b32_e32 v39, 0x10000, v15
	s_delay_alu instid0(VALU_DEP_2) | instskip(NEXT) | instid1(VALU_DEP_1)
	v_cmp_eq_u32_e64 s7, 0, v11
	v_cndmask_b32_e64 v11, v39, v15, s7
; %bb.1402:                             ;   in Loop: Header=BB12_950 Depth=1
	s_or_b32 exec_lo, exec_lo, s11
	v_lshlrev_b32_e32 v39, 16, v16
	s_delay_alu instid0(VALU_DEP_1) | instskip(NEXT) | instid1(VALU_DEP_1)
	v_dual_lshlrev_b32 v15, 16, v12 :: v_dual_max_num_f32 v39, v39, v39
	v_max_num_f32_e32 v15, v15, v15
	s_delay_alu instid0(VALU_DEP_1) | instskip(NEXT) | instid1(VALU_DEP_1)
	v_dual_min_num_f32 v48, v39, v15 :: v_dual_max_num_f32 v15, v39, v15
	v_cndmask_b32_e32 v39, v15, v48, vcc_lo
	s_delay_alu instid0(VALU_DEP_1) | instskip(NEXT) | instid1(VALU_DEP_1)
	v_and_b32_e32 v15, 0x7f800000, v39
	v_cmp_ne_u32_e64 s7, 0x7f800000, v15
                                        ; implicit-def: $vgpr15
	s_and_saveexec_b32 s11, s7
	s_delay_alu instid0(SALU_CYCLE_1)
	s_xor_b32 s7, exec_lo, s11
; %bb.1403:                             ;   in Loop: Header=BB12_950 Depth=1
	v_bfe_u32 v15, v39, 16, 1
	s_delay_alu instid0(VALU_DEP_1)
	v_add3_u32 v15, v39, v15, 0x7fff
                                        ; implicit-def: $vgpr39
; %bb.1404:                             ;   in Loop: Header=BB12_950 Depth=1
	s_and_not1_saveexec_b32 s11, s7
; %bb.1405:                             ;   in Loop: Header=BB12_950 Depth=1
	v_and_b32_e32 v15, 0xffff, v39
	v_or_b32_e32 v48, 0x10000, v39
	s_delay_alu instid0(VALU_DEP_2) | instskip(NEXT) | instid1(VALU_DEP_1)
	v_cmp_eq_u32_e64 s7, 0, v15
	v_cndmask_b32_e64 v15, v48, v39, s7
; %bb.1406:                             ;   in Loop: Header=BB12_950 Depth=1
	s_or_b32 exec_lo, exec_lo, s11
	v_and_b32_e32 v12, 0xffff0000, v12
	v_and_b32_e32 v16, 0xffff0000, v16
	s_delay_alu instid0(VALU_DEP_2) | instskip(NEXT) | instid1(VALU_DEP_2)
	v_max_num_f32_e32 v12, v12, v12
	v_max_num_f32_e32 v16, v16, v16
	s_delay_alu instid0(VALU_DEP_1) | instskip(NEXT) | instid1(VALU_DEP_1)
	v_dual_min_num_f32 v39, v16, v12 :: v_dual_max_num_f32 v12, v16, v12
	v_cndmask_b32_e32 v16, v12, v39, vcc_lo
	s_delay_alu instid0(VALU_DEP_1) | instskip(NEXT) | instid1(VALU_DEP_1)
	v_and_b32_e32 v12, 0x7f800000, v16
	v_cmp_ne_u32_e64 s7, 0x7f800000, v12
                                        ; implicit-def: $vgpr12
	s_and_saveexec_b32 s11, s7
	s_delay_alu instid0(SALU_CYCLE_1)
	s_xor_b32 s7, exec_lo, s11
; %bb.1407:                             ;   in Loop: Header=BB12_950 Depth=1
	v_bfe_u32 v12, v16, 16, 1
	s_delay_alu instid0(VALU_DEP_1)
	v_add3_u32 v12, v16, v12, 0x7fff
                                        ; implicit-def: $vgpr16
; %bb.1408:                             ;   in Loop: Header=BB12_950 Depth=1
	s_and_not1_saveexec_b32 s11, s7
; %bb.1409:                             ;   in Loop: Header=BB12_950 Depth=1
	v_and_b32_e32 v12, 0xffff, v16
	v_or_b32_e32 v39, 0x10000, v16
	s_delay_alu instid0(VALU_DEP_2) | instskip(NEXT) | instid1(VALU_DEP_1)
	v_cmp_eq_u32_e64 s7, 0, v12
	v_cndmask_b32_e64 v12, v39, v16, s7
; %bb.1410:                             ;   in Loop: Header=BB12_950 Depth=1
	s_or_b32 exec_lo, exec_lo, s11
	v_lshlrev_b32_e32 v39, 16, v17
	s_delay_alu instid0(VALU_DEP_1) | instskip(NEXT) | instid1(VALU_DEP_1)
	v_dual_max_num_f32 v39, v39, v39 :: v_dual_lshlrev_b32 v16, 16, v13
	v_max_num_f32_e32 v16, v16, v16
	s_delay_alu instid0(VALU_DEP_1) | instskip(NEXT) | instid1(VALU_DEP_1)
	v_dual_min_num_f32 v48, v39, v16 :: v_dual_max_num_f32 v16, v39, v16
	v_cndmask_b32_e32 v39, v16, v48, vcc_lo
	s_delay_alu instid0(VALU_DEP_1) | instskip(NEXT) | instid1(VALU_DEP_1)
	v_and_b32_e32 v16, 0x7f800000, v39
	v_cmp_ne_u32_e64 s7, 0x7f800000, v16
                                        ; implicit-def: $vgpr16
	s_and_saveexec_b32 s11, s7
	s_delay_alu instid0(SALU_CYCLE_1)
	s_xor_b32 s7, exec_lo, s11
; %bb.1411:                             ;   in Loop: Header=BB12_950 Depth=1
	v_bfe_u32 v16, v39, 16, 1
	s_delay_alu instid0(VALU_DEP_1)
	v_add3_u32 v16, v39, v16, 0x7fff
                                        ; implicit-def: $vgpr39
; %bb.1412:                             ;   in Loop: Header=BB12_950 Depth=1
	s_and_not1_saveexec_b32 s11, s7
; %bb.1413:                             ;   in Loop: Header=BB12_950 Depth=1
	v_and_b32_e32 v16, 0xffff, v39
	v_or_b32_e32 v48, 0x10000, v39
	s_delay_alu instid0(VALU_DEP_2) | instskip(NEXT) | instid1(VALU_DEP_1)
	v_cmp_eq_u32_e64 s7, 0, v16
	v_cndmask_b32_e64 v16, v48, v39, s7
; %bb.1414:                             ;   in Loop: Header=BB12_950 Depth=1
	s_or_b32 exec_lo, exec_lo, s11
	v_and_b32_e32 v13, 0xffff0000, v13
	v_and_b32_e32 v17, 0xffff0000, v17
	s_delay_alu instid0(VALU_DEP_2) | instskip(NEXT) | instid1(VALU_DEP_2)
	v_max_num_f32_e32 v13, v13, v13
	v_max_num_f32_e32 v17, v17, v17
	s_delay_alu instid0(VALU_DEP_1) | instskip(NEXT) | instid1(VALU_DEP_1)
	v_dual_min_num_f32 v39, v17, v13 :: v_dual_max_num_f32 v13, v17, v13
	v_cndmask_b32_e32 v17, v13, v39, vcc_lo
	s_delay_alu instid0(VALU_DEP_1) | instskip(NEXT) | instid1(VALU_DEP_1)
	v_and_b32_e32 v13, 0x7f800000, v17
	v_cmp_ne_u32_e32 vcc_lo, 0x7f800000, v13
                                        ; implicit-def: $vgpr13
	s_and_saveexec_b32 s7, vcc_lo
	s_delay_alu instid0(SALU_CYCLE_1)
	s_xor_b32 s7, exec_lo, s7
; %bb.1415:                             ;   in Loop: Header=BB12_950 Depth=1
	v_bfe_u32 v13, v17, 16, 1
	s_delay_alu instid0(VALU_DEP_1)
	v_add3_u32 v13, v17, v13, 0x7fff
                                        ; implicit-def: $vgpr17
; %bb.1416:                             ;   in Loop: Header=BB12_950 Depth=1
	s_and_not1_saveexec_b32 s7, s7
; %bb.1417:                             ;   in Loop: Header=BB12_950 Depth=1
	v_and_b32_e32 v13, 0xffff, v17
	v_or_b32_e32 v39, 0x10000, v17
	s_delay_alu instid0(VALU_DEP_2) | instskip(NEXT) | instid1(VALU_DEP_2)
	v_cmp_eq_u32_e32 vcc_lo, 0, v13
	v_cndmask_b32_e32 v13, v39, v17, vcc_lo
; %bb.1418:                             ;   in Loop: Header=BB12_950 Depth=1
	s_or_b32 exec_lo, exec_lo, s7
	v_dual_lshrrev_b32 v17, 16, v26 :: v_dual_lshrrev_b32 v27, 16, v27
	v_dual_lshrrev_b32 v26, 16, v38 :: v_dual_lshrrev_b32 v28, 16, v28
	v_lshrrev_b32_e32 v35, 16, v35
	s_delay_alu instid0(VALU_DEP_3) | instskip(SKIP_1) | instid1(VALU_DEP_4)
	v_and_or_b32 v19, 0xffff0000, v19, v17
	v_lshrrev_b32_e32 v17, 16, v34
	v_and_or_b32 v18, 0xffff0000, v18, v26
	v_dual_lshrrev_b32 v2, 16, v2 :: v_dual_lshrrev_b32 v0, 16, v0
	v_lshrrev_b32_e32 v26, 16, v37
	s_delay_alu instid0(VALU_DEP_4)
	v_and_or_b32 v22, 0xffff0000, v22, v17
	v_lshrrev_b32_e32 v17, 16, v36
	v_and_or_b32 v20, 0xffff0000, v20, v27
	v_and_or_b32 v21, 0xffff0000, v21, v28
	v_dual_lshrrev_b32 v27, 16, v30 :: v_dual_lshrrev_b32 v28, 16, v32
	v_and_or_b32 v25, 0xffff0000, v25, v26
	v_and_or_b32 v26, 0xffff0000, v3, v2
	v_dual_lshrrev_b32 v2, 16, v14 :: v_dual_lshrrev_b32 v3, 16, v29
	v_dual_lshrrev_b32 v14, 16, v15 :: v_dual_lshrrev_b32 v15, 16, v16
	v_and_or_b32 v27, 0xffff0000, v31, v27
	v_and_or_b32 v28, 0xffff0000, v33, v28
	;; [unrolled: 1-line block ×9, first 2 shown]
	s_clause 0x3
	global_store_b128 v[120:121], v[26:29], off th:TH_STORE_NT
	global_store_b128 v[120:121], v[22:25], off offset:512 th:TH_STORE_NT
	global_store_b128 v[120:121], v[18:21], off offset:1024 th:TH_STORE_NT
	;; [unrolled: 1-line block ×3, first 2 shown]
.LBB12_1419:                            ;   in Loop: Header=BB12_950 Depth=1
	s_wait_xcnt 0x0
	s_or_b32 exec_lo, exec_lo, s10
	s_wait_loadcnt 0x0
	v_lshlrev_b32_e32 v22, 11, v49
	s_mov_b32 s29, exec_lo
                                        ; implicit-def: $vgpr14
                                        ; implicit-def: $vgpr0
                                        ; implicit-def: $vgpr15
	s_delay_alu instid0(VALU_DEP_1)
	v_cmpx_ne_u32_e64 v122, v22
	s_cbranch_execz .LBB12_1534
; %bb.1420:                             ;   in Loop: Header=BB12_950 Depth=1
	v_dual_lshlrev_b32 v0, 5, v89 :: v_dual_sub_nc_u32 v2, v122, v22
	s_mov_b32 s10, 0
	s_mov_b32 s40, exec_lo
	s_delay_alu instid0(VALU_DEP_1) | instskip(NEXT) | instid1(VALU_DEP_1)
	v_dual_sub_nc_u32 v0, v44, v0 :: v_dual_ashrrev_i32 v10, 31, v2
	v_ashrrev_i32_e32 v1, 31, v0
	s_delay_alu instid0(VALU_DEP_1) | instskip(NEXT) | instid1(VALU_DEP_1)
	v_lshrrev_b32_e32 v1, 27, v1
	v_add_nc_u32_e32 v1, v0, v1
	s_delay_alu instid0(VALU_DEP_1) | instskip(NEXT) | instid1(VALU_DEP_1)
	v_and_b32_e32 v3, 0xffffffe0, v1
	v_dual_sub_nc_u32 v23, v0, v3 :: v_dual_lshrrev_b32 v0, 23, v10
	s_delay_alu instid0(VALU_DEP_1) | instskip(NEXT) | instid1(VALU_DEP_2)
	v_dual_ashrrev_i32 v1, 5, v1 :: v_dual_lshlrev_b32 v3, 4, v23
	v_add_nc_u32_e32 v0, v2, v0
	s_delay_alu instid0(VALU_DEP_2) | instskip(NEXT) | instid1(VALU_DEP_2)
	v_lshl_add_u32 v3, v1, 9, v3
	v_and_b32_e32 v24, 0xfffffe00, v0
	s_delay_alu instid0(VALU_DEP_1) | instskip(NEXT) | instid1(VALU_DEP_1)
	v_dual_add_nc_u32 v10, v3, v22 :: v_dual_sub_nc_u32 v25, v2, v24
	v_dual_ashrrev_i32 v0, 9, v0 :: v_dual_ashrrev_i32 v11, 31, v10
	s_delay_alu instid0(VALU_DEP_2) | instskip(NEXT) | instid1(VALU_DEP_1)
	v_cmp_lt_i32_e64 s7, 15, v25
	v_add_co_ci_u32_e64 v12, null, 0, v0, s7
	v_sub_nc_u32_e32 v0, v2, v3
	s_delay_alu instid0(VALU_DEP_4) | instskip(NEXT) | instid1(VALU_DEP_3)
	v_add_nc_u64_e32 v[2:3], v[10:11], v[110:111]
	v_sub_nc_u32_e32 v26, v12, v1
	s_delay_alu instid0(VALU_DEP_3)
	v_cmpx_lt_i32_e32 15, v0
	s_cbranch_execz .LBB12_1497
; %bb.1421:                             ;   in Loop: Header=BB12_950 Depth=1
	s_trap 2
	ds_load_b64 v[12:13], v0
	v_add_nc_u64_e32 v[18:19], v[10:11], v[108:109]
	s_and_b32 s10, 0xffff, s13
	s_mov_b32 s43, 0
	s_cmp_eq_u32 s10, 0
	s_mov_b32 s41, 0
	s_cselect_b32 s10, -1, 0
                                        ; implicit-def: $sgpr42
	s_wait_dscnt 0x0
	v_add_nc_u64_e32 v[20:21], v[12:13], v[10:11]
	s_branch .LBB12_1423
.LBB12_1422:                            ;   in Loop: Header=BB12_1423 Depth=2
	s_or_b32 exec_lo, exec_lo, s11
	s_delay_alu instid0(VALU_DEP_1) | instskip(SKIP_3) | instid1(SALU_CYCLE_1)
	v_cmp_gt_i32_e32 vcc_lo, 16, v0
	s_or_b32 s41, vcc_lo, s41
	s_and_not1_b32 s11, s42, exec_lo
	s_and_b32 s12, s43, exec_lo
	s_or_b32 s42, s11, s12
	s_and_not1_b32 exec_lo, exec_lo, s41
	s_cbranch_execz .LBB12_1496
.LBB12_1423:                            ;   Parent Loop BB12_950 Depth=1
                                        ; =>  This Loop Header: Depth=2
                                        ;       Child Loop BB12_1424 Depth 3
                                        ;       Child Loop BB12_1461 Depth 3
	s_add_co_i32 s11, s33, 0xc0
	s_mov_b64 s[14:15], 0
	s_mov_b32 s44, s11
	s_mov_b32 s45, -1
.LBB12_1424:                            ;   Parent Loop BB12_950 Depth=1
                                        ;     Parent Loop BB12_1423 Depth=2
                                        ; =>    This Inner Loop Header: Depth=3
	s_cmp_eq_u32 s14, 1
	s_cselect_b32 vcc_lo, -1, 0
	s_cmp_eq_u32 s14, 0
	v_dual_cndmask_b32 v15, v19, v21 :: v_dual_cndmask_b32 v14, v18, v20
	s_cselect_b32 s11, -1, 0
	s_and_b32 s12, exec_lo, s45
	s_mov_b64 s[14:15], 1
	s_mov_b32 s45, 0
	global_load_b128 v[10:13], v[14:15], off th:TH_LOAD_NT
	s_wait_xcnt 0x0
	v_add_nc_u64_e32 v[14:15], 0x200, v[14:15]
	s_delay_alu instid0(VALU_DEP_1)
	v_dual_cndmask_b32 v19, v19, v15, s11 :: v_dual_cndmask_b32 v18, v18, v14, s11
	v_dual_cndmask_b32 v21, v21, v15 :: v_dual_cndmask_b32 v20, v20, v14
	s_mov_b32 vcc_lo, s12
	s_wait_loadcnt 0x0
	scratch_store_b128 off, v[10:13], s44
	s_wait_xcnt 0x0
	s_mov_b32 s44, s24
	s_cbranch_vccnz .LBB12_1424
; %bb.1425:                             ;   in Loop: Header=BB12_1423 Depth=2
	s_and_saveexec_b32 s11, s43
	s_cbranch_execz .LBB12_1459
; %bb.1426:                             ;   in Loop: Header=BB12_1423 Depth=2
	s_clause 0x1
	scratch_load_b128 v[14:17], off, s33 offset:240
	scratch_load_b128 v[10:13], off, s33 offset:224
	s_wait_loadcnt 0x0
	v_lshlrev_b32_e32 v27, 16, v10
	s_delay_alu instid0(VALU_DEP_1) | instskip(NEXT) | instid1(VALU_DEP_1)
	v_dual_lshlrev_b32 v1, 16, v14 :: v_dual_max_num_f32 v27, v27, v27
	v_max_num_f32_e32 v1, v1, v1
	s_delay_alu instid0(VALU_DEP_1) | instskip(NEXT) | instid1(VALU_DEP_1)
	v_dual_min_num_f32 v28, v27, v1 :: v_dual_max_num_f32 v1, v27, v1
	v_cndmask_b32_e64 v27, v1, v28, s10
	s_delay_alu instid0(VALU_DEP_1) | instskip(NEXT) | instid1(VALU_DEP_1)
	v_and_b32_e32 v1, 0x7f800000, v27
	v_cmp_ne_u32_e32 vcc_lo, 0x7f800000, v1
                                        ; implicit-def: $vgpr1
	s_wait_xcnt 0x0
	s_and_saveexec_b32 s12, vcc_lo
	s_delay_alu instid0(SALU_CYCLE_1)
	s_xor_b32 s12, exec_lo, s12
; %bb.1427:                             ;   in Loop: Header=BB12_1423 Depth=2
	v_bfe_u32 v1, v27, 16, 1
	s_delay_alu instid0(VALU_DEP_1)
	v_add3_u32 v1, v27, v1, 0x7fff
                                        ; implicit-def: $vgpr27
; %bb.1428:                             ;   in Loop: Header=BB12_1423 Depth=2
	s_and_not1_saveexec_b32 s12, s12
; %bb.1429:                             ;   in Loop: Header=BB12_1423 Depth=2
	v_and_b32_e32 v1, 0xffff, v27
	v_or_b32_e32 v28, 0x10000, v27
	s_delay_alu instid0(VALU_DEP_2) | instskip(NEXT) | instid1(VALU_DEP_2)
	v_cmp_eq_u32_e32 vcc_lo, 0, v1
	v_cndmask_b32_e32 v1, v28, v27, vcc_lo
; %bb.1430:                             ;   in Loop: Header=BB12_1423 Depth=2
	s_or_b32 exec_lo, exec_lo, s12
	v_and_b32_e32 v14, 0xffff0000, v14
	v_and_b32_e32 v10, 0xffff0000, v10
	s_delay_alu instid0(VALU_DEP_2) | instskip(NEXT) | instid1(VALU_DEP_2)
	v_max_num_f32_e32 v14, v14, v14
	v_max_num_f32_e32 v10, v10, v10
	s_delay_alu instid0(VALU_DEP_1) | instskip(NEXT) | instid1(VALU_DEP_1)
	v_dual_min_num_f32 v27, v10, v14 :: v_dual_max_num_f32 v10, v10, v14
	v_cndmask_b32_e64 v14, v10, v27, s10
	s_delay_alu instid0(VALU_DEP_1) | instskip(NEXT) | instid1(VALU_DEP_1)
	v_and_b32_e32 v10, 0x7f800000, v14
	v_cmp_ne_u32_e32 vcc_lo, 0x7f800000, v10
                                        ; implicit-def: $vgpr10
	s_and_saveexec_b32 s12, vcc_lo
	s_delay_alu instid0(SALU_CYCLE_1)
	s_xor_b32 s12, exec_lo, s12
; %bb.1431:                             ;   in Loop: Header=BB12_1423 Depth=2
	v_bfe_u32 v10, v14, 16, 1
	s_delay_alu instid0(VALU_DEP_1)
	v_add3_u32 v10, v14, v10, 0x7fff
                                        ; implicit-def: $vgpr14
; %bb.1432:                             ;   in Loop: Header=BB12_1423 Depth=2
	s_and_not1_saveexec_b32 s12, s12
; %bb.1433:                             ;   in Loop: Header=BB12_1423 Depth=2
	v_and_b32_e32 v10, 0xffff, v14
	v_or_b32_e32 v27, 0x10000, v14
	s_delay_alu instid0(VALU_DEP_2) | instskip(NEXT) | instid1(VALU_DEP_2)
	v_cmp_eq_u32_e32 vcc_lo, 0, v10
	v_cndmask_b32_e32 v10, v27, v14, vcc_lo
; %bb.1434:                             ;   in Loop: Header=BB12_1423 Depth=2
	s_or_b32 exec_lo, exec_lo, s12
	v_lshlrev_b32_e32 v14, 16, v15
	s_delay_alu instid0(VALU_DEP_1) | instskip(NEXT) | instid1(VALU_DEP_1)
	v_dual_max_num_f32 v14, v14, v14 :: v_dual_lshlrev_b32 v27, 16, v11
	v_max_num_f32_e32 v27, v27, v27
	s_delay_alu instid0(VALU_DEP_1) | instskip(NEXT) | instid1(VALU_DEP_1)
	v_dual_min_num_f32 v28, v27, v14 :: v_dual_max_num_f32 v14, v27, v14
	v_cndmask_b32_e64 v27, v14, v28, s10
	s_delay_alu instid0(VALU_DEP_1) | instskip(NEXT) | instid1(VALU_DEP_1)
	v_and_b32_e32 v14, 0x7f800000, v27
	v_cmp_ne_u32_e32 vcc_lo, 0x7f800000, v14
                                        ; implicit-def: $vgpr14
	s_and_saveexec_b32 s12, vcc_lo
	s_delay_alu instid0(SALU_CYCLE_1)
	s_xor_b32 s12, exec_lo, s12
; %bb.1435:                             ;   in Loop: Header=BB12_1423 Depth=2
	v_bfe_u32 v14, v27, 16, 1
	s_delay_alu instid0(VALU_DEP_1)
	v_add3_u32 v14, v27, v14, 0x7fff
                                        ; implicit-def: $vgpr27
; %bb.1436:                             ;   in Loop: Header=BB12_1423 Depth=2
	s_and_not1_saveexec_b32 s12, s12
; %bb.1437:                             ;   in Loop: Header=BB12_1423 Depth=2
	v_and_b32_e32 v14, 0xffff, v27
	v_or_b32_e32 v28, 0x10000, v27
	s_delay_alu instid0(VALU_DEP_2) | instskip(NEXT) | instid1(VALU_DEP_2)
	v_cmp_eq_u32_e32 vcc_lo, 0, v14
	v_cndmask_b32_e32 v14, v28, v27, vcc_lo
; %bb.1438:                             ;   in Loop: Header=BB12_1423 Depth=2
	s_or_b32 exec_lo, exec_lo, s12
	v_and_b32_e32 v15, 0xffff0000, v15
	v_and_b32_e32 v11, 0xffff0000, v11
	s_delay_alu instid0(VALU_DEP_2) | instskip(NEXT) | instid1(VALU_DEP_2)
	v_max_num_f32_e32 v15, v15, v15
	v_max_num_f32_e32 v11, v11, v11
	s_delay_alu instid0(VALU_DEP_1) | instskip(NEXT) | instid1(VALU_DEP_1)
	v_dual_min_num_f32 v27, v11, v15 :: v_dual_max_num_f32 v11, v11, v15
	v_cndmask_b32_e64 v15, v11, v27, s10
	s_delay_alu instid0(VALU_DEP_1) | instskip(NEXT) | instid1(VALU_DEP_1)
	v_and_b32_e32 v11, 0x7f800000, v15
	v_cmp_ne_u32_e32 vcc_lo, 0x7f800000, v11
                                        ; implicit-def: $vgpr11
	s_and_saveexec_b32 s12, vcc_lo
	s_delay_alu instid0(SALU_CYCLE_1)
	s_xor_b32 s12, exec_lo, s12
; %bb.1439:                             ;   in Loop: Header=BB12_1423 Depth=2
	v_bfe_u32 v11, v15, 16, 1
	s_delay_alu instid0(VALU_DEP_1)
	v_add3_u32 v11, v15, v11, 0x7fff
                                        ; implicit-def: $vgpr15
; %bb.1440:                             ;   in Loop: Header=BB12_1423 Depth=2
	s_and_not1_saveexec_b32 s12, s12
; %bb.1441:                             ;   in Loop: Header=BB12_1423 Depth=2
	v_and_b32_e32 v11, 0xffff, v15
	v_or_b32_e32 v27, 0x10000, v15
	s_delay_alu instid0(VALU_DEP_2) | instskip(NEXT) | instid1(VALU_DEP_2)
	v_cmp_eq_u32_e32 vcc_lo, 0, v11
	v_cndmask_b32_e32 v11, v27, v15, vcc_lo
; %bb.1442:                             ;   in Loop: Header=BB12_1423 Depth=2
	s_or_b32 exec_lo, exec_lo, s12
	v_lshlrev_b32_e32 v27, 16, v12
	s_delay_alu instid0(VALU_DEP_1) | instskip(NEXT) | instid1(VALU_DEP_1)
	v_dual_lshlrev_b32 v15, 16, v16 :: v_dual_max_num_f32 v27, v27, v27
	v_max_num_f32_e32 v15, v15, v15
	s_delay_alu instid0(VALU_DEP_1) | instskip(NEXT) | instid1(VALU_DEP_1)
	v_dual_min_num_f32 v28, v27, v15 :: v_dual_max_num_f32 v15, v27, v15
	v_cndmask_b32_e64 v27, v15, v28, s10
	s_delay_alu instid0(VALU_DEP_1) | instskip(NEXT) | instid1(VALU_DEP_1)
	v_and_b32_e32 v15, 0x7f800000, v27
	v_cmp_ne_u32_e32 vcc_lo, 0x7f800000, v15
                                        ; implicit-def: $vgpr15
	s_and_saveexec_b32 s12, vcc_lo
	s_delay_alu instid0(SALU_CYCLE_1)
	s_xor_b32 s12, exec_lo, s12
; %bb.1443:                             ;   in Loop: Header=BB12_1423 Depth=2
	v_bfe_u32 v15, v27, 16, 1
	s_delay_alu instid0(VALU_DEP_1)
	v_add3_u32 v15, v27, v15, 0x7fff
                                        ; implicit-def: $vgpr27
; %bb.1444:                             ;   in Loop: Header=BB12_1423 Depth=2
	s_and_not1_saveexec_b32 s12, s12
; %bb.1445:                             ;   in Loop: Header=BB12_1423 Depth=2
	v_and_b32_e32 v15, 0xffff, v27
	v_or_b32_e32 v28, 0x10000, v27
	s_delay_alu instid0(VALU_DEP_2) | instskip(NEXT) | instid1(VALU_DEP_2)
	v_cmp_eq_u32_e32 vcc_lo, 0, v15
	v_cndmask_b32_e32 v15, v28, v27, vcc_lo
; %bb.1446:                             ;   in Loop: Header=BB12_1423 Depth=2
	s_or_b32 exec_lo, exec_lo, s12
	v_and_b32_e32 v16, 0xffff0000, v16
	v_and_b32_e32 v12, 0xffff0000, v12
	s_delay_alu instid0(VALU_DEP_2) | instskip(NEXT) | instid1(VALU_DEP_2)
	v_max_num_f32_e32 v16, v16, v16
	v_max_num_f32_e32 v12, v12, v12
	s_delay_alu instid0(VALU_DEP_1) | instskip(NEXT) | instid1(VALU_DEP_1)
	v_dual_min_num_f32 v27, v12, v16 :: v_dual_max_num_f32 v12, v12, v16
	v_cndmask_b32_e64 v16, v12, v27, s10
	s_delay_alu instid0(VALU_DEP_1) | instskip(NEXT) | instid1(VALU_DEP_1)
	v_and_b32_e32 v12, 0x7f800000, v16
	v_cmp_ne_u32_e32 vcc_lo, 0x7f800000, v12
                                        ; implicit-def: $vgpr12
	s_and_saveexec_b32 s12, vcc_lo
	s_delay_alu instid0(SALU_CYCLE_1)
	s_xor_b32 s12, exec_lo, s12
; %bb.1447:                             ;   in Loop: Header=BB12_1423 Depth=2
	v_bfe_u32 v12, v16, 16, 1
	s_delay_alu instid0(VALU_DEP_1)
	v_add3_u32 v12, v16, v12, 0x7fff
                                        ; implicit-def: $vgpr16
; %bb.1448:                             ;   in Loop: Header=BB12_1423 Depth=2
	s_and_not1_saveexec_b32 s12, s12
; %bb.1449:                             ;   in Loop: Header=BB12_1423 Depth=2
	v_and_b32_e32 v12, 0xffff, v16
	v_or_b32_e32 v27, 0x10000, v16
	s_delay_alu instid0(VALU_DEP_2) | instskip(NEXT) | instid1(VALU_DEP_2)
	v_cmp_eq_u32_e32 vcc_lo, 0, v12
	v_cndmask_b32_e32 v12, v27, v16, vcc_lo
; %bb.1450:                             ;   in Loop: Header=BB12_1423 Depth=2
	s_or_b32 exec_lo, exec_lo, s12
	v_lshlrev_b32_e32 v27, 16, v13
	s_delay_alu instid0(VALU_DEP_1) | instskip(NEXT) | instid1(VALU_DEP_1)
	v_dual_max_num_f32 v27, v27, v27 :: v_dual_lshlrev_b32 v16, 16, v17
	v_max_num_f32_e32 v16, v16, v16
	s_delay_alu instid0(VALU_DEP_1) | instskip(NEXT) | instid1(VALU_DEP_1)
	v_dual_min_num_f32 v28, v27, v16 :: v_dual_max_num_f32 v16, v27, v16
	v_cndmask_b32_e64 v27, v16, v28, s10
	s_delay_alu instid0(VALU_DEP_1) | instskip(NEXT) | instid1(VALU_DEP_1)
	v_and_b32_e32 v16, 0x7f800000, v27
	v_cmp_ne_u32_e32 vcc_lo, 0x7f800000, v16
                                        ; implicit-def: $vgpr16
	s_and_saveexec_b32 s12, vcc_lo
	s_delay_alu instid0(SALU_CYCLE_1)
	s_xor_b32 s12, exec_lo, s12
; %bb.1451:                             ;   in Loop: Header=BB12_1423 Depth=2
	v_bfe_u32 v16, v27, 16, 1
	s_delay_alu instid0(VALU_DEP_1)
	v_add3_u32 v16, v27, v16, 0x7fff
                                        ; implicit-def: $vgpr27
; %bb.1452:                             ;   in Loop: Header=BB12_1423 Depth=2
	s_and_not1_saveexec_b32 s12, s12
; %bb.1453:                             ;   in Loop: Header=BB12_1423 Depth=2
	v_and_b32_e32 v16, 0xffff, v27
	v_or_b32_e32 v28, 0x10000, v27
	s_delay_alu instid0(VALU_DEP_2) | instskip(NEXT) | instid1(VALU_DEP_2)
	v_cmp_eq_u32_e32 vcc_lo, 0, v16
	v_cndmask_b32_e32 v16, v28, v27, vcc_lo
; %bb.1454:                             ;   in Loop: Header=BB12_1423 Depth=2
	s_or_b32 exec_lo, exec_lo, s12
	v_and_b32_e32 v17, 0xffff0000, v17
	v_and_b32_e32 v13, 0xffff0000, v13
	s_delay_alu instid0(VALU_DEP_2) | instskip(NEXT) | instid1(VALU_DEP_2)
	v_max_num_f32_e32 v17, v17, v17
	v_max_num_f32_e32 v13, v13, v13
	s_delay_alu instid0(VALU_DEP_1) | instskip(NEXT) | instid1(VALU_DEP_1)
	v_dual_min_num_f32 v27, v13, v17 :: v_dual_max_num_f32 v13, v13, v17
	v_cndmask_b32_e64 v17, v13, v27, s10
	s_delay_alu instid0(VALU_DEP_1) | instskip(NEXT) | instid1(VALU_DEP_1)
	v_and_b32_e32 v13, 0x7f800000, v17
	v_cmp_ne_u32_e32 vcc_lo, 0x7f800000, v13
                                        ; implicit-def: $vgpr13
	s_and_saveexec_b32 s12, vcc_lo
	s_delay_alu instid0(SALU_CYCLE_1)
	s_xor_b32 s12, exec_lo, s12
; %bb.1455:                             ;   in Loop: Header=BB12_1423 Depth=2
	v_bfe_u32 v13, v17, 16, 1
	s_delay_alu instid0(VALU_DEP_1)
	v_add3_u32 v13, v17, v13, 0x7fff
                                        ; implicit-def: $vgpr17
; %bb.1456:                             ;   in Loop: Header=BB12_1423 Depth=2
	s_and_not1_saveexec_b32 s12, s12
; %bb.1457:                             ;   in Loop: Header=BB12_1423 Depth=2
	v_and_b32_e32 v13, 0xffff, v17
	v_or_b32_e32 v27, 0x10000, v17
	s_delay_alu instid0(VALU_DEP_2) | instskip(NEXT) | instid1(VALU_DEP_2)
	v_cmp_eq_u32_e32 vcc_lo, 0, v13
	v_cndmask_b32_e32 v13, v27, v17, vcc_lo
; %bb.1458:                             ;   in Loop: Header=BB12_1423 Depth=2
	s_or_b32 exec_lo, exec_lo, s12
	v_dual_lshrrev_b32 v14, 16, v14 :: v_dual_lshrrev_b32 v1, 16, v1
	v_dual_lshrrev_b32 v15, 16, v15 :: v_dual_lshrrev_b32 v16, 16, v16
	s_delay_alu instid0(VALU_DEP_2) | instskip(NEXT) | instid1(VALU_DEP_3)
	v_and_or_b32 v11, 0xffff0000, v11, v14
	v_and_or_b32 v10, 0xffff0000, v10, v1
	s_delay_alu instid0(VALU_DEP_3)
	v_and_or_b32 v12, 0xffff0000, v12, v15
	v_add_nc_u64_e32 v[14:15], 0x200, v[78:79]
	v_and_or_b32 v13, 0xffff0000, v13, v16
	global_store_b128 v[2:3], v[10:13], off th:TH_STORE_NT
	s_wait_xcnt 0x0
	v_add_nc_u64_e32 v[2:3], v[14:15], v[2:3]
	scratch_store_b128 off, v[10:13], s33 offset:224
.LBB12_1459:                            ;   in Loop: Header=BB12_1423 Depth=2
	s_wait_xcnt 0x0
	s_or_b32 exec_lo, exec_lo, s11
	v_sub_nc_u32_e32 v0, v0, v45
	v_add_nc_u64_e32 v[18:19], v[18:19], v[78:79]
	v_add_nc_u64_e32 v[20:21], v[20:21], v[78:79]
	s_delay_alu instid0(VALU_DEP_3)
	v_cmp_lt_i32_e64 s43, 15, v0
	s_and_saveexec_b32 s44, s43
	s_cbranch_execz .LBB12_1462
; %bb.1460:                             ;   in Loop: Header=BB12_1423 Depth=2
	s_add_co_i32 s11, s33, 0xe0
	s_mov_b64 s[14:15], 0
	s_mov_b32 s45, s11
	s_mov_b32 s46, -1
.LBB12_1461:                            ;   Parent Loop BB12_950 Depth=1
                                        ;     Parent Loop BB12_1423 Depth=2
                                        ; =>    This Inner Loop Header: Depth=3
	s_cmp_eq_u32 s14, 1
	s_cselect_b32 vcc_lo, -1, 0
	s_cmp_eq_u32 s14, 0
	v_dual_cndmask_b32 v15, v19, v21 :: v_dual_cndmask_b32 v14, v18, v20
	s_cselect_b32 s11, -1, 0
	s_and_b32 s12, exec_lo, s46
	s_mov_b64 s[14:15], 1
	s_mov_b32 s46, 0
	global_load_b128 v[10:13], v[14:15], off th:TH_LOAD_NT
	s_wait_xcnt 0x0
	v_add_nc_u64_e32 v[14:15], 0x200, v[14:15]
	s_delay_alu instid0(VALU_DEP_1)
	v_dual_cndmask_b32 v19, v19, v15, s11 :: v_dual_cndmask_b32 v18, v18, v14, s11
	v_dual_cndmask_b32 v21, v21, v15 :: v_dual_cndmask_b32 v20, v20, v14
	s_mov_b32 vcc_lo, s12
	s_wait_loadcnt 0x0
	scratch_store_b128 off, v[10:13], s45
	s_wait_xcnt 0x0
	s_mov_b32 s45, s23
	s_cbranch_vccnz .LBB12_1461
.LBB12_1462:                            ;   in Loop: Header=BB12_1423 Depth=2
	s_or_b32 exec_lo, exec_lo, s44
	s_clause 0x1
	scratch_load_b128 v[14:17], off, s33 offset:208
	scratch_load_b128 v[10:13], off, s33 offset:192
	s_wait_loadcnt 0x0
	v_lshlrev_b32_e32 v27, 16, v10
	s_delay_alu instid0(VALU_DEP_1) | instskip(NEXT) | instid1(VALU_DEP_1)
	v_dual_lshlrev_b32 v1, 16, v14 :: v_dual_max_num_f32 v27, v27, v27
	v_max_num_f32_e32 v1, v1, v1
	s_delay_alu instid0(VALU_DEP_1) | instskip(NEXT) | instid1(VALU_DEP_1)
	v_dual_min_num_f32 v28, v27, v1 :: v_dual_max_num_f32 v1, v27, v1
	v_cndmask_b32_e64 v27, v1, v28, s10
	s_delay_alu instid0(VALU_DEP_1) | instskip(NEXT) | instid1(VALU_DEP_1)
	v_and_b32_e32 v1, 0x7f800000, v27
	v_cmp_ne_u32_e32 vcc_lo, 0x7f800000, v1
                                        ; implicit-def: $vgpr1
	s_wait_xcnt 0x0
	s_and_saveexec_b32 s11, vcc_lo
	s_delay_alu instid0(SALU_CYCLE_1)
	s_xor_b32 s11, exec_lo, s11
; %bb.1463:                             ;   in Loop: Header=BB12_1423 Depth=2
	v_bfe_u32 v1, v27, 16, 1
	s_delay_alu instid0(VALU_DEP_1)
	v_add3_u32 v1, v27, v1, 0x7fff
                                        ; implicit-def: $vgpr27
; %bb.1464:                             ;   in Loop: Header=BB12_1423 Depth=2
	s_and_not1_saveexec_b32 s11, s11
; %bb.1465:                             ;   in Loop: Header=BB12_1423 Depth=2
	v_and_b32_e32 v1, 0xffff, v27
	v_or_b32_e32 v28, 0x10000, v27
	s_delay_alu instid0(VALU_DEP_2) | instskip(NEXT) | instid1(VALU_DEP_2)
	v_cmp_eq_u32_e32 vcc_lo, 0, v1
	v_cndmask_b32_e32 v1, v28, v27, vcc_lo
; %bb.1466:                             ;   in Loop: Header=BB12_1423 Depth=2
	s_or_b32 exec_lo, exec_lo, s11
	v_and_b32_e32 v14, 0xffff0000, v14
	v_and_b32_e32 v10, 0xffff0000, v10
	s_delay_alu instid0(VALU_DEP_2) | instskip(NEXT) | instid1(VALU_DEP_2)
	v_max_num_f32_e32 v14, v14, v14
	v_max_num_f32_e32 v10, v10, v10
	s_delay_alu instid0(VALU_DEP_1) | instskip(NEXT) | instid1(VALU_DEP_1)
	v_dual_min_num_f32 v27, v10, v14 :: v_dual_max_num_f32 v10, v10, v14
	v_cndmask_b32_e64 v14, v10, v27, s10
	s_delay_alu instid0(VALU_DEP_1) | instskip(NEXT) | instid1(VALU_DEP_1)
	v_and_b32_e32 v10, 0x7f800000, v14
	v_cmp_ne_u32_e32 vcc_lo, 0x7f800000, v10
                                        ; implicit-def: $vgpr10
	s_and_saveexec_b32 s11, vcc_lo
	s_delay_alu instid0(SALU_CYCLE_1)
	s_xor_b32 s11, exec_lo, s11
; %bb.1467:                             ;   in Loop: Header=BB12_1423 Depth=2
	v_bfe_u32 v10, v14, 16, 1
	s_delay_alu instid0(VALU_DEP_1)
	v_add3_u32 v10, v14, v10, 0x7fff
                                        ; implicit-def: $vgpr14
; %bb.1468:                             ;   in Loop: Header=BB12_1423 Depth=2
	s_and_not1_saveexec_b32 s11, s11
; %bb.1469:                             ;   in Loop: Header=BB12_1423 Depth=2
	v_and_b32_e32 v10, 0xffff, v14
	v_or_b32_e32 v27, 0x10000, v14
	s_delay_alu instid0(VALU_DEP_2) | instskip(NEXT) | instid1(VALU_DEP_2)
	v_cmp_eq_u32_e32 vcc_lo, 0, v10
	v_cndmask_b32_e32 v10, v27, v14, vcc_lo
; %bb.1470:                             ;   in Loop: Header=BB12_1423 Depth=2
	s_or_b32 exec_lo, exec_lo, s11
	v_lshlrev_b32_e32 v14, 16, v15
	s_delay_alu instid0(VALU_DEP_1) | instskip(NEXT) | instid1(VALU_DEP_1)
	v_dual_max_num_f32 v14, v14, v14 :: v_dual_lshlrev_b32 v27, 16, v11
	v_max_num_f32_e32 v27, v27, v27
	s_delay_alu instid0(VALU_DEP_1) | instskip(NEXT) | instid1(VALU_DEP_1)
	v_dual_min_num_f32 v28, v27, v14 :: v_dual_max_num_f32 v14, v27, v14
	v_cndmask_b32_e64 v27, v14, v28, s10
	s_delay_alu instid0(VALU_DEP_1) | instskip(NEXT) | instid1(VALU_DEP_1)
	v_and_b32_e32 v14, 0x7f800000, v27
	v_cmp_ne_u32_e32 vcc_lo, 0x7f800000, v14
                                        ; implicit-def: $vgpr14
	s_and_saveexec_b32 s11, vcc_lo
	s_delay_alu instid0(SALU_CYCLE_1)
	s_xor_b32 s11, exec_lo, s11
; %bb.1471:                             ;   in Loop: Header=BB12_1423 Depth=2
	v_bfe_u32 v14, v27, 16, 1
	s_delay_alu instid0(VALU_DEP_1)
	v_add3_u32 v14, v27, v14, 0x7fff
                                        ; implicit-def: $vgpr27
; %bb.1472:                             ;   in Loop: Header=BB12_1423 Depth=2
	s_and_not1_saveexec_b32 s11, s11
; %bb.1473:                             ;   in Loop: Header=BB12_1423 Depth=2
	v_and_b32_e32 v14, 0xffff, v27
	v_or_b32_e32 v28, 0x10000, v27
	s_delay_alu instid0(VALU_DEP_2) | instskip(NEXT) | instid1(VALU_DEP_2)
	v_cmp_eq_u32_e32 vcc_lo, 0, v14
	v_cndmask_b32_e32 v14, v28, v27, vcc_lo
; %bb.1474:                             ;   in Loop: Header=BB12_1423 Depth=2
	s_or_b32 exec_lo, exec_lo, s11
	v_and_b32_e32 v15, 0xffff0000, v15
	v_and_b32_e32 v11, 0xffff0000, v11
	s_delay_alu instid0(VALU_DEP_2) | instskip(NEXT) | instid1(VALU_DEP_2)
	v_max_num_f32_e32 v15, v15, v15
	v_max_num_f32_e32 v11, v11, v11
	s_delay_alu instid0(VALU_DEP_1) | instskip(NEXT) | instid1(VALU_DEP_1)
	v_dual_min_num_f32 v27, v11, v15 :: v_dual_max_num_f32 v11, v11, v15
	v_cndmask_b32_e64 v15, v11, v27, s10
	s_delay_alu instid0(VALU_DEP_1) | instskip(NEXT) | instid1(VALU_DEP_1)
	v_and_b32_e32 v11, 0x7f800000, v15
	v_cmp_ne_u32_e32 vcc_lo, 0x7f800000, v11
                                        ; implicit-def: $vgpr11
	s_and_saveexec_b32 s11, vcc_lo
	s_delay_alu instid0(SALU_CYCLE_1)
	s_xor_b32 s11, exec_lo, s11
; %bb.1475:                             ;   in Loop: Header=BB12_1423 Depth=2
	v_bfe_u32 v11, v15, 16, 1
	s_delay_alu instid0(VALU_DEP_1)
	v_add3_u32 v11, v15, v11, 0x7fff
                                        ; implicit-def: $vgpr15
; %bb.1476:                             ;   in Loop: Header=BB12_1423 Depth=2
	s_and_not1_saveexec_b32 s11, s11
; %bb.1477:                             ;   in Loop: Header=BB12_1423 Depth=2
	v_and_b32_e32 v11, 0xffff, v15
	v_or_b32_e32 v27, 0x10000, v15
	s_delay_alu instid0(VALU_DEP_2) | instskip(NEXT) | instid1(VALU_DEP_2)
	v_cmp_eq_u32_e32 vcc_lo, 0, v11
	v_cndmask_b32_e32 v11, v27, v15, vcc_lo
; %bb.1478:                             ;   in Loop: Header=BB12_1423 Depth=2
	s_or_b32 exec_lo, exec_lo, s11
	v_lshlrev_b32_e32 v27, 16, v12
	s_delay_alu instid0(VALU_DEP_1) | instskip(NEXT) | instid1(VALU_DEP_1)
	v_dual_lshlrev_b32 v15, 16, v16 :: v_dual_max_num_f32 v27, v27, v27
	v_max_num_f32_e32 v15, v15, v15
	s_delay_alu instid0(VALU_DEP_1) | instskip(NEXT) | instid1(VALU_DEP_1)
	v_dual_min_num_f32 v28, v27, v15 :: v_dual_max_num_f32 v15, v27, v15
	v_cndmask_b32_e64 v27, v15, v28, s10
	s_delay_alu instid0(VALU_DEP_1) | instskip(NEXT) | instid1(VALU_DEP_1)
	v_and_b32_e32 v15, 0x7f800000, v27
	v_cmp_ne_u32_e32 vcc_lo, 0x7f800000, v15
                                        ; implicit-def: $vgpr15
	s_and_saveexec_b32 s11, vcc_lo
	s_delay_alu instid0(SALU_CYCLE_1)
	s_xor_b32 s11, exec_lo, s11
; %bb.1479:                             ;   in Loop: Header=BB12_1423 Depth=2
	v_bfe_u32 v15, v27, 16, 1
	s_delay_alu instid0(VALU_DEP_1)
	v_add3_u32 v15, v27, v15, 0x7fff
                                        ; implicit-def: $vgpr27
; %bb.1480:                             ;   in Loop: Header=BB12_1423 Depth=2
	s_and_not1_saveexec_b32 s11, s11
; %bb.1481:                             ;   in Loop: Header=BB12_1423 Depth=2
	v_and_b32_e32 v15, 0xffff, v27
	v_or_b32_e32 v28, 0x10000, v27
	s_delay_alu instid0(VALU_DEP_2) | instskip(NEXT) | instid1(VALU_DEP_2)
	v_cmp_eq_u32_e32 vcc_lo, 0, v15
	v_cndmask_b32_e32 v15, v28, v27, vcc_lo
; %bb.1482:                             ;   in Loop: Header=BB12_1423 Depth=2
	s_or_b32 exec_lo, exec_lo, s11
	v_and_b32_e32 v16, 0xffff0000, v16
	v_and_b32_e32 v12, 0xffff0000, v12
	s_delay_alu instid0(VALU_DEP_2) | instskip(NEXT) | instid1(VALU_DEP_2)
	v_max_num_f32_e32 v16, v16, v16
	v_max_num_f32_e32 v12, v12, v12
	s_delay_alu instid0(VALU_DEP_1) | instskip(NEXT) | instid1(VALU_DEP_1)
	v_dual_min_num_f32 v27, v12, v16 :: v_dual_max_num_f32 v12, v12, v16
	v_cndmask_b32_e64 v16, v12, v27, s10
	s_delay_alu instid0(VALU_DEP_1) | instskip(NEXT) | instid1(VALU_DEP_1)
	v_and_b32_e32 v12, 0x7f800000, v16
	v_cmp_ne_u32_e32 vcc_lo, 0x7f800000, v12
                                        ; implicit-def: $vgpr12
	s_and_saveexec_b32 s11, vcc_lo
	s_delay_alu instid0(SALU_CYCLE_1)
	s_xor_b32 s11, exec_lo, s11
; %bb.1483:                             ;   in Loop: Header=BB12_1423 Depth=2
	v_bfe_u32 v12, v16, 16, 1
	s_delay_alu instid0(VALU_DEP_1)
	v_add3_u32 v12, v16, v12, 0x7fff
                                        ; implicit-def: $vgpr16
; %bb.1484:                             ;   in Loop: Header=BB12_1423 Depth=2
	s_and_not1_saveexec_b32 s11, s11
; %bb.1485:                             ;   in Loop: Header=BB12_1423 Depth=2
	v_and_b32_e32 v12, 0xffff, v16
	v_or_b32_e32 v27, 0x10000, v16
	s_delay_alu instid0(VALU_DEP_2) | instskip(NEXT) | instid1(VALU_DEP_2)
	v_cmp_eq_u32_e32 vcc_lo, 0, v12
	v_cndmask_b32_e32 v12, v27, v16, vcc_lo
; %bb.1486:                             ;   in Loop: Header=BB12_1423 Depth=2
	s_or_b32 exec_lo, exec_lo, s11
	v_lshlrev_b32_e32 v27, 16, v13
	s_delay_alu instid0(VALU_DEP_1) | instskip(NEXT) | instid1(VALU_DEP_1)
	v_dual_max_num_f32 v27, v27, v27 :: v_dual_lshlrev_b32 v16, 16, v17
	v_max_num_f32_e32 v16, v16, v16
	s_delay_alu instid0(VALU_DEP_1) | instskip(NEXT) | instid1(VALU_DEP_1)
	v_dual_min_num_f32 v28, v27, v16 :: v_dual_max_num_f32 v16, v27, v16
	v_cndmask_b32_e64 v27, v16, v28, s10
	s_delay_alu instid0(VALU_DEP_1) | instskip(NEXT) | instid1(VALU_DEP_1)
	v_and_b32_e32 v16, 0x7f800000, v27
	v_cmp_ne_u32_e32 vcc_lo, 0x7f800000, v16
                                        ; implicit-def: $vgpr16
	s_and_saveexec_b32 s11, vcc_lo
	s_delay_alu instid0(SALU_CYCLE_1)
	s_xor_b32 s11, exec_lo, s11
; %bb.1487:                             ;   in Loop: Header=BB12_1423 Depth=2
	v_bfe_u32 v16, v27, 16, 1
	s_delay_alu instid0(VALU_DEP_1)
	v_add3_u32 v16, v27, v16, 0x7fff
                                        ; implicit-def: $vgpr27
; %bb.1488:                             ;   in Loop: Header=BB12_1423 Depth=2
	s_and_not1_saveexec_b32 s11, s11
; %bb.1489:                             ;   in Loop: Header=BB12_1423 Depth=2
	v_and_b32_e32 v16, 0xffff, v27
	v_or_b32_e32 v28, 0x10000, v27
	s_delay_alu instid0(VALU_DEP_2) | instskip(NEXT) | instid1(VALU_DEP_2)
	v_cmp_eq_u32_e32 vcc_lo, 0, v16
	v_cndmask_b32_e32 v16, v28, v27, vcc_lo
; %bb.1490:                             ;   in Loop: Header=BB12_1423 Depth=2
	s_or_b32 exec_lo, exec_lo, s11
	v_and_b32_e32 v17, 0xffff0000, v17
	v_and_b32_e32 v13, 0xffff0000, v13
	s_delay_alu instid0(VALU_DEP_2) | instskip(NEXT) | instid1(VALU_DEP_2)
	v_max_num_f32_e32 v17, v17, v17
	v_max_num_f32_e32 v13, v13, v13
	s_delay_alu instid0(VALU_DEP_1) | instskip(NEXT) | instid1(VALU_DEP_1)
	v_dual_min_num_f32 v27, v13, v17 :: v_dual_max_num_f32 v13, v13, v17
	v_cndmask_b32_e64 v17, v13, v27, s10
	s_delay_alu instid0(VALU_DEP_1) | instskip(NEXT) | instid1(VALU_DEP_1)
	v_and_b32_e32 v13, 0x7f800000, v17
	v_cmp_ne_u32_e32 vcc_lo, 0x7f800000, v13
                                        ; implicit-def: $vgpr13
	s_and_saveexec_b32 s11, vcc_lo
	s_delay_alu instid0(SALU_CYCLE_1)
	s_xor_b32 s11, exec_lo, s11
; %bb.1491:                             ;   in Loop: Header=BB12_1423 Depth=2
	v_bfe_u32 v13, v17, 16, 1
	s_delay_alu instid0(VALU_DEP_1)
	v_add3_u32 v13, v17, v13, 0x7fff
                                        ; implicit-def: $vgpr17
; %bb.1492:                             ;   in Loop: Header=BB12_1423 Depth=2
	s_and_not1_saveexec_b32 s11, s11
; %bb.1493:                             ;   in Loop: Header=BB12_1423 Depth=2
	v_and_b32_e32 v13, 0xffff, v17
	v_or_b32_e32 v27, 0x10000, v17
	s_delay_alu instid0(VALU_DEP_2) | instskip(NEXT) | instid1(VALU_DEP_2)
	v_cmp_eq_u32_e32 vcc_lo, 0, v13
	v_cndmask_b32_e32 v13, v27, v17, vcc_lo
; %bb.1494:                             ;   in Loop: Header=BB12_1423 Depth=2
	s_or_b32 exec_lo, exec_lo, s11
	v_dual_lshrrev_b32 v14, 16, v14 :: v_dual_lshrrev_b32 v1, 16, v1
	v_dual_lshrrev_b32 v15, 16, v15 :: v_dual_lshrrev_b32 v16, 16, v16
	v_sub_nc_u32_e32 v26, v26, v62
	s_delay_alu instid0(VALU_DEP_3) | instskip(NEXT) | instid1(VALU_DEP_4)
	v_and_or_b32 v11, 0xffff0000, v11, v14
	v_and_or_b32 v10, 0xffff0000, v10, v1
	s_delay_alu instid0(VALU_DEP_4)
	v_and_or_b32 v12, 0xffff0000, v12, v15
	v_and_or_b32 v13, 0xffff0000, v13, v16
	global_store_b128 v[2:3], v[10:13], off th:TH_STORE_NT
	s_wait_xcnt 0x0
	v_add_nc_u64_e32 v[2:3], 0x200, v[2:3]
	scratch_store_b128 off, v[10:13], s33 offset:192
	s_wait_xcnt 0x0
	s_and_saveexec_b32 s11, s43
	s_cbranch_execz .LBB12_1422
; %bb.1495:                             ;   in Loop: Header=BB12_1423 Depth=2
	v_add_nc_u64_e32 v[18:19], v[18:19], v[78:79]
	v_add_nc_u64_e32 v[20:21], v[20:21], v[78:79]
	v_add_nc_u64_e32 v[2:3], v[2:3], v[78:79]
	v_dual_sub_nc_u32 v0, v0, v45 :: v_dual_sub_nc_u32 v26, v26, v62
	s_branch .LBB12_1422
.LBB12_1496:                            ;   in Loop: Header=BB12_950 Depth=1
	s_or_b32 exec_lo, exec_lo, s41
	s_delay_alu instid0(SALU_CYCLE_1)
	s_and_b32 s10, s42, exec_lo
.LBB12_1497:                            ;   in Loop: Header=BB12_950 Depth=1
	s_or_b32 exec_lo, exec_lo, s40
	s_and_saveexec_b32 s11, s10
	s_cbranch_execz .LBB12_1531
; %bb.1498:                             ;   in Loop: Header=BB12_950 Depth=1
	s_clause 0x1
	scratch_load_b128 v[14:17], off, s33 offset:240
	scratch_load_b128 v[10:13], off, s33 offset:224
	s_and_b32 s10, 0xffff, s13
	s_delay_alu instid0(SALU_CYCLE_1) | instskip(SKIP_3) | instid1(VALU_DEP_1)
	s_cmp_eq_u32 s10, 0
	s_cselect_b32 vcc_lo, -1, 0
	s_wait_loadcnt 0x0
	v_lshlrev_b32_e32 v1, 16, v10
	v_dual_max_num_f32 v1, v1, v1 :: v_dual_lshlrev_b32 v0, 16, v14
	s_delay_alu instid0(VALU_DEP_1) | instskip(NEXT) | instid1(VALU_DEP_1)
	v_max_num_f32_e32 v0, v0, v0
	v_dual_min_num_f32 v18, v1, v0 :: v_dual_max_num_f32 v0, v1, v0
	s_delay_alu instid0(VALU_DEP_1) | instskip(NEXT) | instid1(VALU_DEP_1)
	v_cndmask_b32_e32 v1, v0, v18, vcc_lo
	v_and_b32_e32 v0, 0x7f800000, v1
	s_delay_alu instid0(VALU_DEP_1) | instskip(SKIP_2) | instid1(SALU_CYCLE_1)
	v_cmp_ne_u32_e64 s10, 0x7f800000, v0
                                        ; implicit-def: $vgpr0
	s_wait_xcnt 0x0
	s_and_saveexec_b32 s12, s10
	s_xor_b32 s10, exec_lo, s12
; %bb.1499:                             ;   in Loop: Header=BB12_950 Depth=1
	v_bfe_u32 v0, v1, 16, 1
	s_delay_alu instid0(VALU_DEP_1)
	v_add3_u32 v0, v1, v0, 0x7fff
                                        ; implicit-def: $vgpr1
; %bb.1500:                             ;   in Loop: Header=BB12_950 Depth=1
	s_and_not1_saveexec_b32 s12, s10
; %bb.1501:                             ;   in Loop: Header=BB12_950 Depth=1
	v_and_b32_e32 v0, 0xffff, v1
	v_or_b32_e32 v18, 0x10000, v1
	s_delay_alu instid0(VALU_DEP_2) | instskip(NEXT) | instid1(VALU_DEP_1)
	v_cmp_eq_u32_e64 s10, 0, v0
	v_cndmask_b32_e64 v0, v18, v1, s10
; %bb.1502:                             ;   in Loop: Header=BB12_950 Depth=1
	s_or_b32 exec_lo, exec_lo, s12
	v_and_b32_e32 v1, 0xffff0000, v14
	v_and_b32_e32 v10, 0xffff0000, v10
	s_delay_alu instid0(VALU_DEP_1) | instskip(NEXT) | instid1(VALU_DEP_1)
	v_dual_max_num_f32 v1, v1, v1 :: v_dual_max_num_f32 v10, v10, v10
	v_dual_min_num_f32 v14, v10, v1 :: v_dual_max_num_f32 v1, v10, v1
	s_delay_alu instid0(VALU_DEP_1) | instskip(NEXT) | instid1(VALU_DEP_1)
	v_cndmask_b32_e32 v10, v1, v14, vcc_lo
	v_and_b32_e32 v1, 0x7f800000, v10
	s_delay_alu instid0(VALU_DEP_1) | instskip(SKIP_1) | instid1(SALU_CYCLE_1)
	v_cmp_ne_u32_e64 s10, 0x7f800000, v1
                                        ; implicit-def: $vgpr1
	s_and_saveexec_b32 s12, s10
	s_xor_b32 s10, exec_lo, s12
; %bb.1503:                             ;   in Loop: Header=BB12_950 Depth=1
	v_bfe_u32 v1, v10, 16, 1
	s_delay_alu instid0(VALU_DEP_1)
	v_add3_u32 v1, v10, v1, 0x7fff
                                        ; implicit-def: $vgpr10
; %bb.1504:                             ;   in Loop: Header=BB12_950 Depth=1
	s_and_not1_saveexec_b32 s12, s10
; %bb.1505:                             ;   in Loop: Header=BB12_950 Depth=1
	v_and_b32_e32 v1, 0xffff, v10
	v_or_b32_e32 v14, 0x10000, v10
	s_delay_alu instid0(VALU_DEP_2) | instskip(NEXT) | instid1(VALU_DEP_1)
	v_cmp_eq_u32_e64 s10, 0, v1
	v_cndmask_b32_e64 v1, v14, v10, s10
; %bb.1506:                             ;   in Loop: Header=BB12_950 Depth=1
	s_or_b32 exec_lo, exec_lo, s12
	v_lshlrev_b32_e32 v14, 16, v11
	s_delay_alu instid0(VALU_DEP_1) | instskip(NEXT) | instid1(VALU_DEP_1)
	v_dual_lshlrev_b32 v10, 16, v15 :: v_dual_max_num_f32 v14, v14, v14
	v_max_num_f32_e32 v10, v10, v10
	s_delay_alu instid0(VALU_DEP_1) | instskip(NEXT) | instid1(VALU_DEP_1)
	v_dual_min_num_f32 v18, v14, v10 :: v_dual_max_num_f32 v10, v14, v10
	v_cndmask_b32_e32 v14, v10, v18, vcc_lo
	s_delay_alu instid0(VALU_DEP_1) | instskip(NEXT) | instid1(VALU_DEP_1)
	v_and_b32_e32 v10, 0x7f800000, v14
	v_cmp_ne_u32_e64 s10, 0x7f800000, v10
                                        ; implicit-def: $vgpr10
	s_and_saveexec_b32 s12, s10
	s_delay_alu instid0(SALU_CYCLE_1)
	s_xor_b32 s10, exec_lo, s12
; %bb.1507:                             ;   in Loop: Header=BB12_950 Depth=1
	v_bfe_u32 v10, v14, 16, 1
	s_delay_alu instid0(VALU_DEP_1)
	v_add3_u32 v10, v14, v10, 0x7fff
                                        ; implicit-def: $vgpr14
; %bb.1508:                             ;   in Loop: Header=BB12_950 Depth=1
	s_and_not1_saveexec_b32 s12, s10
; %bb.1509:                             ;   in Loop: Header=BB12_950 Depth=1
	v_and_b32_e32 v10, 0xffff, v14
	v_or_b32_e32 v18, 0x10000, v14
	s_delay_alu instid0(VALU_DEP_2) | instskip(NEXT) | instid1(VALU_DEP_1)
	v_cmp_eq_u32_e64 s10, 0, v10
	v_cndmask_b32_e64 v10, v18, v14, s10
; %bb.1510:                             ;   in Loop: Header=BB12_950 Depth=1
	s_or_b32 exec_lo, exec_lo, s12
	v_and_b32_e32 v14, 0xffff0000, v15
	v_and_b32_e32 v11, 0xffff0000, v11
	s_delay_alu instid0(VALU_DEP_1) | instskip(NEXT) | instid1(VALU_DEP_1)
	v_dual_max_num_f32 v14, v14, v14 :: v_dual_max_num_f32 v11, v11, v11
	v_dual_min_num_f32 v15, v11, v14 :: v_dual_max_num_f32 v11, v11, v14
	s_delay_alu instid0(VALU_DEP_1) | instskip(NEXT) | instid1(VALU_DEP_1)
	v_cndmask_b32_e32 v14, v11, v15, vcc_lo
	v_and_b32_e32 v11, 0x7f800000, v14
	s_delay_alu instid0(VALU_DEP_1) | instskip(SKIP_1) | instid1(SALU_CYCLE_1)
	v_cmp_ne_u32_e64 s10, 0x7f800000, v11
                                        ; implicit-def: $vgpr11
	s_and_saveexec_b32 s12, s10
	s_xor_b32 s10, exec_lo, s12
; %bb.1511:                             ;   in Loop: Header=BB12_950 Depth=1
	v_bfe_u32 v11, v14, 16, 1
	s_delay_alu instid0(VALU_DEP_1)
	v_add3_u32 v11, v14, v11, 0x7fff
                                        ; implicit-def: $vgpr14
; %bb.1512:                             ;   in Loop: Header=BB12_950 Depth=1
	s_and_not1_saveexec_b32 s12, s10
; %bb.1513:                             ;   in Loop: Header=BB12_950 Depth=1
	v_and_b32_e32 v11, 0xffff, v14
	v_or_b32_e32 v15, 0x10000, v14
	s_delay_alu instid0(VALU_DEP_2) | instskip(NEXT) | instid1(VALU_DEP_1)
	v_cmp_eq_u32_e64 s10, 0, v11
	v_cndmask_b32_e64 v11, v15, v14, s10
; %bb.1514:                             ;   in Loop: Header=BB12_950 Depth=1
	s_or_b32 exec_lo, exec_lo, s12
	v_lshlrev_b32_e32 v15, 16, v12
	s_delay_alu instid0(VALU_DEP_1) | instskip(NEXT) | instid1(VALU_DEP_1)
	v_dual_max_num_f32 v15, v15, v15 :: v_dual_lshlrev_b32 v14, 16, v16
	v_max_num_f32_e32 v14, v14, v14
	s_delay_alu instid0(VALU_DEP_1) | instskip(NEXT) | instid1(VALU_DEP_1)
	v_dual_min_num_f32 v18, v15, v14 :: v_dual_max_num_f32 v14, v15, v14
	v_cndmask_b32_e32 v15, v14, v18, vcc_lo
	s_delay_alu instid0(VALU_DEP_1) | instskip(NEXT) | instid1(VALU_DEP_1)
	v_and_b32_e32 v14, 0x7f800000, v15
	v_cmp_ne_u32_e64 s10, 0x7f800000, v14
                                        ; implicit-def: $vgpr14
	s_and_saveexec_b32 s12, s10
	s_delay_alu instid0(SALU_CYCLE_1)
	s_xor_b32 s10, exec_lo, s12
; %bb.1515:                             ;   in Loop: Header=BB12_950 Depth=1
	v_bfe_u32 v14, v15, 16, 1
	s_delay_alu instid0(VALU_DEP_1)
	v_add3_u32 v14, v15, v14, 0x7fff
                                        ; implicit-def: $vgpr15
; %bb.1516:                             ;   in Loop: Header=BB12_950 Depth=1
	s_and_not1_saveexec_b32 s12, s10
; %bb.1517:                             ;   in Loop: Header=BB12_950 Depth=1
	v_and_b32_e32 v14, 0xffff, v15
	v_or_b32_e32 v18, 0x10000, v15
	s_delay_alu instid0(VALU_DEP_2) | instskip(NEXT) | instid1(VALU_DEP_1)
	v_cmp_eq_u32_e64 s10, 0, v14
	v_cndmask_b32_e64 v14, v18, v15, s10
; %bb.1518:                             ;   in Loop: Header=BB12_950 Depth=1
	s_or_b32 exec_lo, exec_lo, s12
	v_and_b32_e32 v15, 0xffff0000, v16
	v_and_b32_e32 v12, 0xffff0000, v12
	s_delay_alu instid0(VALU_DEP_1) | instskip(NEXT) | instid1(VALU_DEP_1)
	v_dual_max_num_f32 v15, v15, v15 :: v_dual_max_num_f32 v12, v12, v12
	v_dual_min_num_f32 v16, v12, v15 :: v_dual_max_num_f32 v12, v12, v15
	s_delay_alu instid0(VALU_DEP_1) | instskip(NEXT) | instid1(VALU_DEP_1)
	v_cndmask_b32_e32 v15, v12, v16, vcc_lo
	v_and_b32_e32 v12, 0x7f800000, v15
	s_delay_alu instid0(VALU_DEP_1) | instskip(SKIP_1) | instid1(SALU_CYCLE_1)
	v_cmp_ne_u32_e64 s10, 0x7f800000, v12
                                        ; implicit-def: $vgpr12
	s_and_saveexec_b32 s12, s10
	s_xor_b32 s10, exec_lo, s12
; %bb.1519:                             ;   in Loop: Header=BB12_950 Depth=1
	v_bfe_u32 v12, v15, 16, 1
	s_delay_alu instid0(VALU_DEP_1)
	v_add3_u32 v12, v15, v12, 0x7fff
                                        ; implicit-def: $vgpr15
; %bb.1520:                             ;   in Loop: Header=BB12_950 Depth=1
	s_and_not1_saveexec_b32 s12, s10
; %bb.1521:                             ;   in Loop: Header=BB12_950 Depth=1
	v_and_b32_e32 v12, 0xffff, v15
	v_or_b32_e32 v16, 0x10000, v15
	s_delay_alu instid0(VALU_DEP_2) | instskip(NEXT) | instid1(VALU_DEP_1)
	v_cmp_eq_u32_e64 s10, 0, v12
	v_cndmask_b32_e64 v12, v16, v15, s10
; %bb.1522:                             ;   in Loop: Header=BB12_950 Depth=1
	s_or_b32 exec_lo, exec_lo, s12
	v_lshlrev_b32_e32 v16, 16, v13
	s_delay_alu instid0(VALU_DEP_1) | instskip(NEXT) | instid1(VALU_DEP_1)
	v_dual_max_num_f32 v16, v16, v16 :: v_dual_lshlrev_b32 v15, 16, v17
	v_max_num_f32_e32 v15, v15, v15
	s_delay_alu instid0(VALU_DEP_1) | instskip(NEXT) | instid1(VALU_DEP_1)
	v_dual_min_num_f32 v18, v16, v15 :: v_dual_max_num_f32 v15, v16, v15
	v_cndmask_b32_e32 v16, v15, v18, vcc_lo
	s_delay_alu instid0(VALU_DEP_1) | instskip(NEXT) | instid1(VALU_DEP_1)
	v_and_b32_e32 v15, 0x7f800000, v16
	v_cmp_ne_u32_e64 s10, 0x7f800000, v15
                                        ; implicit-def: $vgpr15
	s_and_saveexec_b32 s12, s10
	s_delay_alu instid0(SALU_CYCLE_1)
	s_xor_b32 s10, exec_lo, s12
; %bb.1523:                             ;   in Loop: Header=BB12_950 Depth=1
	v_bfe_u32 v15, v16, 16, 1
	s_delay_alu instid0(VALU_DEP_1)
	v_add3_u32 v15, v16, v15, 0x7fff
                                        ; implicit-def: $vgpr16
; %bb.1524:                             ;   in Loop: Header=BB12_950 Depth=1
	s_and_not1_saveexec_b32 s12, s10
; %bb.1525:                             ;   in Loop: Header=BB12_950 Depth=1
	v_and_b32_e32 v15, 0xffff, v16
	v_or_b32_e32 v18, 0x10000, v16
	s_delay_alu instid0(VALU_DEP_2) | instskip(NEXT) | instid1(VALU_DEP_1)
	v_cmp_eq_u32_e64 s10, 0, v15
	v_cndmask_b32_e64 v15, v18, v16, s10
; %bb.1526:                             ;   in Loop: Header=BB12_950 Depth=1
	s_or_b32 exec_lo, exec_lo, s12
	v_and_b32_e32 v16, 0xffff0000, v17
	v_and_b32_e32 v13, 0xffff0000, v13
	s_delay_alu instid0(VALU_DEP_1) | instskip(NEXT) | instid1(VALU_DEP_1)
	v_dual_max_num_f32 v16, v16, v16 :: v_dual_max_num_f32 v13, v13, v13
	v_dual_min_num_f32 v17, v13, v16 :: v_dual_max_num_f32 v13, v13, v16
	s_delay_alu instid0(VALU_DEP_1) | instskip(NEXT) | instid1(VALU_DEP_1)
	v_cndmask_b32_e32 v16, v13, v17, vcc_lo
	v_and_b32_e32 v13, 0x7f800000, v16
	s_delay_alu instid0(VALU_DEP_1) | instskip(SKIP_1) | instid1(SALU_CYCLE_1)
	v_cmp_ne_u32_e32 vcc_lo, 0x7f800000, v13
                                        ; implicit-def: $vgpr13
	s_and_saveexec_b32 s10, vcc_lo
	s_xor_b32 s10, exec_lo, s10
; %bb.1527:                             ;   in Loop: Header=BB12_950 Depth=1
	v_bfe_u32 v13, v16, 16, 1
	s_delay_alu instid0(VALU_DEP_1)
	v_add3_u32 v13, v16, v13, 0x7fff
                                        ; implicit-def: $vgpr16
; %bb.1528:                             ;   in Loop: Header=BB12_950 Depth=1
	s_and_not1_saveexec_b32 s10, s10
; %bb.1529:                             ;   in Loop: Header=BB12_950 Depth=1
	v_and_b32_e32 v13, 0xffff, v16
	v_or_b32_e32 v17, 0x10000, v16
	s_delay_alu instid0(VALU_DEP_2) | instskip(NEXT) | instid1(VALU_DEP_2)
	v_cmp_eq_u32_e32 vcc_lo, 0, v13
	v_cndmask_b32_e32 v13, v17, v16, vcc_lo
; %bb.1530:                             ;   in Loop: Header=BB12_950 Depth=1
	s_or_b32 exec_lo, exec_lo, s10
	v_dual_lshrrev_b32 v10, 16, v10 :: v_dual_lshrrev_b32 v0, 16, v0
	v_dual_lshrrev_b32 v14, 16, v14 :: v_dual_lshrrev_b32 v15, 16, v15
	s_delay_alu instid0(VALU_DEP_2) | instskip(NEXT) | instid1(VALU_DEP_3)
	v_and_or_b32 v11, 0xffff0000, v11, v10
	v_and_or_b32 v10, 0xffff0000, v1, v0
	s_delay_alu instid0(VALU_DEP_3) | instskip(NEXT) | instid1(VALU_DEP_4)
	v_and_or_b32 v12, 0xffff0000, v12, v14
	v_and_or_b32 v13, 0xffff0000, v13, v15
	global_store_b128 v[2:3], v[10:13], off th:TH_STORE_NT
.LBB12_1531:                            ;   in Loop: Header=BB12_950 Depth=1
	s_wait_xcnt 0x0
	s_or_b32 exec_lo, exec_lo, s11
	v_and_b32_e32 v1, 14, v122
	s_mov_b32 s11, s28
	s_mov_b32 s10, exec_lo
                                        ; implicit-def: $vgpr14
                                        ; implicit-def: $vgpr0
                                        ; implicit-def: $vgpr15
	s_delay_alu instid0(VALU_DEP_1) | instskip(NEXT) | instid1(VALU_DEP_1)
	v_cndmask_b32_e64 v122, v25, v1, s7
	v_cmpx_ne_u32_e32 0, v122
	s_cbranch_execz .LBB12_1533
; %bb.1532:                             ;   in Loop: Header=BB12_950 Depth=1
	v_cmp_lt_i32_e32 vcc_lo, 0, v26
	s_or_b32 s11, s28, exec_lo
	v_dual_cndmask_b32 v0, 0, v62 :: v_dual_sub_nc_u32 v1, v25, v1
	s_delay_alu instid0(VALU_DEP_1) | instskip(NEXT) | instid1(VALU_DEP_1)
	v_dual_cndmask_b32 v1, 0, v1, s7 :: v_dual_sub_nc_u32 v0, v0, v26
	v_add3_u32 v14, v24, v22, v1
	s_delay_alu instid0(VALU_DEP_2) | instskip(NEXT) | instid1(VALU_DEP_1)
	v_lshl_add_u32 v0, v0, 5, v23
	v_ashrrev_i32_e32 v2, 31, v0
	s_delay_alu instid0(VALU_DEP_1) | instskip(NEXT) | instid1(VALU_DEP_1)
	v_lshrrev_b32_e32 v2, 27, v2
	v_add_nc_u32_e32 v2, v0, v2
	s_delay_alu instid0(VALU_DEP_1) | instskip(NEXT) | instid1(VALU_DEP_1)
	v_and_b32_e32 v2, 0xffffffe0, v2
	v_sub_nc_u32_e32 v15, v0, v2
.LBB12_1533:                            ;   in Loop: Header=BB12_950 Depth=1
	s_or_b32 exec_lo, exec_lo, s10
	s_delay_alu instid0(SALU_CYCLE_1) | instskip(SKIP_1) | instid1(SALU_CYCLE_1)
	s_and_not1_b32 s7, s28, exec_lo
	s_and_b32 s10, s11, exec_lo
	s_or_b32 s28, s7, s10
.LBB12_1534:                            ;   in Loop: Header=BB12_950 Depth=1
	s_or_b32 exec_lo, exec_lo, s29
	s_and_saveexec_b32 s14, s28
	s_cbranch_execz .LBB12_1762
.LBB12_1535:                            ;   in Loop: Header=BB12_950 Depth=1
	s_delay_alu instid0(VALU_DEP_1) | instskip(SKIP_1) | instid1(VALU_DEP_2)
	v_dual_ashrrev_i32 v1, 31, v0 :: v_dual_lshlrev_b32 v3, 1, v15
	v_dual_mov_b32 v86, 0 :: v_dual_ashrrev_i32 v2, 31, v122
	v_dual_mov_b32 v97, 0 :: v_dual_lshrrev_b32 v1, 27, v1
	v_dual_mov_b32 v83, 0 :: v_dual_mov_b32 v80, 0
	v_dual_mov_b32 v69, 0 :: v_dual_mov_b32 v67, 0
	s_delay_alu instid0(VALU_DEP_3) | instskip(SKIP_2) | instid1(VALU_DEP_2)
	v_dual_add_nc_u32 v0, v0, v1 :: v_dual_mov_b32 v64, 0
	v_dual_lshrrev_b32 v1, 22, v2 :: v_dual_mov_b32 v21, 0
	v_dual_mov_b32 v53, 0 :: v_dual_mov_b32 v50, 0
	v_dual_ashrrev_i32 v10, 5, v0 :: v_dual_add_nc_u32 v0, v122, v1
	v_dual_mov_b32 v39, 0 :: v_dual_mov_b32 v24, 0
	s_delay_alu instid0(VALU_DEP_2) | instskip(NEXT) | instid1(VALU_DEP_3)
	v_dual_mov_b32 v19, 0 :: v_dual_lshlrev_b32 v1, 10, v10
	v_dual_ashrrev_i32 v16, 10, v0 :: v_dual_mov_b32 v0, 0
	v_dual_mov_b32 v17, 0 :: v_dual_mov_b32 v2, 0
	s_delay_alu instid0(VALU_DEP_3) | instskip(SKIP_1) | instid1(VALU_DEP_3)
	v_add3_u32 v12, v14, v3, v1
	s_wait_loadcnt 0x0
	v_dual_mov_b32 v98, 0 :: v_dual_sub_nc_u32 v33, v16, v10
	v_dual_mov_b32 v87, 0 :: v_dual_mov_b32 v85, 0
	s_delay_alu instid0(VALU_DEP_3) | instskip(SKIP_2) | instid1(VALU_DEP_3)
	v_dual_mov_b32 v82, 0 :: v_dual_ashrrev_i32 v13, 31, v12
	v_dual_mov_b32 v71, 0 :: v_dual_mov_b32 v68, 0
	v_dual_mov_b32 v65, 0 :: v_dual_mov_b32 v54, 0
	v_add_nc_u64_e32 v[10:11], v[110:111], v[12:13]
	v_dual_mov_b32 v51, 0 :: v_dual_mov_b32 v48, 0
	v_dual_mov_b32 v25, 0 :: v_dual_mov_b32 v22, 0
	;; [unrolled: 1-line block ×4, first 2 shown]
	s_mov_b32 s7, 0
	s_mov_b32 s10, exec_lo
	v_cmpx_lt_i32_e32 0, v33
	s_cbranch_execz .LBB12_1671
; %bb.1536:                             ;   in Loop: Header=BB12_950 Depth=1
	s_trap 2
	ds_load_b64 v[0:1], v0
	v_add_nc_u64_e32 v[2:3], v[12:13], v[108:109]
	s_and_b32 s7, s13, 0xff
	s_mov_b32 s15, 0
	s_cmp_eq_u32 s7, 0
	s_mov_b32 s12, 0
	s_cselect_b32 vcc_lo, -1, 0
                                        ; implicit-def: $sgpr11
                                        ; implicit-def: $vgpr113
                                        ; implicit-def: $vgpr102
                                        ; implicit-def: $vgpr99
                                        ; implicit-def: $vgpr96
                                        ; implicit-def: $vgpr84
                                        ; implicit-def: $vgpr81
                                        ; implicit-def: $vgpr70
                                        ; implicit-def: $vgpr66
                                        ; implicit-def: $vgpr55
                                        ; implicit-def: $vgpr52
                                        ; implicit-def: $vgpr49
                                        ; implicit-def: $vgpr38
                                        ; implicit-def: $vgpr37
                                        ; implicit-def: $vgpr36
                                        ; implicit-def: $vgpr35
                                        ; implicit-def: $vgpr34
                                        ; implicit-def: $vgpr17
                                        ; implicit-def: $vgpr18
                                        ; implicit-def: $vgpr19
                                        ; implicit-def: $vgpr20
                                        ; implicit-def: $vgpr21
                                        ; implicit-def: $vgpr22
                                        ; implicit-def: $vgpr23
                                        ; implicit-def: $vgpr24
                                        ; implicit-def: $vgpr25
                                        ; implicit-def: $vgpr26
                                        ; implicit-def: $vgpr27
                                        ; implicit-def: $vgpr28
                                        ; implicit-def: $vgpr29
                                        ; implicit-def: $vgpr30
                                        ; implicit-def: $vgpr31
                                        ; implicit-def: $vgpr32
	s_wait_dscnt 0x0
	v_add_nc_u64_e32 v[12:13], v[0:1], v[12:13]
	s_branch .LBB12_1538
.LBB12_1537:                            ;   in Loop: Header=BB12_1538 Depth=2
	s_or_b32 exec_lo, exec_lo, s28
	v_dual_cndmask_b32 v48, 0, v62, s15 :: v_dual_cndmask_b32 v101, 0, v93, s15
	s_clause 0x7
	flat_store_d16_hi_b16 v[10:11], v119 th:TH_STORE_NT
	flat_store_d16_hi_b16 v[10:11], v42 offset:64 th:TH_STORE_NT
	flat_store_d16_hi_b16 v[10:11], v114 offset:128 th:TH_STORE_NT
	;; [unrolled: 1-line block ×7, first 2 shown]
	s_wait_xcnt 0x3
	v_add_nc_u64_e32 v[0:1], v[2:3], v[74:75]
	s_wait_xcnt 0x0
	v_add_nc_u64_e32 v[86:87], v[12:13], v[74:75]
	v_sub_nc_u32_e32 v33, v33, v48
	v_cndmask_b32_e64 v100, 0x400, v92, s15
	s_clause 0x7
	flat_store_d16_hi_b16 v[10:11], v83 offset:512 th:TH_STORE_NT
	flat_store_d16_hi_b16 v[10:11], v80 offset:576 th:TH_STORE_NT
	;; [unrolled: 1-line block ×8, first 2 shown]
	v_cndmask_b32_e64 v3, v3, v1, s15
	v_cmp_gt_i32_e64 s7, 1, v33
	s_wait_xcnt 0x0
	v_add_nc_u64_e32 v[10:11], v[10:11], v[100:101]
	v_dual_cndmask_b32 v2, v2, v0, s15 :: v_dual_cndmask_b32 v13, v13, v87, s15
	v_cndmask_b32_e64 v12, v12, v86, s15
	s_or_b32 s12, s7, s12
	s_and_not1_b32 s7, s11, exec_lo
	s_and_b32 s11, s15, exec_lo
	s_delay_alu instid0(SALU_CYCLE_1)
	s_or_b32 s11, s7, s11
	s_and_not1_b32 exec_lo, exec_lo, s12
	s_cbranch_execz .LBB12_1670
.LBB12_1538:                            ;   Parent Loop BB12_950 Depth=1
                                        ; =>  This Inner Loop Header: Depth=2
	s_clause 0xf
	flat_load_u16 v89, v[2:3] th:TH_LOAD_NT
	flat_load_u16 v42, v[2:3] offset:64 th:TH_LOAD_NT
	flat_load_u16 v114, v[2:3] offset:128 th:TH_LOAD_NT
	;; [unrolled: 1-line block ×15, first 2 shown]
	s_clause 0xf
	flat_load_u16 v120, v[12:13] th:TH_LOAD_NT
	flat_load_u16 v43, v[12:13] offset:64 th:TH_LOAD_NT
	flat_load_u16 v115, v[12:13] offset:128 th:TH_LOAD_NT
	;; [unrolled: 1-line block ×15, first 2 shown]
	s_wait_xcnt 0x0
	s_and_saveexec_b32 s28, s15
	s_cbranch_execz .LBB12_1604
; %bb.1539:                             ;   in Loop: Header=BB12_1538 Depth=2
	v_lshlrev_b32_e32 v116, 16, v17
	s_delay_alu instid0(VALU_DEP_1) | instskip(NEXT) | instid1(VALU_DEP_1)
	v_dual_max_num_f32 v116, v116, v116 :: v_dual_lshlrev_b32 v113, 16, v113
	v_max_num_f32_e32 v113, v113, v113
	s_delay_alu instid0(VALU_DEP_1) | instskip(NEXT) | instid1(VALU_DEP_1)
	v_dual_min_num_f32 v117, v113, v116 :: v_dual_max_num_f32 v113, v113, v116
	v_cndmask_b32_e32 v116, v113, v117, vcc_lo
	s_delay_alu instid0(VALU_DEP_1) | instskip(NEXT) | instid1(VALU_DEP_1)
	v_and_b32_e32 v113, 0x7f800000, v116
	v_cmp_ne_u32_e64 s7, 0x7f800000, v113
                                        ; implicit-def: $vgpr113
	s_and_saveexec_b32 s15, s7
	s_delay_alu instid0(SALU_CYCLE_1)
	s_xor_b32 s7, exec_lo, s15
; %bb.1540:                             ;   in Loop: Header=BB12_1538 Depth=2
	v_bfe_u32 v113, v116, 16, 1
	s_delay_alu instid0(VALU_DEP_1)
	v_add3_u32 v113, v116, v113, 0x7fff
                                        ; implicit-def: $vgpr116
; %bb.1541:                             ;   in Loop: Header=BB12_1538 Depth=2
	s_and_not1_saveexec_b32 s15, s7
; %bb.1542:                             ;   in Loop: Header=BB12_1538 Depth=2
	v_and_b32_e32 v113, 0xffff, v116
	v_or_b32_e32 v117, 0x10000, v116
	s_delay_alu instid0(VALU_DEP_2) | instskip(NEXT) | instid1(VALU_DEP_1)
	v_cmp_eq_u32_e64 s7, 0, v113
	v_cndmask_b32_e64 v113, v117, v116, s7
; %bb.1543:                             ;   in Loop: Header=BB12_1538 Depth=2
	s_or_b32 exec_lo, exec_lo, s15
	v_lshlrev_b32_e32 v116, 16, v18
	s_delay_alu instid0(VALU_DEP_1) | instskip(NEXT) | instid1(VALU_DEP_1)
	v_dual_lshlrev_b32 v102, 16, v102 :: v_dual_max_num_f32 v116, v116, v116
	v_max_num_f32_e32 v102, v102, v102
	s_delay_alu instid0(VALU_DEP_1) | instskip(NEXT) | instid1(VALU_DEP_1)
	v_dual_min_num_f32 v117, v102, v116 :: v_dual_max_num_f32 v102, v102, v116
	v_cndmask_b32_e32 v116, v102, v117, vcc_lo
	s_delay_alu instid0(VALU_DEP_1) | instskip(NEXT) | instid1(VALU_DEP_1)
	v_and_b32_e32 v102, 0x7f800000, v116
	v_cmp_ne_u32_e64 s7, 0x7f800000, v102
                                        ; implicit-def: $vgpr102
	s_and_saveexec_b32 s15, s7
	s_delay_alu instid0(SALU_CYCLE_1)
	s_xor_b32 s7, exec_lo, s15
; %bb.1544:                             ;   in Loop: Header=BB12_1538 Depth=2
	v_bfe_u32 v102, v116, 16, 1
	s_delay_alu instid0(VALU_DEP_1)
	v_add3_u32 v102, v116, v102, 0x7fff
                                        ; implicit-def: $vgpr116
; %bb.1545:                             ;   in Loop: Header=BB12_1538 Depth=2
	s_and_not1_saveexec_b32 s15, s7
; %bb.1546:                             ;   in Loop: Header=BB12_1538 Depth=2
	v_and_b32_e32 v102, 0xffff, v116
	v_or_b32_e32 v117, 0x10000, v116
	s_delay_alu instid0(VALU_DEP_2) | instskip(NEXT) | instid1(VALU_DEP_1)
	v_cmp_eq_u32_e64 s7, 0, v102
	v_cndmask_b32_e64 v102, v117, v116, s7
; %bb.1547:                             ;   in Loop: Header=BB12_1538 Depth=2
	s_or_b32 exec_lo, exec_lo, s15
	v_lshlrev_b32_e32 v116, 16, v19
	s_delay_alu instid0(VALU_DEP_1) | instskip(NEXT) | instid1(VALU_DEP_1)
	v_dual_max_num_f32 v116, v116, v116 :: v_dual_lshlrev_b32 v99, 16, v99
	v_max_num_f32_e32 v99, v99, v99
	s_delay_alu instid0(VALU_DEP_1) | instskip(NEXT) | instid1(VALU_DEP_1)
	v_dual_min_num_f32 v117, v99, v116 :: v_dual_max_num_f32 v99, v99, v116
	v_cndmask_b32_e32 v116, v99, v117, vcc_lo
	s_delay_alu instid0(VALU_DEP_1) | instskip(NEXT) | instid1(VALU_DEP_1)
	v_and_b32_e32 v99, 0x7f800000, v116
	v_cmp_ne_u32_e64 s7, 0x7f800000, v99
                                        ; implicit-def: $vgpr99
	s_and_saveexec_b32 s15, s7
	s_delay_alu instid0(SALU_CYCLE_1)
	s_xor_b32 s7, exec_lo, s15
; %bb.1548:                             ;   in Loop: Header=BB12_1538 Depth=2
	v_bfe_u32 v99, v116, 16, 1
	s_delay_alu instid0(VALU_DEP_1)
	v_add3_u32 v99, v116, v99, 0x7fff
                                        ; implicit-def: $vgpr116
; %bb.1549:                             ;   in Loop: Header=BB12_1538 Depth=2
	s_and_not1_saveexec_b32 s15, s7
; %bb.1550:                             ;   in Loop: Header=BB12_1538 Depth=2
	v_and_b32_e32 v99, 0xffff, v116
	v_or_b32_e32 v117, 0x10000, v116
	s_delay_alu instid0(VALU_DEP_2) | instskip(NEXT) | instid1(VALU_DEP_1)
	v_cmp_eq_u32_e64 s7, 0, v99
	v_cndmask_b32_e64 v99, v117, v116, s7
; %bb.1551:                             ;   in Loop: Header=BB12_1538 Depth=2
	s_or_b32 exec_lo, exec_lo, s15
	v_lshlrev_b32_e32 v116, 16, v20
	v_lshlrev_b32_e32 v96, 16, v96
	s_delay_alu instid0(VALU_DEP_2) | instskip(NEXT) | instid1(VALU_DEP_2)
	v_max_num_f32_e32 v116, v116, v116
	v_max_num_f32_e32 v96, v96, v96
	s_delay_alu instid0(VALU_DEP_1) | instskip(NEXT) | instid1(VALU_DEP_1)
	v_dual_min_num_f32 v117, v96, v116 :: v_dual_max_num_f32 v96, v96, v116
	v_cndmask_b32_e32 v116, v96, v117, vcc_lo
	s_delay_alu instid0(VALU_DEP_1) | instskip(NEXT) | instid1(VALU_DEP_1)
	v_and_b32_e32 v96, 0x7f800000, v116
	v_cmp_ne_u32_e64 s7, 0x7f800000, v96
                                        ; implicit-def: $vgpr96
	s_and_saveexec_b32 s15, s7
	s_delay_alu instid0(SALU_CYCLE_1)
	s_xor_b32 s7, exec_lo, s15
; %bb.1552:                             ;   in Loop: Header=BB12_1538 Depth=2
	v_bfe_u32 v96, v116, 16, 1
	s_delay_alu instid0(VALU_DEP_1)
	v_add3_u32 v96, v116, v96, 0x7fff
                                        ; implicit-def: $vgpr116
; %bb.1553:                             ;   in Loop: Header=BB12_1538 Depth=2
	s_and_not1_saveexec_b32 s15, s7
; %bb.1554:                             ;   in Loop: Header=BB12_1538 Depth=2
	v_and_b32_e32 v96, 0xffff, v116
	v_or_b32_e32 v117, 0x10000, v116
	s_delay_alu instid0(VALU_DEP_2) | instskip(NEXT) | instid1(VALU_DEP_1)
	v_cmp_eq_u32_e64 s7, 0, v96
	v_cndmask_b32_e64 v96, v117, v116, s7
; %bb.1555:                             ;   in Loop: Header=BB12_1538 Depth=2
	s_or_b32 exec_lo, exec_lo, s15
	v_dual_lshlrev_b32 v116, 16, v21 :: v_dual_lshlrev_b32 v84, 16, v84
	s_delay_alu instid0(VALU_DEP_1) | instskip(NEXT) | instid1(VALU_DEP_2)
	v_max_num_f32_e32 v116, v116, v116
	v_max_num_f32_e32 v84, v84, v84
	s_delay_alu instid0(VALU_DEP_1) | instskip(NEXT) | instid1(VALU_DEP_1)
	v_dual_min_num_f32 v117, v84, v116 :: v_dual_max_num_f32 v84, v84, v116
	v_cndmask_b32_e32 v116, v84, v117, vcc_lo
	s_delay_alu instid0(VALU_DEP_1) | instskip(NEXT) | instid1(VALU_DEP_1)
	v_and_b32_e32 v84, 0x7f800000, v116
	v_cmp_ne_u32_e64 s7, 0x7f800000, v84
                                        ; implicit-def: $vgpr84
	s_and_saveexec_b32 s15, s7
	s_delay_alu instid0(SALU_CYCLE_1)
	s_xor_b32 s7, exec_lo, s15
; %bb.1556:                             ;   in Loop: Header=BB12_1538 Depth=2
	v_bfe_u32 v84, v116, 16, 1
	s_delay_alu instid0(VALU_DEP_1)
	v_add3_u32 v84, v116, v84, 0x7fff
                                        ; implicit-def: $vgpr116
; %bb.1557:                             ;   in Loop: Header=BB12_1538 Depth=2
	s_and_not1_saveexec_b32 s15, s7
; %bb.1558:                             ;   in Loop: Header=BB12_1538 Depth=2
	v_and_b32_e32 v84, 0xffff, v116
	v_or_b32_e32 v117, 0x10000, v116
	s_delay_alu instid0(VALU_DEP_2) | instskip(NEXT) | instid1(VALU_DEP_1)
	v_cmp_eq_u32_e64 s7, 0, v84
	v_cndmask_b32_e64 v84, v117, v116, s7
; %bb.1559:                             ;   in Loop: Header=BB12_1538 Depth=2
	s_or_b32 exec_lo, exec_lo, s15
	v_dual_lshlrev_b32 v116, 16, v22 :: v_dual_lshlrev_b32 v81, 16, v81
	s_delay_alu instid0(VALU_DEP_1) | instskip(NEXT) | instid1(VALU_DEP_1)
	v_dual_max_num_f32 v116, v116, v116 :: v_dual_max_num_f32 v81, v81, v81
	v_dual_min_num_f32 v117, v81, v116 :: v_dual_max_num_f32 v81, v81, v116
	s_delay_alu instid0(VALU_DEP_1) | instskip(NEXT) | instid1(VALU_DEP_1)
	v_cndmask_b32_e32 v116, v81, v117, vcc_lo
	v_and_b32_e32 v81, 0x7f800000, v116
	s_delay_alu instid0(VALU_DEP_1) | instskip(SKIP_1) | instid1(SALU_CYCLE_1)
	v_cmp_ne_u32_e64 s7, 0x7f800000, v81
                                        ; implicit-def: $vgpr81
	s_and_saveexec_b32 s15, s7
	s_xor_b32 s7, exec_lo, s15
; %bb.1560:                             ;   in Loop: Header=BB12_1538 Depth=2
	v_bfe_u32 v81, v116, 16, 1
	s_delay_alu instid0(VALU_DEP_1)
	v_add3_u32 v81, v116, v81, 0x7fff
                                        ; implicit-def: $vgpr116
; %bb.1561:                             ;   in Loop: Header=BB12_1538 Depth=2
	s_and_not1_saveexec_b32 s15, s7
; %bb.1562:                             ;   in Loop: Header=BB12_1538 Depth=2
	v_and_b32_e32 v81, 0xffff, v116
	v_or_b32_e32 v117, 0x10000, v116
	s_delay_alu instid0(VALU_DEP_2) | instskip(NEXT) | instid1(VALU_DEP_1)
	v_cmp_eq_u32_e64 s7, 0, v81
	v_cndmask_b32_e64 v81, v117, v116, s7
; %bb.1563:                             ;   in Loop: Header=BB12_1538 Depth=2
	s_or_b32 exec_lo, exec_lo, s15
	v_dual_lshlrev_b32 v116, 16, v23 :: v_dual_lshlrev_b32 v70, 16, v70
	s_delay_alu instid0(VALU_DEP_1) | instskip(NEXT) | instid1(VALU_DEP_1)
	v_dual_max_num_f32 v116, v116, v116 :: v_dual_max_num_f32 v70, v70, v70
	v_dual_min_num_f32 v117, v70, v116 :: v_dual_max_num_f32 v70, v70, v116
	s_delay_alu instid0(VALU_DEP_1) | instskip(NEXT) | instid1(VALU_DEP_1)
	v_cndmask_b32_e32 v116, v70, v117, vcc_lo
	v_and_b32_e32 v70, 0x7f800000, v116
	s_delay_alu instid0(VALU_DEP_1) | instskip(SKIP_1) | instid1(SALU_CYCLE_1)
	v_cmp_ne_u32_e64 s7, 0x7f800000, v70
                                        ; implicit-def: $vgpr70
	s_and_saveexec_b32 s15, s7
	s_xor_b32 s7, exec_lo, s15
; %bb.1564:                             ;   in Loop: Header=BB12_1538 Depth=2
	v_bfe_u32 v70, v116, 16, 1
	s_delay_alu instid0(VALU_DEP_1)
	v_add3_u32 v70, v116, v70, 0x7fff
                                        ; implicit-def: $vgpr116
; %bb.1565:                             ;   in Loop: Header=BB12_1538 Depth=2
	s_and_not1_saveexec_b32 s15, s7
; %bb.1566:                             ;   in Loop: Header=BB12_1538 Depth=2
	v_and_b32_e32 v70, 0xffff, v116
	v_or_b32_e32 v117, 0x10000, v116
	s_delay_alu instid0(VALU_DEP_2) | instskip(NEXT) | instid1(VALU_DEP_1)
	v_cmp_eq_u32_e64 s7, 0, v70
	v_cndmask_b32_e64 v70, v117, v116, s7
; %bb.1567:                             ;   in Loop: Header=BB12_1538 Depth=2
	s_or_b32 exec_lo, exec_lo, s15
	v_dual_lshlrev_b32 v116, 16, v24 :: v_dual_lshlrev_b32 v66, 16, v66
	s_delay_alu instid0(VALU_DEP_1) | instskip(NEXT) | instid1(VALU_DEP_1)
	v_dual_max_num_f32 v116, v116, v116 :: v_dual_max_num_f32 v66, v66, v66
	v_dual_min_num_f32 v117, v66, v116 :: v_dual_max_num_f32 v66, v66, v116
	s_delay_alu instid0(VALU_DEP_1) | instskip(NEXT) | instid1(VALU_DEP_1)
	v_cndmask_b32_e32 v116, v66, v117, vcc_lo
	v_and_b32_e32 v66, 0x7f800000, v116
	s_delay_alu instid0(VALU_DEP_1) | instskip(SKIP_1) | instid1(SALU_CYCLE_1)
	v_cmp_ne_u32_e64 s7, 0x7f800000, v66
                                        ; implicit-def: $vgpr66
	s_and_saveexec_b32 s15, s7
	s_xor_b32 s7, exec_lo, s15
; %bb.1568:                             ;   in Loop: Header=BB12_1538 Depth=2
	v_bfe_u32 v66, v116, 16, 1
	s_delay_alu instid0(VALU_DEP_1)
	v_add3_u32 v66, v116, v66, 0x7fff
                                        ; implicit-def: $vgpr116
; %bb.1569:                             ;   in Loop: Header=BB12_1538 Depth=2
	s_and_not1_saveexec_b32 s15, s7
; %bb.1570:                             ;   in Loop: Header=BB12_1538 Depth=2
	v_and_b32_e32 v66, 0xffff, v116
	v_or_b32_e32 v117, 0x10000, v116
	s_delay_alu instid0(VALU_DEP_2) | instskip(NEXT) | instid1(VALU_DEP_1)
	v_cmp_eq_u32_e64 s7, 0, v66
	v_cndmask_b32_e64 v66, v117, v116, s7
; %bb.1571:                             ;   in Loop: Header=BB12_1538 Depth=2
	s_or_b32 exec_lo, exec_lo, s15
	v_dual_lshlrev_b32 v116, 16, v25 :: v_dual_lshlrev_b32 v55, 16, v55
	s_delay_alu instid0(VALU_DEP_1) | instskip(NEXT) | instid1(VALU_DEP_1)
	v_dual_max_num_f32 v116, v116, v116 :: v_dual_max_num_f32 v55, v55, v55
	v_dual_min_num_f32 v117, v55, v116 :: v_dual_max_num_f32 v55, v55, v116
	s_delay_alu instid0(VALU_DEP_1) | instskip(NEXT) | instid1(VALU_DEP_1)
	v_cndmask_b32_e32 v116, v55, v117, vcc_lo
	v_and_b32_e32 v55, 0x7f800000, v116
	s_delay_alu instid0(VALU_DEP_1) | instskip(SKIP_1) | instid1(SALU_CYCLE_1)
	v_cmp_ne_u32_e64 s7, 0x7f800000, v55
                                        ; implicit-def: $vgpr55
	s_and_saveexec_b32 s15, s7
	s_xor_b32 s7, exec_lo, s15
; %bb.1572:                             ;   in Loop: Header=BB12_1538 Depth=2
	v_bfe_u32 v55, v116, 16, 1
	s_delay_alu instid0(VALU_DEP_1)
	v_add3_u32 v55, v116, v55, 0x7fff
                                        ; implicit-def: $vgpr116
; %bb.1573:                             ;   in Loop: Header=BB12_1538 Depth=2
	s_and_not1_saveexec_b32 s15, s7
; %bb.1574:                             ;   in Loop: Header=BB12_1538 Depth=2
	v_and_b32_e32 v55, 0xffff, v116
	v_or_b32_e32 v117, 0x10000, v116
	s_delay_alu instid0(VALU_DEP_2) | instskip(NEXT) | instid1(VALU_DEP_1)
	v_cmp_eq_u32_e64 s7, 0, v55
	v_cndmask_b32_e64 v55, v117, v116, s7
; %bb.1575:                             ;   in Loop: Header=BB12_1538 Depth=2
	s_or_b32 exec_lo, exec_lo, s15
	v_dual_lshlrev_b32 v116, 16, v26 :: v_dual_lshlrev_b32 v52, 16, v52
	s_delay_alu instid0(VALU_DEP_1) | instskip(NEXT) | instid1(VALU_DEP_2)
	v_max_num_f32_e32 v116, v116, v116
	v_max_num_f32_e32 v52, v52, v52
	s_delay_alu instid0(VALU_DEP_1) | instskip(NEXT) | instid1(VALU_DEP_1)
	v_dual_min_num_f32 v117, v52, v116 :: v_dual_max_num_f32 v52, v52, v116
	v_cndmask_b32_e32 v116, v52, v117, vcc_lo
	s_delay_alu instid0(VALU_DEP_1) | instskip(NEXT) | instid1(VALU_DEP_1)
	v_and_b32_e32 v52, 0x7f800000, v116
	v_cmp_ne_u32_e64 s7, 0x7f800000, v52
                                        ; implicit-def: $vgpr52
	s_and_saveexec_b32 s15, s7
	s_delay_alu instid0(SALU_CYCLE_1)
	s_xor_b32 s7, exec_lo, s15
; %bb.1576:                             ;   in Loop: Header=BB12_1538 Depth=2
	v_bfe_u32 v52, v116, 16, 1
	s_delay_alu instid0(VALU_DEP_1)
	v_add3_u32 v52, v116, v52, 0x7fff
                                        ; implicit-def: $vgpr116
; %bb.1577:                             ;   in Loop: Header=BB12_1538 Depth=2
	s_and_not1_saveexec_b32 s15, s7
; %bb.1578:                             ;   in Loop: Header=BB12_1538 Depth=2
	v_and_b32_e32 v52, 0xffff, v116
	v_or_b32_e32 v117, 0x10000, v116
	s_delay_alu instid0(VALU_DEP_2) | instskip(NEXT) | instid1(VALU_DEP_1)
	v_cmp_eq_u32_e64 s7, 0, v52
	v_cndmask_b32_e64 v52, v117, v116, s7
; %bb.1579:                             ;   in Loop: Header=BB12_1538 Depth=2
	s_or_b32 exec_lo, exec_lo, s15
	v_dual_lshlrev_b32 v116, 16, v27 :: v_dual_lshlrev_b32 v49, 16, v49
	s_delay_alu instid0(VALU_DEP_1) | instskip(NEXT) | instid1(VALU_DEP_1)
	v_dual_max_num_f32 v116, v116, v116 :: v_dual_max_num_f32 v49, v49, v49
	v_dual_min_num_f32 v117, v49, v116 :: v_dual_max_num_f32 v49, v49, v116
	s_delay_alu instid0(VALU_DEP_1) | instskip(NEXT) | instid1(VALU_DEP_1)
	v_cndmask_b32_e32 v116, v49, v117, vcc_lo
	v_and_b32_e32 v49, 0x7f800000, v116
	s_delay_alu instid0(VALU_DEP_1) | instskip(SKIP_1) | instid1(SALU_CYCLE_1)
	v_cmp_ne_u32_e64 s7, 0x7f800000, v49
                                        ; implicit-def: $vgpr49
	s_and_saveexec_b32 s15, s7
	s_xor_b32 s7, exec_lo, s15
; %bb.1580:                             ;   in Loop: Header=BB12_1538 Depth=2
	v_bfe_u32 v49, v116, 16, 1
	s_delay_alu instid0(VALU_DEP_1)
	v_add3_u32 v49, v116, v49, 0x7fff
                                        ; implicit-def: $vgpr116
; %bb.1581:                             ;   in Loop: Header=BB12_1538 Depth=2
	s_and_not1_saveexec_b32 s15, s7
; %bb.1582:                             ;   in Loop: Header=BB12_1538 Depth=2
	v_and_b32_e32 v49, 0xffff, v116
	v_or_b32_e32 v117, 0x10000, v116
	s_delay_alu instid0(VALU_DEP_2) | instskip(NEXT) | instid1(VALU_DEP_1)
	v_cmp_eq_u32_e64 s7, 0, v49
	v_cndmask_b32_e64 v49, v117, v116, s7
; %bb.1583:                             ;   in Loop: Header=BB12_1538 Depth=2
	s_or_b32 exec_lo, exec_lo, s15
	v_dual_lshlrev_b32 v116, 16, v28 :: v_dual_lshlrev_b32 v38, 16, v38
	s_delay_alu instid0(VALU_DEP_1) | instskip(NEXT) | instid1(VALU_DEP_1)
	v_dual_max_num_f32 v116, v116, v116 :: v_dual_max_num_f32 v38, v38, v38
	v_dual_min_num_f32 v117, v38, v116 :: v_dual_max_num_f32 v38, v38, v116
	s_delay_alu instid0(VALU_DEP_1) | instskip(NEXT) | instid1(VALU_DEP_1)
	v_cndmask_b32_e32 v116, v38, v117, vcc_lo
	v_and_b32_e32 v38, 0x7f800000, v116
	s_delay_alu instid0(VALU_DEP_1) | instskip(SKIP_1) | instid1(SALU_CYCLE_1)
	v_cmp_ne_u32_e64 s7, 0x7f800000, v38
                                        ; implicit-def: $vgpr38
	s_and_saveexec_b32 s15, s7
	s_xor_b32 s7, exec_lo, s15
; %bb.1584:                             ;   in Loop: Header=BB12_1538 Depth=2
	v_bfe_u32 v38, v116, 16, 1
	s_delay_alu instid0(VALU_DEP_1)
	v_add3_u32 v38, v116, v38, 0x7fff
                                        ; implicit-def: $vgpr116
; %bb.1585:                             ;   in Loop: Header=BB12_1538 Depth=2
	s_and_not1_saveexec_b32 s15, s7
; %bb.1586:                             ;   in Loop: Header=BB12_1538 Depth=2
	v_and_b32_e32 v38, 0xffff, v116
	v_or_b32_e32 v117, 0x10000, v116
	s_delay_alu instid0(VALU_DEP_2) | instskip(NEXT) | instid1(VALU_DEP_1)
	v_cmp_eq_u32_e64 s7, 0, v38
	v_cndmask_b32_e64 v38, v117, v116, s7
; %bb.1587:                             ;   in Loop: Header=BB12_1538 Depth=2
	s_or_b32 exec_lo, exec_lo, s15
	v_lshlrev_b32_e32 v116, 16, v29
	s_delay_alu instid0(VALU_DEP_1) | instskip(NEXT) | instid1(VALU_DEP_1)
	v_dual_max_num_f32 v116, v116, v116 :: v_dual_lshlrev_b32 v37, 16, v37
	v_max_num_f32_e32 v37, v37, v37
	s_delay_alu instid0(VALU_DEP_1) | instskip(NEXT) | instid1(VALU_DEP_1)
	v_dual_min_num_f32 v117, v37, v116 :: v_dual_max_num_f32 v37, v37, v116
	v_cndmask_b32_e32 v116, v37, v117, vcc_lo
	s_delay_alu instid0(VALU_DEP_1) | instskip(NEXT) | instid1(VALU_DEP_1)
	v_and_b32_e32 v37, 0x7f800000, v116
	v_cmp_ne_u32_e64 s7, 0x7f800000, v37
                                        ; implicit-def: $vgpr37
	s_and_saveexec_b32 s15, s7
	s_delay_alu instid0(SALU_CYCLE_1)
	s_xor_b32 s7, exec_lo, s15
; %bb.1588:                             ;   in Loop: Header=BB12_1538 Depth=2
	v_bfe_u32 v37, v116, 16, 1
	s_delay_alu instid0(VALU_DEP_1)
	v_add3_u32 v37, v116, v37, 0x7fff
                                        ; implicit-def: $vgpr116
; %bb.1589:                             ;   in Loop: Header=BB12_1538 Depth=2
	s_and_not1_saveexec_b32 s15, s7
; %bb.1590:                             ;   in Loop: Header=BB12_1538 Depth=2
	v_and_b32_e32 v37, 0xffff, v116
	v_or_b32_e32 v117, 0x10000, v116
	s_delay_alu instid0(VALU_DEP_2) | instskip(NEXT) | instid1(VALU_DEP_1)
	v_cmp_eq_u32_e64 s7, 0, v37
	v_cndmask_b32_e64 v37, v117, v116, s7
; %bb.1591:                             ;   in Loop: Header=BB12_1538 Depth=2
	s_or_b32 exec_lo, exec_lo, s15
	v_dual_lshlrev_b32 v116, 16, v30 :: v_dual_lshlrev_b32 v36, 16, v36
	s_delay_alu instid0(VALU_DEP_1) | instskip(NEXT) | instid1(VALU_DEP_2)
	v_max_num_f32_e32 v116, v116, v116
	v_max_num_f32_e32 v36, v36, v36
	s_delay_alu instid0(VALU_DEP_1) | instskip(NEXT) | instid1(VALU_DEP_1)
	v_dual_min_num_f32 v117, v36, v116 :: v_dual_max_num_f32 v36, v36, v116
	v_cndmask_b32_e32 v116, v36, v117, vcc_lo
	s_delay_alu instid0(VALU_DEP_1) | instskip(NEXT) | instid1(VALU_DEP_1)
	v_and_b32_e32 v36, 0x7f800000, v116
	v_cmp_ne_u32_e64 s7, 0x7f800000, v36
                                        ; implicit-def: $vgpr36
	s_and_saveexec_b32 s15, s7
	s_delay_alu instid0(SALU_CYCLE_1)
	s_xor_b32 s7, exec_lo, s15
; %bb.1592:                             ;   in Loop: Header=BB12_1538 Depth=2
	v_bfe_u32 v36, v116, 16, 1
	s_delay_alu instid0(VALU_DEP_1)
	v_add3_u32 v36, v116, v36, 0x7fff
                                        ; implicit-def: $vgpr116
; %bb.1593:                             ;   in Loop: Header=BB12_1538 Depth=2
	s_and_not1_saveexec_b32 s15, s7
; %bb.1594:                             ;   in Loop: Header=BB12_1538 Depth=2
	v_and_b32_e32 v36, 0xffff, v116
	v_or_b32_e32 v117, 0x10000, v116
	s_delay_alu instid0(VALU_DEP_2) | instskip(NEXT) | instid1(VALU_DEP_1)
	v_cmp_eq_u32_e64 s7, 0, v36
	v_cndmask_b32_e64 v36, v117, v116, s7
; %bb.1595:                             ;   in Loop: Header=BB12_1538 Depth=2
	s_or_b32 exec_lo, exec_lo, s15
	v_lshlrev_b32_e32 v116, 16, v31
	s_delay_alu instid0(VALU_DEP_1) | instskip(NEXT) | instid1(VALU_DEP_1)
	v_dual_max_num_f32 v116, v116, v116 :: v_dual_lshlrev_b32 v35, 16, v35
	v_max_num_f32_e32 v35, v35, v35
	s_delay_alu instid0(VALU_DEP_1) | instskip(NEXT) | instid1(VALU_DEP_1)
	v_dual_min_num_f32 v117, v35, v116 :: v_dual_max_num_f32 v35, v35, v116
	v_cndmask_b32_e32 v116, v35, v117, vcc_lo
	s_delay_alu instid0(VALU_DEP_1) | instskip(NEXT) | instid1(VALU_DEP_1)
	v_and_b32_e32 v35, 0x7f800000, v116
	v_cmp_ne_u32_e64 s7, 0x7f800000, v35
                                        ; implicit-def: $vgpr35
	s_and_saveexec_b32 s15, s7
	s_delay_alu instid0(SALU_CYCLE_1)
	s_xor_b32 s7, exec_lo, s15
; %bb.1596:                             ;   in Loop: Header=BB12_1538 Depth=2
	v_bfe_u32 v35, v116, 16, 1
	s_delay_alu instid0(VALU_DEP_1)
	v_add3_u32 v35, v116, v35, 0x7fff
                                        ; implicit-def: $vgpr116
; %bb.1597:                             ;   in Loop: Header=BB12_1538 Depth=2
	s_and_not1_saveexec_b32 s15, s7
; %bb.1598:                             ;   in Loop: Header=BB12_1538 Depth=2
	v_and_b32_e32 v35, 0xffff, v116
	v_or_b32_e32 v117, 0x10000, v116
	s_delay_alu instid0(VALU_DEP_2) | instskip(NEXT) | instid1(VALU_DEP_1)
	v_cmp_eq_u32_e64 s7, 0, v35
	v_cndmask_b32_e64 v35, v117, v116, s7
; %bb.1599:                             ;   in Loop: Header=BB12_1538 Depth=2
	s_or_b32 exec_lo, exec_lo, s15
	v_dual_lshlrev_b32 v116, 16, v32 :: v_dual_lshlrev_b32 v34, 16, v34
	s_delay_alu instid0(VALU_DEP_1) | instskip(NEXT) | instid1(VALU_DEP_1)
	v_dual_max_num_f32 v116, v116, v116 :: v_dual_max_num_f32 v34, v34, v34
	v_dual_min_num_f32 v117, v34, v116 :: v_dual_max_num_f32 v34, v34, v116
	s_delay_alu instid0(VALU_DEP_1) | instskip(NEXT) | instid1(VALU_DEP_1)
	v_cndmask_b32_e32 v116, v34, v117, vcc_lo
	v_and_b32_e32 v34, 0x7f800000, v116
	s_delay_alu instid0(VALU_DEP_1) | instskip(SKIP_1) | instid1(SALU_CYCLE_1)
	v_cmp_ne_u32_e64 s7, 0x7f800000, v34
                                        ; implicit-def: $vgpr34
	s_and_saveexec_b32 s15, s7
	s_xor_b32 s7, exec_lo, s15
; %bb.1600:                             ;   in Loop: Header=BB12_1538 Depth=2
	v_bfe_u32 v34, v116, 16, 1
	s_delay_alu instid0(VALU_DEP_1)
	v_add3_u32 v34, v116, v34, 0x7fff
                                        ; implicit-def: $vgpr116
; %bb.1601:                             ;   in Loop: Header=BB12_1538 Depth=2
	s_and_not1_saveexec_b32 s15, s7
; %bb.1602:                             ;   in Loop: Header=BB12_1538 Depth=2
	v_and_b32_e32 v34, 0xffff, v116
	v_or_b32_e32 v117, 0x10000, v116
	s_delay_alu instid0(VALU_DEP_2) | instskip(NEXT) | instid1(VALU_DEP_1)
	v_cmp_eq_u32_e64 s7, 0, v34
	v_cndmask_b32_e64 v34, v117, v116, s7
; %bb.1603:                             ;   in Loop: Header=BB12_1538 Depth=2
	s_or_b32 exec_lo, exec_lo, s15
	v_dual_lshrrev_b32 v84, 16, v84 :: v_dual_lshrrev_b32 v113, 16, v113
	v_dual_lshrrev_b32 v102, 16, v102 :: v_dual_lshrrev_b32 v99, 16, v99
	s_delay_alu instid0(VALU_DEP_3)
	v_dual_lshrrev_b32 v96, 16, v96 :: v_dual_lshrrev_b32 v34, 16, v34
	v_dual_lshrrev_b32 v35, 16, v35 :: v_dual_lshrrev_b32 v36, 16, v36
	;; [unrolled: 1-line block ×6, first 2 shown]
	s_clause 0xf
	flat_store_b16 v[10:11], v113 th:TH_STORE_NT
	flat_store_b16 v[10:11], v102 offset:64 th:TH_STORE_NT
	flat_store_b16 v[10:11], v99 offset:128 th:TH_STORE_NT
	;; [unrolled: 1-line block ×15, first 2 shown]
	s_wait_xcnt 0x0
	v_add_nc_u64_e32 v[10:11], v[10:11], v[92:93]
.LBB12_1604:                            ;   in Loop: Header=BB12_1538 Depth=2
	s_or_b32 exec_lo, exec_lo, s28
	v_sub_nc_u32_e32 v33, v33, v62
	v_add_nc_u64_e32 v[2:3], v[2:3], v[92:93]
	v_add_nc_u64_e32 v[12:13], v[12:13], v[92:93]
	s_delay_alu instid0(VALU_DEP_3)
	v_cmp_lt_i32_e64 s15, 0, v33
	s_and_saveexec_b32 s7, s15
	s_cbranch_execz .LBB12_1606
; %bb.1605:                             ;   in Loop: Header=BB12_1538 Depth=2
	s_clause 0xf
	flat_load_u16 v113, v[2:3] th:TH_LOAD_NT
	flat_load_u16 v102, v[2:3] offset:64 th:TH_LOAD_NT
	flat_load_u16 v99, v[2:3] offset:128 th:TH_LOAD_NT
	;; [unrolled: 1-line block ×15, first 2 shown]
	s_clause 0xf
	flat_load_u16 v17, v[12:13] th:TH_LOAD_NT
	flat_load_u16 v18, v[12:13] offset:64 th:TH_LOAD_NT
	flat_load_u16 v19, v[12:13] offset:128 th:TH_LOAD_NT
	;; [unrolled: 1-line block ×15, first 2 shown]
	s_wait_xcnt 0x10
	v_add_nc_u64_e32 v[2:3], 0x400, v[2:3]
	s_wait_xcnt 0x0
	v_add_nc_u64_e32 v[12:13], 0x400, v[12:13]
.LBB12_1606:                            ;   in Loop: Header=BB12_1538 Depth=2
	s_or_b32 exec_lo, exec_lo, s7
	s_wait_loadcnt_dscnt 0xf0f
	v_dual_lshlrev_b32 v116, 16, v120 :: v_dual_lshlrev_b32 v117, 16, v89
                                        ; implicit-def: $vgpr119
	s_delay_alu instid0(VALU_DEP_1) | instskip(NEXT) | instid1(VALU_DEP_1)
	v_dual_max_num_f32 v116, v116, v116 :: v_dual_max_num_f32 v117, v117, v117
	v_dual_min_num_f32 v118, v117, v116 :: v_dual_max_num_f32 v116, v117, v116
	s_delay_alu instid0(VALU_DEP_1) | instskip(NEXT) | instid1(VALU_DEP_1)
	v_cndmask_b32_e32 v116, v116, v118, vcc_lo
	v_and_b32_e32 v117, 0x7f800000, v116
	s_delay_alu instid0(VALU_DEP_1) | instskip(SKIP_1) | instid1(SALU_CYCLE_1)
	v_cmp_ne_u32_e64 s7, 0x7f800000, v117
	s_and_saveexec_b32 s28, s7
	s_xor_b32 s7, exec_lo, s28
; %bb.1607:                             ;   in Loop: Header=BB12_1538 Depth=2
	v_bfe_u32 v117, v116, 16, 1
	s_delay_alu instid0(VALU_DEP_1)
	v_add3_u32 v119, v116, v117, 0x7fff
                                        ; implicit-def: $vgpr116
; %bb.1608:                             ;   in Loop: Header=BB12_1538 Depth=2
	s_and_not1_saveexec_b32 s28, s7
; %bb.1609:                             ;   in Loop: Header=BB12_1538 Depth=2
	v_and_b32_e32 v117, 0xffff, v116
	v_or_b32_e32 v118, 0x10000, v116
	s_delay_alu instid0(VALU_DEP_2) | instskip(NEXT) | instid1(VALU_DEP_1)
	v_cmp_eq_u32_e64 s7, 0, v117
	v_cndmask_b32_e64 v119, v118, v116, s7
; %bb.1610:                             ;   in Loop: Header=BB12_1538 Depth=2
	s_or_b32 exec_lo, exec_lo, s28
	s_wait_loadcnt_dscnt 0xe0e
	v_dual_lshlrev_b32 v116, 16, v43 :: v_dual_lshlrev_b32 v117, 16, v42
                                        ; implicit-def: $vgpr42
	s_delay_alu instid0(VALU_DEP_1) | instskip(NEXT) | instid1(VALU_DEP_1)
	v_dual_max_num_f32 v116, v116, v116 :: v_dual_max_num_f32 v117, v117, v117
	v_dual_min_num_f32 v118, v117, v116 :: v_dual_max_num_f32 v116, v117, v116
	s_delay_alu instid0(VALU_DEP_1) | instskip(NEXT) | instid1(VALU_DEP_1)
	v_cndmask_b32_e32 v116, v116, v118, vcc_lo
	v_and_b32_e32 v117, 0x7f800000, v116
	s_delay_alu instid0(VALU_DEP_1) | instskip(SKIP_1) | instid1(SALU_CYCLE_1)
	v_cmp_ne_u32_e64 s7, 0x7f800000, v117
	s_and_saveexec_b32 s28, s7
	s_xor_b32 s7, exec_lo, s28
; %bb.1611:                             ;   in Loop: Header=BB12_1538 Depth=2
	v_bfe_u32 v117, v116, 16, 1
	s_delay_alu instid0(VALU_DEP_1)
	v_add3_u32 v42, v116, v117, 0x7fff
                                        ; implicit-def: $vgpr116
; %bb.1612:                             ;   in Loop: Header=BB12_1538 Depth=2
	s_and_not1_saveexec_b32 s28, s7
; %bb.1613:                             ;   in Loop: Header=BB12_1538 Depth=2
	v_and_b32_e32 v117, 0xffff, v116
	v_or_b32_e32 v118, 0x10000, v116
	s_delay_alu instid0(VALU_DEP_2) | instskip(NEXT) | instid1(VALU_DEP_1)
	v_cmp_eq_u32_e64 s7, 0, v117
	v_cndmask_b32_e64 v42, v118, v116, s7
; %bb.1614:                             ;   in Loop: Header=BB12_1538 Depth=2
	s_or_b32 exec_lo, exec_lo, s28
	s_wait_loadcnt_dscnt 0xd0d
	v_dual_lshlrev_b32 v115, 16, v115 :: v_dual_lshlrev_b32 v114, 16, v114
	s_delay_alu instid0(VALU_DEP_1) | instskip(NEXT) | instid1(VALU_DEP_1)
	v_dual_max_num_f32 v115, v115, v115 :: v_dual_max_num_f32 v114, v114, v114
	v_dual_min_num_f32 v116, v114, v115 :: v_dual_max_num_f32 v114, v114, v115
	s_delay_alu instid0(VALU_DEP_1) | instskip(NEXT) | instid1(VALU_DEP_1)
	v_cndmask_b32_e32 v115, v114, v116, vcc_lo
	v_and_b32_e32 v114, 0x7f800000, v115
	s_delay_alu instid0(VALU_DEP_1) | instskip(SKIP_1) | instid1(SALU_CYCLE_1)
	v_cmp_ne_u32_e64 s7, 0x7f800000, v114
                                        ; implicit-def: $vgpr114
	s_and_saveexec_b32 s28, s7
	s_xor_b32 s7, exec_lo, s28
; %bb.1615:                             ;   in Loop: Header=BB12_1538 Depth=2
	v_bfe_u32 v114, v115, 16, 1
	s_delay_alu instid0(VALU_DEP_1)
	v_add3_u32 v114, v115, v114, 0x7fff
                                        ; implicit-def: $vgpr115
; %bb.1616:                             ;   in Loop: Header=BB12_1538 Depth=2
	s_and_not1_saveexec_b32 s28, s7
; %bb.1617:                             ;   in Loop: Header=BB12_1538 Depth=2
	v_and_b32_e32 v114, 0xffff, v115
	v_or_b32_e32 v116, 0x10000, v115
	s_delay_alu instid0(VALU_DEP_2) | instskip(NEXT) | instid1(VALU_DEP_1)
	v_cmp_eq_u32_e64 s7, 0, v114
	v_cndmask_b32_e64 v114, v116, v115, s7
; %bb.1618:                             ;   in Loop: Header=BB12_1538 Depth=2
	s_or_b32 exec_lo, exec_lo, s28
	s_wait_loadcnt_dscnt 0xc0c
	v_dual_lshlrev_b32 v1, 16, v1 :: v_dual_lshlrev_b32 v0, 16, v0
	s_delay_alu instid0(VALU_DEP_1) | instskip(NEXT) | instid1(VALU_DEP_1)
	v_dual_max_num_f32 v1, v1, v1 :: v_dual_max_num_f32 v0, v0, v0
	v_dual_min_num_f32 v115, v0, v1 :: v_dual_max_num_f32 v0, v0, v1
	s_delay_alu instid0(VALU_DEP_1) | instskip(NEXT) | instid1(VALU_DEP_1)
	v_cndmask_b32_e32 v1, v0, v115, vcc_lo
	v_and_b32_e32 v0, 0x7f800000, v1
	s_delay_alu instid0(VALU_DEP_1) | instskip(SKIP_1) | instid1(SALU_CYCLE_1)
	v_cmp_ne_u32_e64 s7, 0x7f800000, v0
                                        ; implicit-def: $vgpr0
	s_and_saveexec_b32 s28, s7
	s_xor_b32 s7, exec_lo, s28
; %bb.1619:                             ;   in Loop: Header=BB12_1538 Depth=2
	v_bfe_u32 v0, v1, 16, 1
	s_delay_alu instid0(VALU_DEP_1)
	v_add3_u32 v0, v1, v0, 0x7fff
                                        ; implicit-def: $vgpr1
; %bb.1620:                             ;   in Loop: Header=BB12_1538 Depth=2
	s_and_not1_saveexec_b32 s28, s7
; %bb.1621:                             ;   in Loop: Header=BB12_1538 Depth=2
	v_and_b32_e32 v0, 0xffff, v1
	v_or_b32_e32 v115, 0x10000, v1
	s_delay_alu instid0(VALU_DEP_2) | instskip(NEXT) | instid1(VALU_DEP_1)
	v_cmp_eq_u32_e64 s7, 0, v0
	v_cndmask_b32_e64 v0, v115, v1, s7
; %bb.1622:                             ;   in Loop: Header=BB12_1538 Depth=2
	s_or_b32 exec_lo, exec_lo, s28
	s_wait_loadcnt_dscnt 0xb0b
	v_dual_lshlrev_b32 v1, 16, v112 :: v_dual_lshlrev_b32 v103, 16, v103
	s_delay_alu instid0(VALU_DEP_1) | instskip(NEXT) | instid1(VALU_DEP_1)
	v_dual_max_num_f32 v1, v1, v1 :: v_dual_max_num_f32 v103, v103, v103
	v_dual_min_num_f32 v112, v103, v1 :: v_dual_max_num_f32 v1, v103, v1
	s_delay_alu instid0(VALU_DEP_1) | instskip(NEXT) | instid1(VALU_DEP_1)
	v_cndmask_b32_e32 v103, v1, v112, vcc_lo
	v_and_b32_e32 v1, 0x7f800000, v103
	s_delay_alu instid0(VALU_DEP_1) | instskip(SKIP_1) | instid1(SALU_CYCLE_1)
	v_cmp_ne_u32_e64 s7, 0x7f800000, v1
                                        ; implicit-def: $vgpr1
	s_and_saveexec_b32 s28, s7
	s_xor_b32 s7, exec_lo, s28
; %bb.1623:                             ;   in Loop: Header=BB12_1538 Depth=2
	v_bfe_u32 v1, v103, 16, 1
	s_delay_alu instid0(VALU_DEP_1)
	v_add3_u32 v1, v103, v1, 0x7fff
                                        ; implicit-def: $vgpr103
; %bb.1624:                             ;   in Loop: Header=BB12_1538 Depth=2
	s_and_not1_saveexec_b32 s28, s7
; %bb.1625:                             ;   in Loop: Header=BB12_1538 Depth=2
	v_and_b32_e32 v1, 0xffff, v103
	v_or_b32_e32 v112, 0x10000, v103
	s_delay_alu instid0(VALU_DEP_2) | instskip(NEXT) | instid1(VALU_DEP_1)
	v_cmp_eq_u32_e64 s7, 0, v1
	v_cndmask_b32_e64 v1, v112, v103, s7
; %bb.1626:                             ;   in Loop: Header=BB12_1538 Depth=2
	s_or_b32 exec_lo, exec_lo, s28
	s_wait_loadcnt_dscnt 0xa0a
	v_dual_lshlrev_b32 v101, 16, v101 :: v_dual_lshlrev_b32 v100, 16, v100
	s_delay_alu instid0(VALU_DEP_1) | instskip(NEXT) | instid1(VALU_DEP_1)
	v_dual_max_num_f32 v101, v101, v101 :: v_dual_max_num_f32 v100, v100, v100
	v_dual_min_num_f32 v103, v100, v101 :: v_dual_max_num_f32 v100, v100, v101
	s_delay_alu instid0(VALU_DEP_1) | instskip(NEXT) | instid1(VALU_DEP_1)
	v_cndmask_b32_e32 v101, v100, v103, vcc_lo
	v_and_b32_e32 v100, 0x7f800000, v101
	s_delay_alu instid0(VALU_DEP_1) | instskip(SKIP_1) | instid1(SALU_CYCLE_1)
	v_cmp_ne_u32_e64 s7, 0x7f800000, v100
                                        ; implicit-def: $vgpr100
	s_and_saveexec_b32 s28, s7
	s_xor_b32 s7, exec_lo, s28
; %bb.1627:                             ;   in Loop: Header=BB12_1538 Depth=2
	v_bfe_u32 v100, v101, 16, 1
	s_delay_alu instid0(VALU_DEP_1)
	v_add3_u32 v100, v101, v100, 0x7fff
                                        ; implicit-def: $vgpr101
; %bb.1628:                             ;   in Loop: Header=BB12_1538 Depth=2
	s_and_not1_saveexec_b32 s28, s7
; %bb.1629:                             ;   in Loop: Header=BB12_1538 Depth=2
	v_and_b32_e32 v100, 0xffff, v101
	v_or_b32_e32 v103, 0x10000, v101
	s_delay_alu instid0(VALU_DEP_2) | instskip(NEXT) | instid1(VALU_DEP_1)
	v_cmp_eq_u32_e64 s7, 0, v100
	v_cndmask_b32_e64 v100, v103, v101, s7
; %bb.1630:                             ;   in Loop: Header=BB12_1538 Depth=2
	s_or_b32 exec_lo, exec_lo, s28
	s_wait_loadcnt_dscnt 0x909
	v_dual_lshlrev_b32 v98, 16, v98 :: v_dual_lshlrev_b32 v97, 16, v97
	s_delay_alu instid0(VALU_DEP_1) | instskip(NEXT) | instid1(VALU_DEP_1)
	v_dual_max_num_f32 v98, v98, v98 :: v_dual_max_num_f32 v97, v97, v97
	v_dual_min_num_f32 v101, v97, v98 :: v_dual_max_num_f32 v97, v97, v98
	s_delay_alu instid0(VALU_DEP_1) | instskip(NEXT) | instid1(VALU_DEP_1)
	v_cndmask_b32_e32 v98, v97, v101, vcc_lo
	v_and_b32_e32 v97, 0x7f800000, v98
	s_delay_alu instid0(VALU_DEP_1) | instskip(SKIP_1) | instid1(SALU_CYCLE_1)
	v_cmp_ne_u32_e64 s7, 0x7f800000, v97
                                        ; implicit-def: $vgpr97
	s_and_saveexec_b32 s28, s7
	s_xor_b32 s7, exec_lo, s28
; %bb.1631:                             ;   in Loop: Header=BB12_1538 Depth=2
	v_bfe_u32 v97, v98, 16, 1
	s_delay_alu instid0(VALU_DEP_1)
	v_add3_u32 v97, v98, v97, 0x7fff
                                        ; implicit-def: $vgpr98
; %bb.1632:                             ;   in Loop: Header=BB12_1538 Depth=2
	s_and_not1_saveexec_b32 s28, s7
; %bb.1633:                             ;   in Loop: Header=BB12_1538 Depth=2
	v_and_b32_e32 v97, 0xffff, v98
	v_or_b32_e32 v101, 0x10000, v98
	s_delay_alu instid0(VALU_DEP_2) | instskip(NEXT) | instid1(VALU_DEP_1)
	v_cmp_eq_u32_e64 s7, 0, v97
	v_cndmask_b32_e64 v97, v101, v98, s7
; %bb.1634:                             ;   in Loop: Header=BB12_1538 Depth=2
	s_or_b32 exec_lo, exec_lo, s28
	s_wait_loadcnt_dscnt 0x808
	v_dual_lshlrev_b32 v87, 16, v87 :: v_dual_lshlrev_b32 v86, 16, v86
	s_delay_alu instid0(VALU_DEP_1) | instskip(NEXT) | instid1(VALU_DEP_1)
	v_dual_max_num_f32 v87, v87, v87 :: v_dual_max_num_f32 v86, v86, v86
	v_dual_min_num_f32 v98, v86, v87 :: v_dual_max_num_f32 v86, v86, v87
	s_delay_alu instid0(VALU_DEP_1) | instskip(NEXT) | instid1(VALU_DEP_1)
	v_cndmask_b32_e32 v87, v86, v98, vcc_lo
	v_and_b32_e32 v86, 0x7f800000, v87
	s_delay_alu instid0(VALU_DEP_1) | instskip(SKIP_1) | instid1(SALU_CYCLE_1)
	v_cmp_ne_u32_e64 s7, 0x7f800000, v86
                                        ; implicit-def: $vgpr86
	s_and_saveexec_b32 s28, s7
	s_xor_b32 s7, exec_lo, s28
; %bb.1635:                             ;   in Loop: Header=BB12_1538 Depth=2
	v_bfe_u32 v86, v87, 16, 1
	s_delay_alu instid0(VALU_DEP_1)
	v_add3_u32 v86, v87, v86, 0x7fff
                                        ; implicit-def: $vgpr87
; %bb.1636:                             ;   in Loop: Header=BB12_1538 Depth=2
	s_and_not1_saveexec_b32 s28, s7
; %bb.1637:                             ;   in Loop: Header=BB12_1538 Depth=2
	v_and_b32_e32 v86, 0xffff, v87
	v_or_b32_e32 v98, 0x10000, v87
	s_delay_alu instid0(VALU_DEP_2) | instskip(NEXT) | instid1(VALU_DEP_1)
	v_cmp_eq_u32_e64 s7, 0, v86
	v_cndmask_b32_e64 v86, v98, v87, s7
; %bb.1638:                             ;   in Loop: Header=BB12_1538 Depth=2
	s_or_b32 exec_lo, exec_lo, s28
	s_wait_loadcnt_dscnt 0x707
	v_dual_lshlrev_b32 v85, 16, v85 :: v_dual_lshlrev_b32 v83, 16, v83
	s_delay_alu instid0(VALU_DEP_1) | instskip(NEXT) | instid1(VALU_DEP_1)
	v_dual_max_num_f32 v85, v85, v85 :: v_dual_max_num_f32 v83, v83, v83
	v_dual_min_num_f32 v87, v83, v85 :: v_dual_max_num_f32 v83, v83, v85
	s_delay_alu instid0(VALU_DEP_1) | instskip(NEXT) | instid1(VALU_DEP_1)
	v_cndmask_b32_e32 v85, v83, v87, vcc_lo
	v_and_b32_e32 v83, 0x7f800000, v85
	s_delay_alu instid0(VALU_DEP_1) | instskip(SKIP_1) | instid1(SALU_CYCLE_1)
	v_cmp_ne_u32_e64 s7, 0x7f800000, v83
                                        ; implicit-def: $vgpr83
	s_and_saveexec_b32 s28, s7
	s_xor_b32 s7, exec_lo, s28
; %bb.1639:                             ;   in Loop: Header=BB12_1538 Depth=2
	v_bfe_u32 v83, v85, 16, 1
	s_delay_alu instid0(VALU_DEP_1)
	v_add3_u32 v83, v85, v83, 0x7fff
                                        ; implicit-def: $vgpr85
; %bb.1640:                             ;   in Loop: Header=BB12_1538 Depth=2
	s_and_not1_saveexec_b32 s28, s7
; %bb.1641:                             ;   in Loop: Header=BB12_1538 Depth=2
	v_and_b32_e32 v83, 0xffff, v85
	v_or_b32_e32 v87, 0x10000, v85
	s_delay_alu instid0(VALU_DEP_2) | instskip(NEXT) | instid1(VALU_DEP_1)
	v_cmp_eq_u32_e64 s7, 0, v83
	v_cndmask_b32_e64 v83, v87, v85, s7
; %bb.1642:                             ;   in Loop: Header=BB12_1538 Depth=2
	s_or_b32 exec_lo, exec_lo, s28
	s_wait_loadcnt_dscnt 0x606
	v_dual_lshlrev_b32 v82, 16, v82 :: v_dual_lshlrev_b32 v80, 16, v80
	s_delay_alu instid0(VALU_DEP_1) | instskip(NEXT) | instid1(VALU_DEP_1)
	v_dual_max_num_f32 v82, v82, v82 :: v_dual_max_num_f32 v80, v80, v80
	v_dual_min_num_f32 v85, v80, v82 :: v_dual_max_num_f32 v80, v80, v82
	s_delay_alu instid0(VALU_DEP_1) | instskip(NEXT) | instid1(VALU_DEP_1)
	v_cndmask_b32_e32 v82, v80, v85, vcc_lo
	v_and_b32_e32 v80, 0x7f800000, v82
	s_delay_alu instid0(VALU_DEP_1) | instskip(SKIP_1) | instid1(SALU_CYCLE_1)
	v_cmp_ne_u32_e64 s7, 0x7f800000, v80
                                        ; implicit-def: $vgpr80
	s_and_saveexec_b32 s28, s7
	s_xor_b32 s7, exec_lo, s28
; %bb.1643:                             ;   in Loop: Header=BB12_1538 Depth=2
	v_bfe_u32 v80, v82, 16, 1
	s_delay_alu instid0(VALU_DEP_1)
	v_add3_u32 v80, v82, v80, 0x7fff
                                        ; implicit-def: $vgpr82
; %bb.1644:                             ;   in Loop: Header=BB12_1538 Depth=2
	s_and_not1_saveexec_b32 s28, s7
; %bb.1645:                             ;   in Loop: Header=BB12_1538 Depth=2
	v_and_b32_e32 v80, 0xffff, v82
	v_or_b32_e32 v85, 0x10000, v82
	s_delay_alu instid0(VALU_DEP_2) | instskip(NEXT) | instid1(VALU_DEP_1)
	v_cmp_eq_u32_e64 s7, 0, v80
	v_cndmask_b32_e64 v80, v85, v82, s7
; %bb.1646:                             ;   in Loop: Header=BB12_1538 Depth=2
	s_or_b32 exec_lo, exec_lo, s28
	s_wait_loadcnt_dscnt 0x505
	v_dual_lshlrev_b32 v71, 16, v71 :: v_dual_lshlrev_b32 v69, 16, v69
	s_delay_alu instid0(VALU_DEP_1) | instskip(NEXT) | instid1(VALU_DEP_1)
	v_dual_max_num_f32 v71, v71, v71 :: v_dual_max_num_f32 v69, v69, v69
	v_dual_min_num_f32 v82, v69, v71 :: v_dual_max_num_f32 v69, v69, v71
	s_delay_alu instid0(VALU_DEP_1) | instskip(NEXT) | instid1(VALU_DEP_1)
	v_cndmask_b32_e32 v71, v69, v82, vcc_lo
	v_and_b32_e32 v69, 0x7f800000, v71
	s_delay_alu instid0(VALU_DEP_1) | instskip(SKIP_1) | instid1(SALU_CYCLE_1)
	v_cmp_ne_u32_e64 s7, 0x7f800000, v69
                                        ; implicit-def: $vgpr69
	s_and_saveexec_b32 s28, s7
	s_xor_b32 s7, exec_lo, s28
; %bb.1647:                             ;   in Loop: Header=BB12_1538 Depth=2
	v_bfe_u32 v69, v71, 16, 1
	s_delay_alu instid0(VALU_DEP_1)
	v_add3_u32 v69, v71, v69, 0x7fff
                                        ; implicit-def: $vgpr71
; %bb.1648:                             ;   in Loop: Header=BB12_1538 Depth=2
	s_and_not1_saveexec_b32 s28, s7
; %bb.1649:                             ;   in Loop: Header=BB12_1538 Depth=2
	v_and_b32_e32 v69, 0xffff, v71
	v_or_b32_e32 v82, 0x10000, v71
	s_delay_alu instid0(VALU_DEP_2) | instskip(NEXT) | instid1(VALU_DEP_1)
	v_cmp_eq_u32_e64 s7, 0, v69
	v_cndmask_b32_e64 v69, v82, v71, s7
; %bb.1650:                             ;   in Loop: Header=BB12_1538 Depth=2
	s_or_b32 exec_lo, exec_lo, s28
	s_wait_loadcnt_dscnt 0x404
	v_dual_lshlrev_b32 v68, 16, v68 :: v_dual_lshlrev_b32 v67, 16, v67
	s_delay_alu instid0(VALU_DEP_1) | instskip(NEXT) | instid1(VALU_DEP_1)
	v_dual_max_num_f32 v68, v68, v68 :: v_dual_max_num_f32 v67, v67, v67
	v_dual_min_num_f32 v71, v67, v68 :: v_dual_max_num_f32 v67, v67, v68
	s_delay_alu instid0(VALU_DEP_1) | instskip(NEXT) | instid1(VALU_DEP_1)
	v_cndmask_b32_e32 v68, v67, v71, vcc_lo
	v_and_b32_e32 v67, 0x7f800000, v68
	s_delay_alu instid0(VALU_DEP_1) | instskip(SKIP_1) | instid1(SALU_CYCLE_1)
	v_cmp_ne_u32_e64 s7, 0x7f800000, v67
                                        ; implicit-def: $vgpr67
	s_and_saveexec_b32 s28, s7
	s_xor_b32 s7, exec_lo, s28
; %bb.1651:                             ;   in Loop: Header=BB12_1538 Depth=2
	v_bfe_u32 v67, v68, 16, 1
	s_delay_alu instid0(VALU_DEP_1)
	v_add3_u32 v67, v68, v67, 0x7fff
                                        ; implicit-def: $vgpr68
; %bb.1652:                             ;   in Loop: Header=BB12_1538 Depth=2
	s_and_not1_saveexec_b32 s28, s7
; %bb.1653:                             ;   in Loop: Header=BB12_1538 Depth=2
	v_and_b32_e32 v67, 0xffff, v68
	v_or_b32_e32 v71, 0x10000, v68
	s_delay_alu instid0(VALU_DEP_2) | instskip(NEXT) | instid1(VALU_DEP_1)
	v_cmp_eq_u32_e64 s7, 0, v67
	v_cndmask_b32_e64 v67, v71, v68, s7
; %bb.1654:                             ;   in Loop: Header=BB12_1538 Depth=2
	s_or_b32 exec_lo, exec_lo, s28
	s_wait_loadcnt_dscnt 0x303
	v_dual_lshlrev_b32 v65, 16, v65 :: v_dual_lshlrev_b32 v64, 16, v64
	s_delay_alu instid0(VALU_DEP_1) | instskip(NEXT) | instid1(VALU_DEP_1)
	v_dual_max_num_f32 v65, v65, v65 :: v_dual_max_num_f32 v64, v64, v64
	v_dual_min_num_f32 v68, v64, v65 :: v_dual_max_num_f32 v64, v64, v65
	s_delay_alu instid0(VALU_DEP_1) | instskip(NEXT) | instid1(VALU_DEP_1)
	v_cndmask_b32_e32 v65, v64, v68, vcc_lo
	v_and_b32_e32 v64, 0x7f800000, v65
	s_delay_alu instid0(VALU_DEP_1) | instskip(SKIP_1) | instid1(SALU_CYCLE_1)
	v_cmp_ne_u32_e64 s7, 0x7f800000, v64
                                        ; implicit-def: $vgpr64
	s_and_saveexec_b32 s28, s7
	s_xor_b32 s7, exec_lo, s28
; %bb.1655:                             ;   in Loop: Header=BB12_1538 Depth=2
	v_bfe_u32 v64, v65, 16, 1
	s_delay_alu instid0(VALU_DEP_1)
	v_add3_u32 v64, v65, v64, 0x7fff
                                        ; implicit-def: $vgpr65
; %bb.1656:                             ;   in Loop: Header=BB12_1538 Depth=2
	s_and_not1_saveexec_b32 s28, s7
; %bb.1657:                             ;   in Loop: Header=BB12_1538 Depth=2
	v_and_b32_e32 v64, 0xffff, v65
	v_or_b32_e32 v68, 0x10000, v65
	s_delay_alu instid0(VALU_DEP_2) | instskip(NEXT) | instid1(VALU_DEP_1)
	v_cmp_eq_u32_e64 s7, 0, v64
	v_cndmask_b32_e64 v64, v68, v65, s7
; %bb.1658:                             ;   in Loop: Header=BB12_1538 Depth=2
	s_or_b32 exec_lo, exec_lo, s28
	s_wait_loadcnt_dscnt 0x202
	v_dual_lshlrev_b32 v54, 16, v54 :: v_dual_lshlrev_b32 v53, 16, v53
	s_delay_alu instid0(VALU_DEP_1) | instskip(NEXT) | instid1(VALU_DEP_1)
	v_dual_max_num_f32 v54, v54, v54 :: v_dual_max_num_f32 v53, v53, v53
	v_dual_min_num_f32 v65, v53, v54 :: v_dual_max_num_f32 v53, v53, v54
	s_delay_alu instid0(VALU_DEP_1) | instskip(NEXT) | instid1(VALU_DEP_1)
	v_cndmask_b32_e32 v54, v53, v65, vcc_lo
	v_and_b32_e32 v53, 0x7f800000, v54
	s_delay_alu instid0(VALU_DEP_1) | instskip(SKIP_1) | instid1(SALU_CYCLE_1)
	v_cmp_ne_u32_e64 s7, 0x7f800000, v53
                                        ; implicit-def: $vgpr53
	s_and_saveexec_b32 s28, s7
	s_xor_b32 s7, exec_lo, s28
; %bb.1659:                             ;   in Loop: Header=BB12_1538 Depth=2
	v_bfe_u32 v53, v54, 16, 1
	s_delay_alu instid0(VALU_DEP_1)
	v_add3_u32 v53, v54, v53, 0x7fff
                                        ; implicit-def: $vgpr54
; %bb.1660:                             ;   in Loop: Header=BB12_1538 Depth=2
	s_and_not1_saveexec_b32 s28, s7
; %bb.1661:                             ;   in Loop: Header=BB12_1538 Depth=2
	v_and_b32_e32 v53, 0xffff, v54
	v_or_b32_e32 v65, 0x10000, v54
	s_delay_alu instid0(VALU_DEP_2) | instskip(NEXT) | instid1(VALU_DEP_1)
	v_cmp_eq_u32_e64 s7, 0, v53
	v_cndmask_b32_e64 v53, v65, v54, s7
; %bb.1662:                             ;   in Loop: Header=BB12_1538 Depth=2
	s_or_b32 exec_lo, exec_lo, s28
	s_wait_loadcnt_dscnt 0x101
	v_dual_lshlrev_b32 v51, 16, v51 :: v_dual_lshlrev_b32 v50, 16, v50
	s_delay_alu instid0(VALU_DEP_1) | instskip(NEXT) | instid1(VALU_DEP_1)
	v_dual_max_num_f32 v51, v51, v51 :: v_dual_max_num_f32 v50, v50, v50
	v_dual_min_num_f32 v54, v50, v51 :: v_dual_max_num_f32 v50, v50, v51
	s_delay_alu instid0(VALU_DEP_1) | instskip(NEXT) | instid1(VALU_DEP_1)
	v_cndmask_b32_e32 v51, v50, v54, vcc_lo
	v_and_b32_e32 v50, 0x7f800000, v51
	s_delay_alu instid0(VALU_DEP_1) | instskip(SKIP_1) | instid1(SALU_CYCLE_1)
	v_cmp_ne_u32_e64 s7, 0x7f800000, v50
                                        ; implicit-def: $vgpr50
	s_and_saveexec_b32 s28, s7
	s_xor_b32 s7, exec_lo, s28
; %bb.1663:                             ;   in Loop: Header=BB12_1538 Depth=2
	v_bfe_u32 v50, v51, 16, 1
	s_delay_alu instid0(VALU_DEP_1)
	v_add3_u32 v50, v51, v50, 0x7fff
                                        ; implicit-def: $vgpr51
; %bb.1664:                             ;   in Loop: Header=BB12_1538 Depth=2
	s_and_not1_saveexec_b32 s28, s7
; %bb.1665:                             ;   in Loop: Header=BB12_1538 Depth=2
	v_and_b32_e32 v50, 0xffff, v51
	v_or_b32_e32 v54, 0x10000, v51
	s_delay_alu instid0(VALU_DEP_2) | instskip(NEXT) | instid1(VALU_DEP_1)
	v_cmp_eq_u32_e64 s7, 0, v50
	v_cndmask_b32_e64 v50, v54, v51, s7
; %bb.1666:                             ;   in Loop: Header=BB12_1538 Depth=2
	s_or_b32 exec_lo, exec_lo, s28
	s_wait_loadcnt_dscnt 0x0
	v_dual_lshlrev_b32 v48, 16, v48 :: v_dual_lshlrev_b32 v39, 16, v39
	s_delay_alu instid0(VALU_DEP_1) | instskip(NEXT) | instid1(VALU_DEP_1)
	v_dual_max_num_f32 v48, v48, v48 :: v_dual_max_num_f32 v39, v39, v39
	v_dual_min_num_f32 v51, v39, v48 :: v_dual_max_num_f32 v39, v39, v48
	s_delay_alu instid0(VALU_DEP_1) | instskip(NEXT) | instid1(VALU_DEP_1)
	v_cndmask_b32_e32 v48, v39, v51, vcc_lo
	v_and_b32_e32 v39, 0x7f800000, v48
	s_delay_alu instid0(VALU_DEP_1) | instskip(SKIP_1) | instid1(SALU_CYCLE_1)
	v_cmp_ne_u32_e64 s7, 0x7f800000, v39
                                        ; implicit-def: $vgpr39
	s_and_saveexec_b32 s28, s7
	s_xor_b32 s7, exec_lo, s28
; %bb.1667:                             ;   in Loop: Header=BB12_1538 Depth=2
	v_bfe_u32 v39, v48, 16, 1
	s_delay_alu instid0(VALU_DEP_1)
	v_add3_u32 v39, v48, v39, 0x7fff
                                        ; implicit-def: $vgpr48
; %bb.1668:                             ;   in Loop: Header=BB12_1538 Depth=2
	s_and_not1_saveexec_b32 s28, s7
	s_cbranch_execz .LBB12_1537
; %bb.1669:                             ;   in Loop: Header=BB12_1538 Depth=2
	v_and_b32_e32 v39, 0xffff, v48
	v_or_b32_e32 v51, 0x10000, v48
	s_delay_alu instid0(VALU_DEP_2) | instskip(NEXT) | instid1(VALU_DEP_1)
	v_cmp_eq_u32_e64 s7, 0, v39
	v_cndmask_b32_e64 v39, v51, v48, s7
	s_branch .LBB12_1537
.LBB12_1670:                            ;   in Loop: Header=BB12_950 Depth=1
	s_or_b32 exec_lo, exec_lo, s12
	v_dual_lshlrev_b32 v97, 16, v113 :: v_dual_lshlrev_b32 v86, 16, v102
	v_dual_lshlrev_b32 v98, 16, v17 :: v_dual_lshlrev_b32 v87, 16, v18
	;; [unrolled: 1-line block ×16, first 2 shown]
	s_and_b32 s7, s11, exec_lo
.LBB12_1671:                            ;   in Loop: Header=BB12_950 Depth=1
	s_or_b32 exec_lo, exec_lo, s10
	s_and_saveexec_b32 s10, s7
	s_cbranch_execz .LBB12_1737
; %bb.1672:                             ;   in Loop: Header=BB12_950 Depth=1
	v_dual_max_num_f32 v12, v98, v98 :: v_dual_max_num_f32 v13, v97, v97
	s_and_b32 s7, s13, 0xff
	s_delay_alu instid0(SALU_CYCLE_1) | instskip(NEXT) | instid1(VALU_DEP_1)
	s_cmp_eq_u32 s7, 0
	v_dual_min_num_f32 v23, v13, v12 :: v_dual_max_num_f32 v12, v13, v12
	s_cselect_b32 vcc_lo, -1, 0
	s_delay_alu instid0(VALU_DEP_1) | instskip(NEXT) | instid1(VALU_DEP_1)
	v_cndmask_b32_e32 v13, v12, v23, vcc_lo
	v_and_b32_e32 v12, 0x7f800000, v13
	s_delay_alu instid0(VALU_DEP_1) | instskip(SKIP_1) | instid1(SALU_CYCLE_1)
	v_cmp_ne_u32_e64 s7, 0x7f800000, v12
                                        ; implicit-def: $vgpr12
	s_and_saveexec_b32 s11, s7
	s_xor_b32 s7, exec_lo, s11
; %bb.1673:                             ;   in Loop: Header=BB12_950 Depth=1
	v_bfe_u32 v12, v13, 16, 1
	s_delay_alu instid0(VALU_DEP_1)
	v_add3_u32 v12, v13, v12, 0x7fff
                                        ; implicit-def: $vgpr13
; %bb.1674:                             ;   in Loop: Header=BB12_950 Depth=1
	s_and_not1_saveexec_b32 s11, s7
; %bb.1675:                             ;   in Loop: Header=BB12_950 Depth=1
	v_and_b32_e32 v12, 0xffff, v13
	v_or_b32_e32 v23, 0x10000, v13
	s_delay_alu instid0(VALU_DEP_2) | instskip(NEXT) | instid1(VALU_DEP_1)
	v_cmp_eq_u32_e64 s7, 0, v12
	v_cndmask_b32_e64 v12, v23, v13, s7
; %bb.1676:                             ;   in Loop: Header=BB12_950 Depth=1
	s_or_b32 exec_lo, exec_lo, s11
	v_dual_max_num_f32 v13, v87, v87 :: v_dual_max_num_f32 v23, v86, v86
	s_delay_alu instid0(VALU_DEP_1) | instskip(NEXT) | instid1(VALU_DEP_1)
	v_dual_min_num_f32 v26, v23, v13 :: v_dual_max_num_f32 v13, v23, v13
	v_cndmask_b32_e32 v23, v13, v26, vcc_lo
	s_delay_alu instid0(VALU_DEP_1) | instskip(NEXT) | instid1(VALU_DEP_1)
	v_and_b32_e32 v13, 0x7f800000, v23
	v_cmp_ne_u32_e64 s7, 0x7f800000, v13
                                        ; implicit-def: $vgpr13
	s_and_saveexec_b32 s11, s7
	s_delay_alu instid0(SALU_CYCLE_1)
	s_xor_b32 s7, exec_lo, s11
; %bb.1677:                             ;   in Loop: Header=BB12_950 Depth=1
	v_bfe_u32 v13, v23, 16, 1
	s_delay_alu instid0(VALU_DEP_1)
	v_add3_u32 v13, v23, v13, 0x7fff
                                        ; implicit-def: $vgpr23
; %bb.1678:                             ;   in Loop: Header=BB12_950 Depth=1
	s_and_not1_saveexec_b32 s11, s7
; %bb.1679:                             ;   in Loop: Header=BB12_950 Depth=1
	v_and_b32_e32 v13, 0xffff, v23
	v_or_b32_e32 v26, 0x10000, v23
	s_delay_alu instid0(VALU_DEP_2) | instskip(NEXT) | instid1(VALU_DEP_1)
	v_cmp_eq_u32_e64 s7, 0, v13
	v_cndmask_b32_e64 v13, v26, v23, s7
; %bb.1680:                             ;   in Loop: Header=BB12_950 Depth=1
	s_or_b32 exec_lo, exec_lo, s11
	v_dual_max_num_f32 v23, v85, v85 :: v_dual_max_num_f32 v26, v83, v83
	s_delay_alu instid0(VALU_DEP_1) | instskip(NEXT) | instid1(VALU_DEP_1)
	v_dual_min_num_f32 v27, v26, v23 :: v_dual_max_num_f32 v23, v26, v23
	v_cndmask_b32_e32 v26, v23, v27, vcc_lo
	s_delay_alu instid0(VALU_DEP_1) | instskip(NEXT) | instid1(VALU_DEP_1)
	v_and_b32_e32 v23, 0x7f800000, v26
	v_cmp_ne_u32_e64 s7, 0x7f800000, v23
                                        ; implicit-def: $vgpr23
	s_and_saveexec_b32 s11, s7
	s_delay_alu instid0(SALU_CYCLE_1)
	s_xor_b32 s7, exec_lo, s11
; %bb.1681:                             ;   in Loop: Header=BB12_950 Depth=1
	v_bfe_u32 v23, v26, 16, 1
	s_delay_alu instid0(VALU_DEP_1)
	v_add3_u32 v23, v26, v23, 0x7fff
                                        ; implicit-def: $vgpr26
; %bb.1682:                             ;   in Loop: Header=BB12_950 Depth=1
	s_and_not1_saveexec_b32 s11, s7
; %bb.1683:                             ;   in Loop: Header=BB12_950 Depth=1
	v_and_b32_e32 v23, 0xffff, v26
	v_or_b32_e32 v27, 0x10000, v26
	s_delay_alu instid0(VALU_DEP_2) | instskip(NEXT) | instid1(VALU_DEP_1)
	v_cmp_eq_u32_e64 s7, 0, v23
	v_cndmask_b32_e64 v23, v27, v26, s7
; %bb.1684:                             ;   in Loop: Header=BB12_950 Depth=1
	s_or_b32 exec_lo, exec_lo, s11
	v_dual_max_num_f32 v26, v82, v82 :: v_dual_max_num_f32 v27, v80, v80
	s_delay_alu instid0(VALU_DEP_1) | instskip(NEXT) | instid1(VALU_DEP_1)
	v_dual_min_num_f32 v28, v27, v26 :: v_dual_max_num_f32 v26, v27, v26
	v_cndmask_b32_e32 v27, v26, v28, vcc_lo
	s_delay_alu instid0(VALU_DEP_1) | instskip(NEXT) | instid1(VALU_DEP_1)
	v_and_b32_e32 v26, 0x7f800000, v27
	v_cmp_ne_u32_e64 s7, 0x7f800000, v26
                                        ; implicit-def: $vgpr26
	s_and_saveexec_b32 s11, s7
	s_delay_alu instid0(SALU_CYCLE_1)
	s_xor_b32 s7, exec_lo, s11
; %bb.1685:                             ;   in Loop: Header=BB12_950 Depth=1
	v_bfe_u32 v26, v27, 16, 1
	s_delay_alu instid0(VALU_DEP_1)
	v_add3_u32 v26, v27, v26, 0x7fff
                                        ; implicit-def: $vgpr27
; %bb.1686:                             ;   in Loop: Header=BB12_950 Depth=1
	s_and_not1_saveexec_b32 s11, s7
; %bb.1687:                             ;   in Loop: Header=BB12_950 Depth=1
	v_and_b32_e32 v26, 0xffff, v27
	v_or_b32_e32 v28, 0x10000, v27
	s_delay_alu instid0(VALU_DEP_2) | instskip(NEXT) | instid1(VALU_DEP_1)
	v_cmp_eq_u32_e64 s7, 0, v26
	v_cndmask_b32_e64 v26, v28, v27, s7
; %bb.1688:                             ;   in Loop: Header=BB12_950 Depth=1
	s_or_b32 exec_lo, exec_lo, s11
	v_dual_max_num_f32 v27, v71, v71 :: v_dual_max_num_f32 v28, v69, v69
	s_delay_alu instid0(VALU_DEP_1) | instskip(NEXT) | instid1(VALU_DEP_1)
	v_dual_min_num_f32 v29, v28, v27 :: v_dual_max_num_f32 v27, v28, v27
	v_cndmask_b32_e32 v28, v27, v29, vcc_lo
	s_delay_alu instid0(VALU_DEP_1) | instskip(NEXT) | instid1(VALU_DEP_1)
	v_and_b32_e32 v27, 0x7f800000, v28
	v_cmp_ne_u32_e64 s7, 0x7f800000, v27
                                        ; implicit-def: $vgpr27
	s_and_saveexec_b32 s11, s7
	s_delay_alu instid0(SALU_CYCLE_1)
	s_xor_b32 s7, exec_lo, s11
; %bb.1689:                             ;   in Loop: Header=BB12_950 Depth=1
	v_bfe_u32 v27, v28, 16, 1
	s_delay_alu instid0(VALU_DEP_1)
	v_add3_u32 v27, v28, v27, 0x7fff
                                        ; implicit-def: $vgpr28
; %bb.1690:                             ;   in Loop: Header=BB12_950 Depth=1
	s_and_not1_saveexec_b32 s11, s7
; %bb.1691:                             ;   in Loop: Header=BB12_950 Depth=1
	v_and_b32_e32 v27, 0xffff, v28
	v_or_b32_e32 v29, 0x10000, v28
	s_delay_alu instid0(VALU_DEP_2) | instskip(NEXT) | instid1(VALU_DEP_1)
	v_cmp_eq_u32_e64 s7, 0, v27
	v_cndmask_b32_e64 v27, v29, v28, s7
; %bb.1692:                             ;   in Loop: Header=BB12_950 Depth=1
	s_or_b32 exec_lo, exec_lo, s11
	v_dual_max_num_f32 v28, v68, v68 :: v_dual_max_num_f32 v29, v67, v67
	s_delay_alu instid0(VALU_DEP_1) | instskip(NEXT) | instid1(VALU_DEP_1)
	v_dual_min_num_f32 v30, v29, v28 :: v_dual_max_num_f32 v28, v29, v28
	v_cndmask_b32_e32 v29, v28, v30, vcc_lo
	s_delay_alu instid0(VALU_DEP_1) | instskip(NEXT) | instid1(VALU_DEP_1)
	v_and_b32_e32 v28, 0x7f800000, v29
	v_cmp_ne_u32_e64 s7, 0x7f800000, v28
                                        ; implicit-def: $vgpr28
	s_and_saveexec_b32 s11, s7
	s_delay_alu instid0(SALU_CYCLE_1)
	s_xor_b32 s7, exec_lo, s11
; %bb.1693:                             ;   in Loop: Header=BB12_950 Depth=1
	v_bfe_u32 v28, v29, 16, 1
	s_delay_alu instid0(VALU_DEP_1)
	v_add3_u32 v28, v29, v28, 0x7fff
                                        ; implicit-def: $vgpr29
; %bb.1694:                             ;   in Loop: Header=BB12_950 Depth=1
	s_and_not1_saveexec_b32 s11, s7
; %bb.1695:                             ;   in Loop: Header=BB12_950 Depth=1
	v_and_b32_e32 v28, 0xffff, v29
	v_or_b32_e32 v30, 0x10000, v29
	s_delay_alu instid0(VALU_DEP_2) | instskip(NEXT) | instid1(VALU_DEP_1)
	v_cmp_eq_u32_e64 s7, 0, v28
	v_cndmask_b32_e64 v28, v30, v29, s7
; %bb.1696:                             ;   in Loop: Header=BB12_950 Depth=1
	s_or_b32 exec_lo, exec_lo, s11
	v_dual_max_num_f32 v29, v65, v65 :: v_dual_max_num_f32 v30, v64, v64
	s_delay_alu instid0(VALU_DEP_1) | instskip(NEXT) | instid1(VALU_DEP_1)
	v_dual_min_num_f32 v31, v30, v29 :: v_dual_max_num_f32 v29, v30, v29
	v_cndmask_b32_e32 v30, v29, v31, vcc_lo
	s_delay_alu instid0(VALU_DEP_1) | instskip(NEXT) | instid1(VALU_DEP_1)
	v_and_b32_e32 v29, 0x7f800000, v30
	v_cmp_ne_u32_e64 s7, 0x7f800000, v29
                                        ; implicit-def: $vgpr29
	s_and_saveexec_b32 s11, s7
	s_delay_alu instid0(SALU_CYCLE_1)
	s_xor_b32 s7, exec_lo, s11
; %bb.1697:                             ;   in Loop: Header=BB12_950 Depth=1
	v_bfe_u32 v29, v30, 16, 1
	s_delay_alu instid0(VALU_DEP_1)
	v_add3_u32 v29, v30, v29, 0x7fff
                                        ; implicit-def: $vgpr30
; %bb.1698:                             ;   in Loop: Header=BB12_950 Depth=1
	s_and_not1_saveexec_b32 s11, s7
; %bb.1699:                             ;   in Loop: Header=BB12_950 Depth=1
	v_and_b32_e32 v29, 0xffff, v30
	v_or_b32_e32 v31, 0x10000, v30
	s_delay_alu instid0(VALU_DEP_2) | instskip(NEXT) | instid1(VALU_DEP_1)
	v_cmp_eq_u32_e64 s7, 0, v29
	v_cndmask_b32_e64 v29, v31, v30, s7
; %bb.1700:                             ;   in Loop: Header=BB12_950 Depth=1
	s_or_b32 exec_lo, exec_lo, s11
	v_dual_max_num_f32 v30, v54, v54 :: v_dual_max_num_f32 v31, v53, v53
	s_delay_alu instid0(VALU_DEP_1) | instskip(NEXT) | instid1(VALU_DEP_1)
	v_dual_min_num_f32 v32, v31, v30 :: v_dual_max_num_f32 v30, v31, v30
	v_cndmask_b32_e32 v31, v30, v32, vcc_lo
	s_delay_alu instid0(VALU_DEP_1) | instskip(NEXT) | instid1(VALU_DEP_1)
	v_and_b32_e32 v30, 0x7f800000, v31
	v_cmp_ne_u32_e64 s7, 0x7f800000, v30
                                        ; implicit-def: $vgpr30
	s_and_saveexec_b32 s11, s7
	s_delay_alu instid0(SALU_CYCLE_1)
	s_xor_b32 s7, exec_lo, s11
; %bb.1701:                             ;   in Loop: Header=BB12_950 Depth=1
	v_bfe_u32 v30, v31, 16, 1
	s_delay_alu instid0(VALU_DEP_1)
	v_add3_u32 v30, v31, v30, 0x7fff
                                        ; implicit-def: $vgpr31
; %bb.1702:                             ;   in Loop: Header=BB12_950 Depth=1
	s_and_not1_saveexec_b32 s11, s7
; %bb.1703:                             ;   in Loop: Header=BB12_950 Depth=1
	v_and_b32_e32 v30, 0xffff, v31
	v_or_b32_e32 v32, 0x10000, v31
	s_delay_alu instid0(VALU_DEP_2) | instskip(NEXT) | instid1(VALU_DEP_1)
	v_cmp_eq_u32_e64 s7, 0, v30
	v_cndmask_b32_e64 v30, v32, v31, s7
; %bb.1704:                             ;   in Loop: Header=BB12_950 Depth=1
	s_or_b32 exec_lo, exec_lo, s11
	v_dual_max_num_f32 v31, v51, v51 :: v_dual_max_num_f32 v32, v50, v50
	s_delay_alu instid0(VALU_DEP_1) | instskip(NEXT) | instid1(VALU_DEP_1)
	v_dual_min_num_f32 v34, v32, v31 :: v_dual_max_num_f32 v31, v32, v31
	v_cndmask_b32_e32 v32, v31, v34, vcc_lo
	s_delay_alu instid0(VALU_DEP_1) | instskip(NEXT) | instid1(VALU_DEP_1)
	v_and_b32_e32 v31, 0x7f800000, v32
	v_cmp_ne_u32_e64 s7, 0x7f800000, v31
                                        ; implicit-def: $vgpr31
	s_and_saveexec_b32 s11, s7
	s_delay_alu instid0(SALU_CYCLE_1)
	s_xor_b32 s7, exec_lo, s11
; %bb.1705:                             ;   in Loop: Header=BB12_950 Depth=1
	v_bfe_u32 v31, v32, 16, 1
	s_delay_alu instid0(VALU_DEP_1)
	v_add3_u32 v31, v32, v31, 0x7fff
                                        ; implicit-def: $vgpr32
; %bb.1706:                             ;   in Loop: Header=BB12_950 Depth=1
	s_and_not1_saveexec_b32 s11, s7
; %bb.1707:                             ;   in Loop: Header=BB12_950 Depth=1
	v_and_b32_e32 v31, 0xffff, v32
	v_or_b32_e32 v34, 0x10000, v32
	s_delay_alu instid0(VALU_DEP_2) | instskip(NEXT) | instid1(VALU_DEP_1)
	v_cmp_eq_u32_e64 s7, 0, v31
	v_cndmask_b32_e64 v31, v34, v32, s7
; %bb.1708:                             ;   in Loop: Header=BB12_950 Depth=1
	s_or_b32 exec_lo, exec_lo, s11
	v_dual_max_num_f32 v32, v48, v48 :: v_dual_max_num_f32 v34, v39, v39
	s_delay_alu instid0(VALU_DEP_1) | instskip(NEXT) | instid1(VALU_DEP_1)
	v_dual_min_num_f32 v35, v34, v32 :: v_dual_max_num_f32 v32, v34, v32
	v_cndmask_b32_e32 v34, v32, v35, vcc_lo
	s_delay_alu instid0(VALU_DEP_1) | instskip(NEXT) | instid1(VALU_DEP_1)
	v_and_b32_e32 v32, 0x7f800000, v34
	v_cmp_ne_u32_e64 s7, 0x7f800000, v32
                                        ; implicit-def: $vgpr32
	s_and_saveexec_b32 s11, s7
	s_delay_alu instid0(SALU_CYCLE_1)
	s_xor_b32 s7, exec_lo, s11
; %bb.1709:                             ;   in Loop: Header=BB12_950 Depth=1
	v_bfe_u32 v32, v34, 16, 1
	s_delay_alu instid0(VALU_DEP_1)
	v_add3_u32 v32, v34, v32, 0x7fff
                                        ; implicit-def: $vgpr34
; %bb.1710:                             ;   in Loop: Header=BB12_950 Depth=1
	s_and_not1_saveexec_b32 s11, s7
; %bb.1711:                             ;   in Loop: Header=BB12_950 Depth=1
	v_and_b32_e32 v32, 0xffff, v34
	v_or_b32_e32 v35, 0x10000, v34
	s_delay_alu instid0(VALU_DEP_2) | instskip(NEXT) | instid1(VALU_DEP_1)
	v_cmp_eq_u32_e64 s7, 0, v32
	v_cndmask_b32_e64 v32, v35, v34, s7
; %bb.1712:                             ;   in Loop: Header=BB12_950 Depth=1
	s_or_b32 exec_lo, exec_lo, s11
	v_dual_max_num_f32 v25, v25, v25 :: v_dual_max_num_f32 v24, v24, v24
	s_delay_alu instid0(VALU_DEP_1) | instskip(NEXT) | instid1(VALU_DEP_1)
	v_dual_min_num_f32 v34, v24, v25 :: v_dual_max_num_f32 v24, v24, v25
	v_cndmask_b32_e32 v25, v24, v34, vcc_lo
	s_delay_alu instid0(VALU_DEP_1) | instskip(NEXT) | instid1(VALU_DEP_1)
	v_and_b32_e32 v24, 0x7f800000, v25
	v_cmp_ne_u32_e64 s7, 0x7f800000, v24
                                        ; implicit-def: $vgpr24
	s_and_saveexec_b32 s11, s7
	s_delay_alu instid0(SALU_CYCLE_1)
	s_xor_b32 s7, exec_lo, s11
; %bb.1713:                             ;   in Loop: Header=BB12_950 Depth=1
	v_bfe_u32 v24, v25, 16, 1
	s_delay_alu instid0(VALU_DEP_1)
	v_add3_u32 v24, v25, v24, 0x7fff
                                        ; implicit-def: $vgpr25
; %bb.1714:                             ;   in Loop: Header=BB12_950 Depth=1
	s_and_not1_saveexec_b32 s11, s7
; %bb.1715:                             ;   in Loop: Header=BB12_950 Depth=1
	v_and_b32_e32 v24, 0xffff, v25
	v_or_b32_e32 v34, 0x10000, v25
	s_delay_alu instid0(VALU_DEP_2) | instskip(NEXT) | instid1(VALU_DEP_1)
	v_cmp_eq_u32_e64 s7, 0, v24
	v_cndmask_b32_e64 v24, v34, v25, s7
; %bb.1716:                             ;   in Loop: Header=BB12_950 Depth=1
	s_or_b32 exec_lo, exec_lo, s11
	v_dual_max_num_f32 v22, v22, v22 :: v_dual_max_num_f32 v21, v21, v21
	s_delay_alu instid0(VALU_DEP_1) | instskip(NEXT) | instid1(VALU_DEP_1)
	v_dual_min_num_f32 v25, v21, v22 :: v_dual_max_num_f32 v21, v21, v22
	v_cndmask_b32_e32 v22, v21, v25, vcc_lo
	s_delay_alu instid0(VALU_DEP_1) | instskip(NEXT) | instid1(VALU_DEP_1)
	v_and_b32_e32 v21, 0x7f800000, v22
	v_cmp_ne_u32_e64 s7, 0x7f800000, v21
                                        ; implicit-def: $vgpr21
	s_and_saveexec_b32 s11, s7
	s_delay_alu instid0(SALU_CYCLE_1)
	s_xor_b32 s7, exec_lo, s11
; %bb.1717:                             ;   in Loop: Header=BB12_950 Depth=1
	v_bfe_u32 v21, v22, 16, 1
	s_delay_alu instid0(VALU_DEP_1)
	v_add3_u32 v21, v22, v21, 0x7fff
                                        ; implicit-def: $vgpr22
; %bb.1718:                             ;   in Loop: Header=BB12_950 Depth=1
	s_and_not1_saveexec_b32 s11, s7
; %bb.1719:                             ;   in Loop: Header=BB12_950 Depth=1
	v_and_b32_e32 v21, 0xffff, v22
	v_or_b32_e32 v25, 0x10000, v22
	s_delay_alu instid0(VALU_DEP_2) | instskip(NEXT) | instid1(VALU_DEP_1)
	v_cmp_eq_u32_e64 s7, 0, v21
	v_cndmask_b32_e64 v21, v25, v22, s7
; %bb.1720:                             ;   in Loop: Header=BB12_950 Depth=1
	s_or_b32 exec_lo, exec_lo, s11
	v_dual_max_num_f32 v20, v20, v20 :: v_dual_max_num_f32 v19, v19, v19
	s_delay_alu instid0(VALU_DEP_1) | instskip(NEXT) | instid1(VALU_DEP_1)
	v_dual_min_num_f32 v22, v19, v20 :: v_dual_max_num_f32 v19, v19, v20
	v_cndmask_b32_e32 v20, v19, v22, vcc_lo
	s_delay_alu instid0(VALU_DEP_1) | instskip(NEXT) | instid1(VALU_DEP_1)
	v_and_b32_e32 v19, 0x7f800000, v20
	v_cmp_ne_u32_e64 s7, 0x7f800000, v19
                                        ; implicit-def: $vgpr19
	s_and_saveexec_b32 s11, s7
	s_delay_alu instid0(SALU_CYCLE_1)
	s_xor_b32 s7, exec_lo, s11
; %bb.1721:                             ;   in Loop: Header=BB12_950 Depth=1
	v_bfe_u32 v19, v20, 16, 1
	s_delay_alu instid0(VALU_DEP_1)
	v_add3_u32 v19, v20, v19, 0x7fff
                                        ; implicit-def: $vgpr20
; %bb.1722:                             ;   in Loop: Header=BB12_950 Depth=1
	s_and_not1_saveexec_b32 s11, s7
; %bb.1723:                             ;   in Loop: Header=BB12_950 Depth=1
	v_and_b32_e32 v19, 0xffff, v20
	v_or_b32_e32 v22, 0x10000, v20
	s_delay_alu instid0(VALU_DEP_2) | instskip(NEXT) | instid1(VALU_DEP_1)
	v_cmp_eq_u32_e64 s7, 0, v19
	v_cndmask_b32_e64 v19, v22, v20, s7
; %bb.1724:                             ;   in Loop: Header=BB12_950 Depth=1
	s_or_b32 exec_lo, exec_lo, s11
	v_dual_max_num_f32 v18, v18, v18 :: v_dual_max_num_f32 v17, v17, v17
	s_delay_alu instid0(VALU_DEP_1) | instskip(NEXT) | instid1(VALU_DEP_1)
	v_dual_min_num_f32 v20, v17, v18 :: v_dual_max_num_f32 v17, v17, v18
	v_cndmask_b32_e32 v18, v17, v20, vcc_lo
	s_delay_alu instid0(VALU_DEP_1) | instskip(NEXT) | instid1(VALU_DEP_1)
	v_and_b32_e32 v17, 0x7f800000, v18
	v_cmp_ne_u32_e64 s7, 0x7f800000, v17
                                        ; implicit-def: $vgpr17
	s_and_saveexec_b32 s11, s7
	s_delay_alu instid0(SALU_CYCLE_1)
	s_xor_b32 s7, exec_lo, s11
; %bb.1725:                             ;   in Loop: Header=BB12_950 Depth=1
	v_bfe_u32 v17, v18, 16, 1
	s_delay_alu instid0(VALU_DEP_1)
	v_add3_u32 v17, v18, v17, 0x7fff
                                        ; implicit-def: $vgpr18
; %bb.1726:                             ;   in Loop: Header=BB12_950 Depth=1
	s_and_not1_saveexec_b32 s11, s7
; %bb.1727:                             ;   in Loop: Header=BB12_950 Depth=1
	v_and_b32_e32 v17, 0xffff, v18
	v_or_b32_e32 v20, 0x10000, v18
	s_delay_alu instid0(VALU_DEP_2) | instskip(NEXT) | instid1(VALU_DEP_1)
	v_cmp_eq_u32_e64 s7, 0, v17
	v_cndmask_b32_e64 v17, v20, v18, s7
; %bb.1728:                             ;   in Loop: Header=BB12_950 Depth=1
	s_or_b32 exec_lo, exec_lo, s11
	v_dual_max_num_f32 v3, v3, v3 :: v_dual_max_num_f32 v2, v2, v2
	s_delay_alu instid0(VALU_DEP_1) | instskip(NEXT) | instid1(VALU_DEP_1)
	v_dual_min_num_f32 v18, v2, v3 :: v_dual_max_num_f32 v2, v2, v3
	v_cndmask_b32_e32 v3, v2, v18, vcc_lo
	s_delay_alu instid0(VALU_DEP_1) | instskip(NEXT) | instid1(VALU_DEP_1)
	v_and_b32_e32 v2, 0x7f800000, v3
	v_cmp_ne_u32_e64 s7, 0x7f800000, v2
                                        ; implicit-def: $vgpr2
	s_and_saveexec_b32 s11, s7
	s_delay_alu instid0(SALU_CYCLE_1)
	s_xor_b32 s7, exec_lo, s11
; %bb.1729:                             ;   in Loop: Header=BB12_950 Depth=1
	v_bfe_u32 v2, v3, 16, 1
	s_delay_alu instid0(VALU_DEP_1)
	v_add3_u32 v2, v3, v2, 0x7fff
                                        ; implicit-def: $vgpr3
; %bb.1730:                             ;   in Loop: Header=BB12_950 Depth=1
	s_and_not1_saveexec_b32 s11, s7
; %bb.1731:                             ;   in Loop: Header=BB12_950 Depth=1
	v_and_b32_e32 v2, 0xffff, v3
	v_or_b32_e32 v18, 0x10000, v3
	s_delay_alu instid0(VALU_DEP_2) | instskip(NEXT) | instid1(VALU_DEP_1)
	v_cmp_eq_u32_e64 s7, 0, v2
	v_cndmask_b32_e64 v2, v18, v3, s7
; %bb.1732:                             ;   in Loop: Header=BB12_950 Depth=1
	s_or_b32 exec_lo, exec_lo, s11
	v_dual_max_num_f32 v1, v1, v1 :: v_dual_max_num_f32 v0, v0, v0
	s_delay_alu instid0(VALU_DEP_1) | instskip(NEXT) | instid1(VALU_DEP_1)
	v_dual_min_num_f32 v3, v0, v1 :: v_dual_max_num_f32 v0, v0, v1
	v_cndmask_b32_e32 v1, v0, v3, vcc_lo
	s_delay_alu instid0(VALU_DEP_1) | instskip(NEXT) | instid1(VALU_DEP_1)
	v_and_b32_e32 v0, 0x7f800000, v1
	v_cmp_ne_u32_e32 vcc_lo, 0x7f800000, v0
                                        ; implicit-def: $vgpr0
	s_and_saveexec_b32 s7, vcc_lo
	s_delay_alu instid0(SALU_CYCLE_1)
	s_xor_b32 s7, exec_lo, s7
; %bb.1733:                             ;   in Loop: Header=BB12_950 Depth=1
	v_bfe_u32 v0, v1, 16, 1
	s_delay_alu instid0(VALU_DEP_1)
	v_add3_u32 v0, v1, v0, 0x7fff
                                        ; implicit-def: $vgpr1
; %bb.1734:                             ;   in Loop: Header=BB12_950 Depth=1
	s_and_not1_saveexec_b32 s7, s7
; %bb.1735:                             ;   in Loop: Header=BB12_950 Depth=1
	v_and_b32_e32 v0, 0xffff, v1
	v_or_b32_e32 v3, 0x10000, v1
	s_delay_alu instid0(VALU_DEP_2) | instskip(NEXT) | instid1(VALU_DEP_2)
	v_cmp_eq_u32_e32 vcc_lo, 0, v0
	v_cndmask_b32_e32 v0, v3, v1, vcc_lo
; %bb.1736:                             ;   in Loop: Header=BB12_950 Depth=1
	s_or_b32 exec_lo, exec_lo, s7
	s_clause 0xf
	flat_store_d16_hi_b16 v[10:11], v12 th:TH_STORE_NT
	flat_store_d16_hi_b16 v[10:11], v13 offset:64 th:TH_STORE_NT
	flat_store_d16_hi_b16 v[10:11], v23 offset:128 th:TH_STORE_NT
	flat_store_d16_hi_b16 v[10:11], v26 offset:192 th:TH_STORE_NT
	flat_store_d16_hi_b16 v[10:11], v27 offset:256 th:TH_STORE_NT
	flat_store_d16_hi_b16 v[10:11], v28 offset:320 th:TH_STORE_NT
	flat_store_d16_hi_b16 v[10:11], v29 offset:384 th:TH_STORE_NT
	flat_store_d16_hi_b16 v[10:11], v30 offset:448 th:TH_STORE_NT
	flat_store_d16_hi_b16 v[10:11], v31 offset:512 th:TH_STORE_NT
	flat_store_d16_hi_b16 v[10:11], v32 offset:576 th:TH_STORE_NT
	flat_store_d16_hi_b16 v[10:11], v24 offset:640 th:TH_STORE_NT
	flat_store_d16_hi_b16 v[10:11], v21 offset:704 th:TH_STORE_NT
	flat_store_d16_hi_b16 v[10:11], v19 offset:768 th:TH_STORE_NT
	flat_store_d16_hi_b16 v[10:11], v17 offset:832 th:TH_STORE_NT
	flat_store_d16_hi_b16 v[10:11], v2 offset:896 th:TH_STORE_NT
	flat_store_d16_hi_b16 v[10:11], v0 offset:960 th:TH_STORE_NT
.LBB12_1737:                            ;   in Loop: Header=BB12_950 Depth=1
	s_wait_xcnt 0x0
	s_or_b32 exec_lo, exec_lo, s10
	v_lshlrev_b32_e32 v0, 10, v16
	s_delay_alu instid0(VALU_DEP_1)
	v_cmp_ne_u32_e32 vcc_lo, v122, v0
	s_and_b32 exec_lo, exec_lo, vcc_lo
	s_cbranch_execz .LBB12_1762
; %bb.1738:                             ;   in Loop: Header=BB12_950 Depth=1
	v_lshlrev_b32_e32 v1, 5, v33
	s_delay_alu instid0(VALU_DEP_1) | instskip(NEXT) | instid1(VALU_DEP_1)
	v_sub_nc_u32_e32 v1, v15, v1
	v_ashrrev_i32_e32 v2, 31, v1
	s_delay_alu instid0(VALU_DEP_1) | instskip(NEXT) | instid1(VALU_DEP_1)
	v_lshrrev_b32_e32 v2, 27, v2
	v_add_nc_u32_e32 v2, v1, v2
	s_delay_alu instid0(VALU_DEP_1) | instskip(NEXT) | instid1(VALU_DEP_1)
	v_and_b32_e32 v3, 0x7fffffe0, v2
	v_dual_lshlrev_b32 v2, 1, v2 :: v_dual_sub_nc_u32 v1, v1, v3
	s_delay_alu instid0(VALU_DEP_1) | instskip(NEXT) | instid1(VALU_DEP_2)
	v_and_b32_e32 v2, 0xffffffc0, v2
	v_lshlrev_b32_e32 v1, 1, v1
	s_delay_alu instid0(VALU_DEP_1) | instskip(NEXT) | instid1(VALU_DEP_1)
	v_add3_u32 v1, v2, v1, v0
	v_sub_nc_u32_e32 v0, v122, v1
	s_delay_alu instid0(VALU_DEP_1)
	v_cmp_lt_i32_e32 vcc_lo, 1, v0
	s_and_b32 exec_lo, exec_lo, vcc_lo
	s_cbranch_execz .LBB12_1762
; %bb.1739:                             ;   in Loop: Header=BB12_950 Depth=1
	s_trap 2
	ds_load_b64 v[10:11], v0
	v_add_nc_u32_e32 v14, v1, v14
	v_add_nc_u64_e32 v[22:23], 64, v[76:77]
	s_and_b32 s7, s13, 0xff
	v_lshlrev_b32_e32 v20, 6, v62
	s_cmp_eq_u32 s7, 0
	v_ashrrev_i32_e32 v15, 31, v14
	s_mov_b32 s29, 0
	s_mov_b32 s15, 0
	s_cselect_b32 s7, -1, 0
                                        ; implicit-def: $sgpr28
	s_delay_alu instid0(VALU_DEP_1)
	v_add_nc_u64_e32 v[2:3], v[110:111], v[14:15]
	v_add_nc_u64_e32 v[12:13], v[14:15], v[108:109]
	s_wait_dscnt 0x0
	v_add_nc_u64_e32 v[10:11], v[10:11], v[14:15]
	s_branch .LBB12_1741
.LBB12_1740:                            ;   in Loop: Header=BB12_1741 Depth=2
	s_or_b32 exec_lo, exec_lo, s10
	s_delay_alu instid0(VALU_DEP_1) | instskip(SKIP_2) | instid1(VALU_DEP_3)
	v_dual_cndmask_b32 v18, 0, v20, s29 :: v_dual_lshrrev_b32 v1, 16, v1
	v_add_nc_u64_e32 v[14:15], v[10:11], v[76:77]
	v_dual_cndmask_b32 v17, 0, v23, s29 :: v_dual_cndmask_b32 v16, 64, v22, s29
	v_sub_nc_u32_e32 v0, v0, v18
	v_add_nc_u64_e32 v[18:19], v[12:13], v[76:77]
	flat_store_b16 v[2:3], v1 th:TH_STORE_NT
	scratch_store_b16 off, v1, s33 offset:192
	v_cndmask_b32_e64 v11, v11, v15, s29
	v_cmp_gt_i32_e32 vcc_lo, 2, v0
	s_wait_xcnt 0x1
	v_add_nc_u64_e32 v[2:3], v[2:3], v[16:17]
	v_dual_cndmask_b32 v10, v10, v14, s29 :: v_dual_cndmask_b32 v13, v13, v19, s29
	v_cndmask_b32_e64 v12, v12, v18, s29
	s_or_b32 s15, vcc_lo, s15
	s_and_not1_b32 s10, s28, exec_lo
	s_and_b32 s11, s29, exec_lo
	s_delay_alu instid0(SALU_CYCLE_1)
	s_or_b32 s28, s10, s11
	s_wait_xcnt 0x0
	s_and_not1_b32 exec_lo, exec_lo, s15
	s_cbranch_execz .LBB12_1756
.LBB12_1741:                            ;   Parent Loop BB12_950 Depth=1
                                        ; =>  This Loop Header: Depth=2
                                        ;       Child Loop BB12_1742 Depth 3
                                        ;       Child Loop BB12_1751 Depth 3
	s_add_co_i32 s10, s33, 0xc0
	s_mov_b64 s[12:13], 0
	s_mov_b32 s40, s10
	s_mov_b32 s41, -1
.LBB12_1742:                            ;   Parent Loop BB12_950 Depth=1
                                        ;     Parent Loop BB12_1741 Depth=2
                                        ; =>    This Inner Loop Header: Depth=3
	s_cmp_eq_u32 s12, 1
	s_cselect_b32 vcc_lo, -1, 0
	s_cmp_eq_u32 s12, 0
	v_dual_cndmask_b32 v15, v13, v11 :: v_dual_cndmask_b32 v14, v12, v10
	s_cselect_b32 s10, -1, 0
	s_and_b32 s11, exec_lo, s41
	s_mov_b64 s[12:13], 1
	s_mov_b32 s41, 0
	flat_load_u16 v1, v[14:15] th:TH_LOAD_NT
	s_wait_xcnt 0x0
	v_add_nc_u64_e32 v[14:15], 64, v[14:15]
	s_delay_alu instid0(VALU_DEP_1)
	v_dual_cndmask_b32 v11, v11, v15 :: v_dual_cndmask_b32 v10, v10, v14
	v_dual_cndmask_b32 v13, v13, v15, s10 :: v_dual_cndmask_b32 v12, v12, v14, s10
	s_add_co_i32 s10, s33, 0xe0
	s_mov_b32 vcc_lo, s11
	s_wait_loadcnt_dscnt 0x0
	scratch_store_b16 off, v1, s40
	s_wait_xcnt 0x0
	s_mov_b32 s40, s10
	s_cbranch_vccnz .LBB12_1742
; %bb.1743:                             ;   in Loop: Header=BB12_1741 Depth=2
	s_and_saveexec_b32 s10, s29
	s_cbranch_execz .LBB12_1749
; %bb.1744:                             ;   in Loop: Header=BB12_1741 Depth=2
	s_clause 0x1
	scratch_load_u16 v1, off, s33 offset:190
	scratch_load_u16 v14, off, s33 offset:188
	s_wait_loadcnt 0x0
	v_dual_lshlrev_b32 v1, 16, v1 :: v_dual_lshlrev_b32 v14, 16, v14
	s_delay_alu instid0(VALU_DEP_1) | instskip(NEXT) | instid1(VALU_DEP_1)
	v_dual_max_num_f32 v1, v1, v1 :: v_dual_max_num_f32 v14, v14, v14
	v_dual_min_num_f32 v15, v14, v1 :: v_dual_max_num_f32 v1, v14, v1
	s_delay_alu instid0(VALU_DEP_1) | instskip(NEXT) | instid1(VALU_DEP_1)
	v_cndmask_b32_e64 v1, v1, v15, s7
	v_and_b32_e32 v14, 0x7f800000, v1
	s_delay_alu instid0(VALU_DEP_1) | instskip(SKIP_2) | instid1(SALU_CYCLE_1)
	v_cmp_ne_u32_e32 vcc_lo, 0x7f800000, v14
                                        ; implicit-def: $vgpr14
	s_wait_xcnt 0x0
	s_and_saveexec_b32 s11, vcc_lo
	s_xor_b32 s11, exec_lo, s11
; %bb.1745:                             ;   in Loop: Header=BB12_1741 Depth=2
	v_bfe_u32 v14, v1, 16, 1
	s_delay_alu instid0(VALU_DEP_1)
	v_add3_u32 v14, v1, v14, 0x7fff
                                        ; implicit-def: $vgpr1
; %bb.1746:                             ;   in Loop: Header=BB12_1741 Depth=2
	s_and_not1_saveexec_b32 s11, s11
; %bb.1747:                             ;   in Loop: Header=BB12_1741 Depth=2
	v_and_b32_e32 v14, 0xffff, v1
	v_or_b32_e32 v15, 0x10000, v1
	s_delay_alu instid0(VALU_DEP_2) | instskip(NEXT) | instid1(VALU_DEP_2)
	v_cmp_eq_u32_e32 vcc_lo, 0, v14
	v_cndmask_b32_e32 v14, v15, v1, vcc_lo
; %bb.1748:                             ;   in Loop: Header=BB12_1741 Depth=2
	s_or_b32 exec_lo, exec_lo, s11
	s_delay_alu instid0(VALU_DEP_1)
	v_lshrrev_b32_e32 v1, 16, v14
	flat_store_b16 v[2:3], v1 th:TH_STORE_NT
	s_wait_xcnt 0x0
	v_add_nc_u64_e32 v[2:3], v[2:3], v[22:23]
	scratch_store_b16 off, v1, s33 offset:188
.LBB12_1749:                            ;   in Loop: Header=BB12_1741 Depth=2
	s_wait_xcnt 0x0
	s_or_b32 exec_lo, exec_lo, s10
	v_sub_nc_u32_e32 v0, v0, v20
	v_add_nc_u64_e32 v[12:13], v[12:13], v[76:77]
	v_add_nc_u64_e32 v[10:11], v[10:11], v[76:77]
	s_delay_alu instid0(VALU_DEP_3)
	v_cmp_lt_i32_e64 s29, 1, v0
	s_and_saveexec_b32 s40, s29
	s_cbranch_execz .LBB12_1752
; %bb.1750:                             ;   in Loop: Header=BB12_1741 Depth=2
	s_add_co_i32 s10, s33, 0xbc
	s_mov_b64 s[12:13], 0
	s_mov_b32 s41, s10
	s_mov_b32 s42, -1
.LBB12_1751:                            ;   Parent Loop BB12_950 Depth=1
                                        ;     Parent Loop BB12_1741 Depth=2
                                        ; =>    This Inner Loop Header: Depth=3
	s_cmp_eq_u32 s12, 1
	s_cselect_b32 vcc_lo, -1, 0
	s_cmp_eq_u32 s12, 0
	v_dual_cndmask_b32 v15, v13, v11 :: v_dual_cndmask_b32 v14, v12, v10
	s_cselect_b32 s10, -1, 0
	s_and_b32 s11, exec_lo, s42
	s_mov_b64 s[12:13], 1
	s_mov_b32 s42, 0
	flat_load_u16 v1, v[14:15] th:TH_LOAD_NT
	s_wait_xcnt 0x0
	v_add_nc_u64_e32 v[14:15], 64, v[14:15]
	s_delay_alu instid0(VALU_DEP_1)
	v_dual_cndmask_b32 v13, v13, v15, s10 :: v_dual_cndmask_b32 v12, v12, v14, s10
	v_dual_cndmask_b32 v11, v11, v15 :: v_dual_cndmask_b32 v10, v10, v14
	s_add_co_i32 s10, s33, 0xbe
	s_mov_b32 vcc_lo, s11
	s_wait_loadcnt_dscnt 0x0
	scratch_store_b16 off, v1, s41
	s_wait_xcnt 0x0
	s_mov_b32 s41, s10
	s_cbranch_vccnz .LBB12_1751
.LBB12_1752:                            ;   in Loop: Header=BB12_1741 Depth=2
	s_or_b32 exec_lo, exec_lo, s40
	s_clause 0x1
	scratch_load_u16 v1, off, s33 offset:224
	scratch_load_u16 v14, off, s33 offset:192
	s_wait_loadcnt 0x0
	v_dual_lshlrev_b32 v1, 16, v1 :: v_dual_lshlrev_b32 v14, 16, v14
	s_delay_alu instid0(VALU_DEP_1) | instskip(NEXT) | instid1(VALU_DEP_1)
	v_dual_max_num_f32 v1, v1, v1 :: v_dual_max_num_f32 v14, v14, v14
	v_dual_min_num_f32 v15, v14, v1 :: v_dual_max_num_f32 v1, v14, v1
	s_delay_alu instid0(VALU_DEP_1) | instskip(NEXT) | instid1(VALU_DEP_1)
	v_cndmask_b32_e64 v14, v1, v15, s7
	v_and_b32_e32 v1, 0x7f800000, v14
	s_delay_alu instid0(VALU_DEP_1) | instskip(SKIP_2) | instid1(SALU_CYCLE_1)
	v_cmp_ne_u32_e32 vcc_lo, 0x7f800000, v1
                                        ; implicit-def: $vgpr1
	s_wait_xcnt 0x0
	s_and_saveexec_b32 s10, vcc_lo
	s_xor_b32 s10, exec_lo, s10
; %bb.1753:                             ;   in Loop: Header=BB12_1741 Depth=2
	v_bfe_u32 v1, v14, 16, 1
	s_delay_alu instid0(VALU_DEP_1)
	v_add3_u32 v1, v14, v1, 0x7fff
                                        ; implicit-def: $vgpr14
; %bb.1754:                             ;   in Loop: Header=BB12_1741 Depth=2
	s_and_not1_saveexec_b32 s10, s10
	s_cbranch_execz .LBB12_1740
; %bb.1755:                             ;   in Loop: Header=BB12_1741 Depth=2
	v_and_b32_e32 v1, 0xffff, v14
	v_or_b32_e32 v15, 0x10000, v14
	s_delay_alu instid0(VALU_DEP_2) | instskip(NEXT) | instid1(VALU_DEP_2)
	v_cmp_eq_u32_e32 vcc_lo, 0, v1
	v_cndmask_b32_e32 v1, v15, v14, vcc_lo
	s_branch .LBB12_1740
.LBB12_1756:                            ;   in Loop: Header=BB12_950 Depth=1
	s_or_b32 exec_lo, exec_lo, s15
	s_delay_alu instid0(SALU_CYCLE_1)
	s_and_b32 exec_lo, exec_lo, s28
	s_cbranch_execz .LBB12_1762
; %bb.1757:                             ;   in Loop: Header=BB12_950 Depth=1
	s_clause 0x1
	scratch_load_u16 v0, off, s33 offset:190
	scratch_load_u16 v1, off, s33 offset:188
	s_wait_loadcnt 0x0
	v_dual_lshlrev_b32 v0, 16, v0 :: v_dual_lshlrev_b32 v1, 16, v1
	s_delay_alu instid0(VALU_DEP_1) | instskip(NEXT) | instid1(VALU_DEP_1)
	v_dual_max_num_f32 v0, v0, v0 :: v_dual_max_num_f32 v1, v1, v1
	v_dual_min_num_f32 v10, v1, v0 :: v_dual_max_num_f32 v0, v1, v0
	s_delay_alu instid0(VALU_DEP_1) | instskip(NEXT) | instid1(VALU_DEP_1)
	v_cndmask_b32_e64 v0, v0, v10, s7
	v_and_b32_e32 v1, 0x7f800000, v0
	s_delay_alu instid0(VALU_DEP_1) | instskip(SKIP_2) | instid1(SALU_CYCLE_1)
	v_cmp_ne_u32_e32 vcc_lo, 0x7f800000, v1
                                        ; implicit-def: $vgpr1
	s_wait_xcnt 0x0
	s_and_saveexec_b32 s7, vcc_lo
	s_xor_b32 s7, exec_lo, s7
; %bb.1758:                             ;   in Loop: Header=BB12_950 Depth=1
	v_bfe_u32 v1, v0, 16, 1
	s_delay_alu instid0(VALU_DEP_1)
	v_add3_u32 v1, v0, v1, 0x7fff
                                        ; implicit-def: $vgpr0
; %bb.1759:                             ;   in Loop: Header=BB12_950 Depth=1
	s_and_not1_saveexec_b32 s7, s7
; %bb.1760:                             ;   in Loop: Header=BB12_950 Depth=1
	v_and_b32_e32 v1, 0xffff, v0
	v_or_b32_e32 v10, 0x10000, v0
	s_delay_alu instid0(VALU_DEP_2) | instskip(NEXT) | instid1(VALU_DEP_2)
	v_cmp_eq_u32_e32 vcc_lo, 0, v1
	v_cndmask_b32_e32 v1, v10, v0, vcc_lo
; %bb.1761:                             ;   in Loop: Header=BB12_950 Depth=1
	s_or_b32 exec_lo, exec_lo, s7
	flat_store_d16_hi_b16 v[2:3], v1 th:TH_STORE_NT
.LBB12_1762:                            ;   in Loop: Header=BB12_950 Depth=1
	s_wait_xcnt 0x0
	s_or_b32 exec_lo, exec_lo, s14
	s_wait_loadcnt 0x0
	scratch_load_b64 v[32:33], off, s33 offset:280 ; 8-byte Folded Reload
	v_cmp_ne_u32_e64 s7, 0, v60
	s_wait_xcnt 0x0
	s_and_saveexec_b32 s10, s2
	s_cbranch_execz .LBB12_1781
.LBB12_1763:                            ;   in Loop: Header=BB12_950 Depth=1
	s_and_saveexec_b32 s11, s3
	s_delay_alu instid0(SALU_CYCLE_1)
	s_xor_b32 s11, exec_lo, s11
	s_cbranch_execz .LBB12_1778
; %bb.1764:                             ;   in Loop: Header=BB12_950 Depth=1
	s_and_saveexec_b32 s12, s4
	s_cbranch_execz .LBB12_1777
; %bb.1765:                             ;   in Loop: Header=BB12_950 Depth=1
	s_mov_b32 s14, exec_lo
	s_mov_b32 s13, exec_lo
	v_mbcnt_lo_u32_b32 v0, s14, 0
	global_wb scope:SCOPE_DEV
	s_wait_storecnt 0x0
	s_wait_loadcnt_dscnt 0x0
	global_inv scope:SCOPE_DEV
	v_cmpx_eq_u32_e32 0, v0
	s_cbranch_execz .LBB12_1767
; %bb.1766:                             ;   in Loop: Header=BB12_950 Depth=1
	s_bcnt1_i32_b32 s14, s14
	s_delay_alu instid0(SALU_CYCLE_1)
	v_mov_b32_e32 v60, s14
	s_wait_loadcnt 0x0
	ds_add_u64 v0, v[60:61]
	s_trap 2
.LBB12_1767:                            ;   in Loop: Header=BB12_950 Depth=1
	s_or_b32 exec_lo, exec_lo, s13
	s_trap 2
	ds_load_b64 v[0:1], v0
	s_wait_dscnt 0x0
	v_add_nc_u64_e32 v[56:57], v[56:57], v[62:63]
	s_mov_b32 s13, exec_lo
	s_delay_alu instid0(VALU_DEP_1)
	v_cmpx_lt_u64_e64 v[0:1], v[56:57]
	s_cbranch_execz .LBB12_1776
; %bb.1768:                             ;   in Loop: Header=BB12_950 Depth=1
	s_mov_b32 s14, 0
	s_mov_b32 s29, 0
                                        ; implicit-def: $sgpr15
                                        ; implicit-def: $sgpr28
	s_branch .LBB12_1770
.LBB12_1769:                            ;   in Loop: Header=BB12_1770 Depth=2
	s_or_b32 exec_lo, exec_lo, s41
	s_delay_alu instid0(SALU_CYCLE_1) | instskip(NEXT) | instid1(SALU_CYCLE_1)
	s_and_b32 s40, exec_lo, s42
	s_or_b32 s14, s40, s14
	s_and_not1_b32 s15, s15, exec_lo
	s_and_b32 s40, s28, exec_lo
	s_delay_alu instid0(SALU_CYCLE_1)
	s_or_b32 s15, s15, s40
	s_and_not1_b32 exec_lo, exec_lo, s14
	s_cbranch_execz .LBB12_1774
.LBB12_1770:                            ;   Parent Loop BB12_950 Depth=1
                                        ; =>  This Inner Loop Header: Depth=2
	s_add_co_i32 s29, s29, 1
	s_delay_alu instid0(SALU_CYCLE_1) | instskip(SKIP_1) | instid1(SALU_CYCLE_1)
	s_cmp_lg_u32 s29, 0x2710
	s_cselect_b32 s40, -1, 0
	s_and_b32 vcc_lo, exec_lo, s40
	s_cbranch_vccz .LBB12_1772
; %bb.1771:                             ;   in Loop: Header=BB12_1770 Depth=2
	s_mov_b32 s42, -1
	s_or_b32 s28, s28, exec_lo
	s_and_saveexec_b32 s41, s40
	s_cbranch_execz .LBB12_1769
	s_branch .LBB12_1773
.LBB12_1772:                            ;   in Loop: Header=BB12_1770 Depth=2
	s_trap 2
	ds_load_b64 v[0:1], v0
	s_and_not1_b32 s40, s40, exec_lo
	s_mov_b32 s29, 0
	s_wait_loadcnt_dscnt 0x0
	flat_load_b32 v0, v[0:1] scope:SCOPE_SYS
	s_wait_loadcnt_dscnt 0x0
	global_inv scope:SCOPE_SYS
	v_cmp_eq_u32_e32 vcc_lo, 0, v0
	s_and_b32 s41, vcc_lo, exec_lo
	s_delay_alu instid0(SALU_CYCLE_1)
	s_or_b32 s40, s40, s41
	s_mov_b32 s42, -1
	s_or_b32 s28, s28, exec_lo
	s_and_saveexec_b32 s41, s40
	s_cbranch_execz .LBB12_1769
.LBB12_1773:                            ;   in Loop: Header=BB12_1770 Depth=2
	s_sleep 1
	s_trap 2
	ds_load_b64 v[0:1], v0
	s_wait_dscnt 0x0
	s_and_not1_b32 s28, s28, exec_lo
	v_cmp_ge_u64_e32 vcc_lo, v[0:1], v[56:57]
	s_or_not1_b32 s42, vcc_lo, exec_lo
	s_branch .LBB12_1769
.LBB12_1774:                            ;   in Loop: Header=BB12_950 Depth=1
	s_or_b32 exec_lo, exec_lo, s14
	s_and_saveexec_b32 s14, s15
	s_delay_alu instid0(SALU_CYCLE_1)
	s_xor_b32 s14, exec_lo, s14
	s_cbranch_execz .LBB12_1776
; %bb.1775:                             ;   in Loop: Header=BB12_950 Depth=1
	v_mov_b32_e32 v0, 1
	ds_store_b32 v0, v0
	s_trap 2
.LBB12_1776:                            ;   in Loop: Header=BB12_950 Depth=1
	s_or_b32 exec_lo, exec_lo, s13
	;;#ASMSTART
	s_wakeup
	;;#ASMEND
.LBB12_1777:                            ;   in Loop: Header=BB12_950 Depth=1
	s_or_b32 exec_lo, exec_lo, s12
.LBB12_1778:                            ;   in Loop: Header=BB12_950 Depth=1
	s_and_not1_saveexec_b32 s11, s11
	s_cbranch_execz .LBB12_1780
; %bb.1779:                             ;   in Loop: Header=BB12_950 Depth=1
	global_wb scope:SCOPE_DEV
	s_wait_storecnt 0x0
	s_wait_loadcnt_dscnt 0x0
	global_inv scope:SCOPE_DEV
	s_barrier_signal -1
	s_barrier_wait -1
.LBB12_1780:                            ;   in Loop: Header=BB12_950 Depth=1
	s_or_b32 exec_lo, exec_lo, s11
.LBB12_1781:                            ;   in Loop: Header=BB12_950 Depth=1
	s_delay_alu instid0(SALU_CYCLE_1) | instskip(SKIP_1) | instid1(VALU_DEP_1)
	s_or_b32 exec_lo, exec_lo, s10
	v_and_b32_e32 v0, 16, v126
	v_cmp_ne_u32_e32 vcc_lo, 0, v0
	s_and_b32 s10, vcc_lo, s7
	s_delay_alu instid0(SALU_CYCLE_1)
	s_and_saveexec_b32 s7, s10
	s_cbranch_execz .LBB12_1783
; %bb.1782:                             ;   in Loop: Header=BB12_950 Depth=1
	global_wb scope:SCOPE_SYS
	s_wait_storecnt 0x0
	s_wait_loadcnt_dscnt 0x0
	global_inv scope:SCOPE_SYS
.LBB12_1783:                            ;   in Loop: Header=BB12_950 Depth=1
	s_or_b32 exec_lo, exec_lo, s7
	v_and_b32_e32 v0, 32, v126
	s_mov_b32 s7, exec_lo
	s_delay_alu instid0(VALU_DEP_1)
	v_cmpx_ne_u32_e32 0, v0
	s_cbranch_execz .LBB12_1785
; %bb.1784:                             ;   in Loop: Header=BB12_950 Depth=1
	v_add_nc_u64_e32 v[8:9], 1, v[8:9]
	global_wb scope:SCOPE_SYS
	s_wait_storecnt 0x0
	s_wait_loadcnt_dscnt 0x0
	flat_store_b64 v[40:41], v[8:9] scope:SCOPE_SYS
.LBB12_1785:                            ;   in Loop: Header=BB12_950 Depth=1
	s_wait_xcnt 0x0
	s_or_b32 exec_lo, exec_lo, s7
	v_mov_b32_e32 v0, v107
.LBB12_1786:                            ;   in Loop: Header=BB12_950 Depth=1
	s_or_b32 exec_lo, exec_lo, s27
	s_and_saveexec_b32 s10, s26
	s_cbranch_execz .LBB12_949
; %bb.1787:                             ;   in Loop: Header=BB12_950 Depth=1
	v_and_b32_e32 v1, 4, v126
	s_mov_b32 s11, exec_lo
	s_delay_alu instid0(VALU_DEP_1)
	v_cmpx_ne_u32_e32 0, v1
	s_cbranch_execz .LBB12_1809
; %bb.1788:                             ;   in Loop: Header=BB12_950 Depth=1
	v_add_nc_u64_e32 v[2:3], 1, v[8:9]
	s_mov_b32 s12, exec_lo
	s_wait_loadcnt 0x0
	s_delay_alu instid0(VALU_DEP_1)
	v_cmpx_lt_u64_e64 v[46:47], v[2:3]
	s_cbranch_execz .LBB12_1800
; %bb.1789:                             ;   in Loop: Header=BB12_950 Depth=1
	v_and_b32_e32 v1, 64, v126
	s_mov_b32 s13, 0
	s_mov_b32 s27, 0
                                        ; implicit-def: $sgpr14
                                        ; implicit-def: $sgpr15
                                        ; implicit-def: $sgpr26
	s_delay_alu instid0(VALU_DEP_1)
	v_cmp_eq_u32_e32 vcc_lo, 0, v1
	s_branch .LBB12_1793
.LBB12_1790:                            ;   in Loop: Header=BB12_1793 Depth=2
	s_wait_loadcnt_dscnt 0x0
	v_cmp_ge_u64_e64 s7, v[46:47], v[2:3]
	s_or_b32 s40, s40, exec_lo
	s_or_not1_b32 s29, s7, exec_lo
.LBB12_1791:                            ;   in Loop: Header=BB12_1793 Depth=2
	s_or_b32 exec_lo, exec_lo, s42
	s_delay_alu instid0(SALU_CYCLE_1)
	s_and_not1_b32 s7, s26, exec_lo
	s_and_b32 s26, s40, exec_lo
	s_and_not1_b32 s15, s15, exec_lo
	s_and_b32 s29, s29, exec_lo
	s_or_b32 s26, s7, s26
	s_or_b32 s15, s15, s29
.LBB12_1792:                            ;   in Loop: Header=BB12_1793 Depth=2
	s_or_b32 exec_lo, exec_lo, s28
	s_delay_alu instid0(SALU_CYCLE_1) | instskip(NEXT) | instid1(SALU_CYCLE_1)
	s_and_b32 s7, exec_lo, s15
	s_or_b32 s13, s7, s13
	s_and_not1_b32 s7, s14, exec_lo
	s_and_b32 s14, s26, exec_lo
	s_delay_alu instid0(SALU_CYCLE_1)
	s_or_b32 s14, s7, s14
	s_and_not1_b32 exec_lo, exec_lo, s13
	s_cbranch_execz .LBB12_1797
.LBB12_1793:                            ;   Parent Loop BB12_950 Depth=1
                                        ; =>  This Inner Loop Header: Depth=2
	s_sleep 1
	s_wait_loadcnt_dscnt 0x0
	flat_load_b64 v[46:47], v[40:41] scope:SCOPE_SYS
	s_or_b32 s26, s26, exec_lo
	s_or_b32 s15, s15, exec_lo
                                        ; implicit-def: $vgpr1
	s_wait_xcnt 0x0
	s_and_saveexec_b32 s28, vcc_lo
	s_cbranch_execz .LBB12_1792
; %bb.1794:                             ;   in Loop: Header=BB12_1793 Depth=2
	s_cmp_lt_i32 s27, 0x270f
	s_mov_b32 s29, -1
	s_cselect_b32 s41, -1, 0
	s_cmp_gt_i32 s27, 0x270e
	s_cbranch_scc0 .LBB12_1796
; %bb.1795:                             ;   in Loop: Header=BB12_1793 Depth=2
	s_trap 2
	ds_load_b64 v[10:11], v0
	s_and_not1_b32 s27, s41, exec_lo
	s_mov_b32 s40, 0
	s_wait_storecnt 0x0
	s_wait_loadcnt_dscnt 0x0
	flat_load_b32 v1, v[10:11] scope:SCOPE_SYS
	s_wait_loadcnt_dscnt 0x0
	global_inv scope:SCOPE_SYS
	v_cmp_eq_u32_e64 s7, 0, v1
	s_and_b32 s7, s7, exec_lo
	s_delay_alu instid0(SALU_CYCLE_1)
	s_or_b32 s41, s27, s7
	s_mov_b32 s27, 0
	s_and_saveexec_b32 s42, s41
	s_cbranch_execz .LBB12_1791
	s_branch .LBB12_1790
.LBB12_1796:                            ;   in Loop: Header=BB12_1793 Depth=2
	s_add_co_i32 s27, s27, 1
	s_mov_b32 s40, -1
                                        ; implicit-def: $vgpr1
	s_and_saveexec_b32 s42, s41
	s_cbranch_execz .LBB12_1791
	s_branch .LBB12_1790
.LBB12_1797:                            ;   in Loop: Header=BB12_950 Depth=1
	s_or_b32 exec_lo, exec_lo, s13
	s_xor_b32 s7, s14, -1
	s_delay_alu instid0(SALU_CYCLE_1) | instskip(NEXT) | instid1(SALU_CYCLE_1)
	s_and_saveexec_b32 s13, s7
	s_xor_b32 s7, exec_lo, s13
	s_cbranch_execz .LBB12_1799
; %bb.1798:                             ;   in Loop: Header=BB12_950 Depth=1
	v_or_b32_e32 v126, 64, v126
	s_wait_storecnt 0x0
	s_wait_loadcnt_dscnt 0x0
	ds_store_b32 v0, v1
	s_trap 2
.LBB12_1799:                            ;   in Loop: Header=BB12_950 Depth=1
	s_or_b32 exec_lo, exec_lo, s7
.LBB12_1800:                            ;   in Loop: Header=BB12_950 Depth=1
	s_delay_alu instid0(SALU_CYCLE_1)
	s_or_b32 exec_lo, exec_lo, s12
	v_and_b32_e32 v1, 0x100, v126
	v_and_b32_e32 v60, 7, v8
	s_mov_b32 s7, -1
	s_mov_b32 s12, exec_lo
	;;#ASMSTART
	s_wakeup
	;;#ASMEND
                                        ; implicit-def: $vgpr8_vgpr9
	v_cmpx_ne_u32_e32 0, v1
	s_cbranch_execz .LBB12_1804
; %bb.1801:                             ;   in Loop: Header=BB12_950 Depth=1
	v_mad_nc_u64_u32 v[10:11], v60, 24, v[6:7]
	s_mov_b32 s13, exec_lo
                                        ; implicit-def: $vgpr8_vgpr9
	flat_load_b32 v1, v[10:11]
	s_wait_loadcnt_dscnt 0x0
	v_cmp_ne_u32_e32 vcc_lo, 1, v1
	s_wait_xcnt 0x0
	v_cmpx_eq_u32_e32 1, v1
	s_cbranch_execz .LBB12_1803
; %bb.1802:                             ;   in Loop: Header=BB12_950 Depth=1
	flat_load_b32 v8, v[10:11] offset:4 scope:SCOPE_SYS
	s_wait_loadcnt_dscnt 0x0
	v_ashrrev_i32_e32 v9, 31, v8
	s_delay_alu instid0(VALU_DEP_1)
	v_lshrrev_b64 v[8:9], 1, v[8:9]
.LBB12_1803:                            ;   in Loop: Header=BB12_950 Depth=1
	s_wait_xcnt 0x0
	s_or_b32 exec_lo, exec_lo, s13
	s_delay_alu instid0(SALU_CYCLE_1)
	s_or_not1_b32 s7, vcc_lo, exec_lo
.LBB12_1804:                            ;   in Loop: Header=BB12_950 Depth=1
	s_or_b32 exec_lo, exec_lo, s12
	s_and_saveexec_b32 s12, s7
	s_cbranch_execz .LBB12_1806
; %bb.1805:                             ;   in Loop: Header=BB12_950 Depth=1
	scratch_load_b64 v[8:9], off, s33 offset:256 ; 8-byte Folded Reload
	s_wait_loadcnt 0x0
	v_mul_u64_e32 v[8:9], v[60:61], v[8:9]
.LBB12_1806:                            ;   in Loop: Header=BB12_950 Depth=1
	s_wait_xcnt 0x0
	s_or_b32 exec_lo, exec_lo, s12
	v_and_b32_e32 v1, 0x2000, v126
	s_delay_alu instid0(VALU_DEP_2)
	v_lshl_add_u64 v[8:9], v[8:9], 1, v[32:33]
	s_mov_b32 s7, exec_lo
	ds_store_b64 v0, v[8:9] offset:728
	v_cmpx_ne_u32_e32 0, v1
	s_cbranch_execz .LBB12_1808
; %bb.1807:                             ;   in Loop: Header=BB12_950 Depth=1
	ds_load_b64 v[8:9], v0 offset:872
	s_wait_dscnt 0x0
	v_add_nc_u64_e32 v[8:9], 1, v[8:9]
	ds_store_b64 v0, v[8:9] offset:872
.LBB12_1808:                            ;   in Loop: Header=BB12_950 Depth=1
	s_or_b32 exec_lo, exec_lo, s7
	v_mov_b64_e32 v[8:9], v[2:3]
.LBB12_1809:                            ;   in Loop: Header=BB12_950 Depth=1
	s_or_b32 exec_lo, exec_lo, s11
	s_and_saveexec_b32 s7, s2
	s_cbranch_execz .LBB12_1828
; %bb.1810:                             ;   in Loop: Header=BB12_950 Depth=1
	s_and_saveexec_b32 s11, s3
	s_delay_alu instid0(SALU_CYCLE_1)
	s_xor_b32 s11, exec_lo, s11
	s_cbranch_execz .LBB12_1825
; %bb.1811:                             ;   in Loop: Header=BB12_950 Depth=1
	s_and_saveexec_b32 s12, s4
	s_cbranch_execz .LBB12_1824
; %bb.1812:                             ;   in Loop: Header=BB12_950 Depth=1
	s_mov_b32 s14, exec_lo
	s_mov_b32 s13, exec_lo
	v_mbcnt_lo_u32_b32 v1, s14, 0
	global_wb scope:SCOPE_DEV
	s_wait_storecnt 0x0
	s_wait_loadcnt_dscnt 0x0
	global_inv scope:SCOPE_DEV
	v_cmpx_eq_u32_e32 0, v1
	s_cbranch_execz .LBB12_1814
; %bb.1813:                             ;   in Loop: Header=BB12_950 Depth=1
	s_bcnt1_i32_b32 s14, s14
	s_delay_alu instid0(SALU_CYCLE_1)
	v_mov_b32_e32 v60, s14
	s_wait_loadcnt 0x0
	ds_add_u64 v0, v[60:61]
	s_trap 2
.LBB12_1814:                            ;   in Loop: Header=BB12_950 Depth=1
	s_or_b32 exec_lo, exec_lo, s13
	s_trap 2
	ds_load_b64 v[2:3], v0
	s_wait_dscnt 0x0
	v_add_nc_u64_e32 v[56:57], v[56:57], v[62:63]
	s_mov_b32 s13, exec_lo
	s_delay_alu instid0(VALU_DEP_1)
	v_cmpx_lt_u64_e64 v[2:3], v[56:57]
	s_cbranch_execz .LBB12_1823
; %bb.1815:                             ;   in Loop: Header=BB12_950 Depth=1
	s_mov_b32 s14, 0
	s_mov_b32 s27, 0
                                        ; implicit-def: $sgpr15
                                        ; implicit-def: $sgpr26
	s_branch .LBB12_1817
.LBB12_1816:                            ;   in Loop: Header=BB12_1817 Depth=2
	s_or_b32 exec_lo, exec_lo, s29
	s_delay_alu instid0(SALU_CYCLE_1) | instskip(NEXT) | instid1(SALU_CYCLE_1)
	s_and_b32 s28, exec_lo, s40
	s_or_b32 s14, s28, s14
	s_and_not1_b32 s15, s15, exec_lo
	s_and_b32 s28, s26, exec_lo
	s_delay_alu instid0(SALU_CYCLE_1)
	s_or_b32 s15, s15, s28
	s_and_not1_b32 exec_lo, exec_lo, s14
	s_cbranch_execz .LBB12_1821
.LBB12_1817:                            ;   Parent Loop BB12_950 Depth=1
                                        ; =>  This Inner Loop Header: Depth=2
	s_add_co_i32 s27, s27, 1
	s_delay_alu instid0(SALU_CYCLE_1) | instskip(SKIP_1) | instid1(SALU_CYCLE_1)
	s_cmp_lg_u32 s27, 0x2710
	s_cselect_b32 s28, -1, 0
	s_and_b32 vcc_lo, exec_lo, s28
	s_cbranch_vccz .LBB12_1819
; %bb.1818:                             ;   in Loop: Header=BB12_1817 Depth=2
	s_mov_b32 s40, -1
	s_or_b32 s26, s26, exec_lo
	s_and_saveexec_b32 s29, s28
	s_cbranch_execz .LBB12_1816
	s_branch .LBB12_1820
.LBB12_1819:                            ;   in Loop: Header=BB12_1817 Depth=2
	s_trap 2
	ds_load_b64 v[2:3], v0
	s_and_not1_b32 s28, s28, exec_lo
	s_mov_b32 s27, 0
	s_wait_loadcnt_dscnt 0x0
	flat_load_b32 v1, v[2:3] scope:SCOPE_SYS
	s_wait_loadcnt_dscnt 0x0
	global_inv scope:SCOPE_SYS
	v_cmp_eq_u32_e32 vcc_lo, 0, v1
	s_and_b32 s29, vcc_lo, exec_lo
	s_delay_alu instid0(SALU_CYCLE_1)
	s_or_b32 s28, s28, s29
	s_mov_b32 s40, -1
	s_or_b32 s26, s26, exec_lo
	s_and_saveexec_b32 s29, s28
	s_cbranch_execz .LBB12_1816
.LBB12_1820:                            ;   in Loop: Header=BB12_1817 Depth=2
	s_sleep 1
	s_trap 2
	ds_load_b64 v[2:3], v0
	s_wait_dscnt 0x0
	s_and_not1_b32 s26, s26, exec_lo
	v_cmp_ge_u64_e32 vcc_lo, v[2:3], v[56:57]
	s_or_not1_b32 s40, vcc_lo, exec_lo
	s_branch .LBB12_1816
.LBB12_1821:                            ;   in Loop: Header=BB12_950 Depth=1
	s_or_b32 exec_lo, exec_lo, s14
	s_and_saveexec_b32 s14, s15
	s_delay_alu instid0(SALU_CYCLE_1)
	s_xor_b32 s14, exec_lo, s14
	s_cbranch_execz .LBB12_1823
; %bb.1822:                             ;   in Loop: Header=BB12_950 Depth=1
	v_mov_b32_e32 v1, 1
	ds_store_b32 v0, v1
	s_trap 2
.LBB12_1823:                            ;   in Loop: Header=BB12_950 Depth=1
	s_or_b32 exec_lo, exec_lo, s13
	;;#ASMSTART
	s_wakeup
	;;#ASMEND
.LBB12_1824:                            ;   in Loop: Header=BB12_950 Depth=1
	s_or_b32 exec_lo, exec_lo, s12
.LBB12_1825:                            ;   in Loop: Header=BB12_950 Depth=1
	s_and_not1_saveexec_b32 s11, s11
	s_cbranch_execz .LBB12_1827
; %bb.1826:                             ;   in Loop: Header=BB12_950 Depth=1
	global_wb scope:SCOPE_DEV
	s_wait_storecnt 0x0
	s_wait_loadcnt_dscnt 0x0
	global_inv scope:SCOPE_DEV
	s_barrier_signal -1
	s_barrier_wait -1
.LBB12_1827:                            ;   in Loop: Header=BB12_950 Depth=1
	s_or_b32 exec_lo, exec_lo, s11
.LBB12_1828:                            ;   in Loop: Header=BB12_950 Depth=1
	s_delay_alu instid0(SALU_CYCLE_1)
	s_or_b32 exec_lo, exec_lo, s7
	s_trap 2
	ds_load_b32 v1, v0
	v_sub_nc_u32_e32 v0, v106, v0
	s_wait_dscnt 0x0
	v_readfirstlane_b32 s7, v1
	v_and_b32_e32 v1, 16, v126
	s_delay_alu instid0(VALU_DEP_3) | instskip(SKIP_1) | instid1(VALU_DEP_2)
	v_min_i32_e32 v0, v107, v0
	s_cmp_eq_u32 s7, 0
	v_cmp_ne_u32_e64 s7, 0, v1
	s_delay_alu instid0(VALU_DEP_2) | instskip(SKIP_1) | instid1(SALU_CYCLE_1)
	v_cmp_lt_i32_e32 vcc_lo, 0, v0
	s_cselect_b32 s11, -1, 0
	s_and_b32 s11, vcc_lo, s11
	s_delay_alu instid0(SALU_CYCLE_1) | instskip(NEXT) | instid1(SALU_CYCLE_1)
	s_and_b32 s11, s7, s11
	s_and_saveexec_b32 s7, s11
	s_cbranch_execz .LBB12_1830
; %bb.1829:                             ;   in Loop: Header=BB12_950 Depth=1
	global_wb scope:SCOPE_SYS
	s_wait_loadcnt 0x0
	s_wait_storecnt 0x0
	global_inv scope:SCOPE_SYS
.LBB12_1830:                            ;   in Loop: Header=BB12_950 Depth=1
	s_or_b32 exec_lo, exec_lo, s7
	v_and_b32_e32 v0, 32, v126
	s_mov_b32 s7, exec_lo
	s_delay_alu instid0(VALU_DEP_1)
	v_cmpx_ne_u32_e32 0, v0
	s_cbranch_execz .LBB12_948
; %bb.1831:                             ;   in Loop: Header=BB12_950 Depth=1
	v_add_nc_u64_e32 v[8:9], 1, v[8:9]
	global_wb scope:SCOPE_SYS
	s_wait_loadcnt 0x0
	s_wait_storecnt 0x0
	flat_store_b64 v[40:41], v[8:9] scope:SCOPE_SYS
	s_branch .LBB12_948
.LBB12_1832:
	s_or_b32 exec_lo, exec_lo, s22
	s_clause 0x3
	scratch_load_b32 v23, off, s33 offset:316
	scratch_load_b32 v31, off, s33 offset:288
	scratch_load_b64 v[24:25], off, s33 offset:292
	scratch_load_b32 v10, off, s33 offset:300
.LBB12_1833:
	s_wait_xcnt 0x0
	s_or_b32 exec_lo, exec_lo, s20
.LBB12_1834:
	s_delay_alu instid0(SALU_CYCLE_1)
	s_or_b32 exec_lo, exec_lo, s19
                                        ; implicit-def: $vgpr0_vgpr1
                                        ; kill: killed $vgpr0_vgpr1
                                        ; implicit-def: $vgpr4_vgpr5
                                        ; implicit-def: $vgpr46_vgpr47
                                        ; implicit-def: $vgpr32_vgpr33
                                        ; implicit-def: $vgpr40_vgpr41
                                        ; implicit-def: $vgpr124
                                        ; implicit-def: $vgpr15
                                        ; implicit-def: $vgpr58_vgpr59
                                        ; implicit-def: $vgpr0_vgpr1
                                        ; kill: killed $vgpr0_vgpr1
                                        ; implicit-def: $vgpr0
	scratch_store_b64 off, v[0:1], s33 offset:256 ; 8-byte Folded Spill
.LBB12_1835:
	s_wait_xcnt 0x0
	s_and_not1_saveexec_b32 s11, s18
	s_cbranch_execz .LBB12_2040
; %bb.1836:
	v_mov_b64_e32 v[56:57], 0
	s_mov_b32 s12, exec_lo
	v_cmpx_ne_u64_e32 0, v[4:5]
	s_cbranch_execz .LBB12_2039
; %bb.1837:
	scratch_load_b64 v[0:1], off, s33 offset:256 ; 8-byte Folded Reload
	v_dual_mov_b32 v63, 0 :: v_dual_bitop2_b32 v30, 31, v124 bitop3:0x40
	s_wait_loadcnt 0x4
	v_dual_mov_b32 v117, v23 :: v_dual_lshrrev_b32 v72, 5, v23
	s_lshr_b32 s2, s17, 27
	s_delay_alu instid0(VALU_DEP_2) | instskip(SKIP_1) | instid1(VALU_DEP_3)
	v_mov_b32_e32 v73, v63
	v_cmp_eq_u32_e32 vcc_lo, 32, v23
	v_lshlrev_b32_e32 v42, 6, v72
	v_lshl_add_u32 v118, v72, 12, 0xfffff000
	v_lshrrev_b32_e32 v45, 5, v124
	v_lshl_add_u32 v78, v72, 10, 0xfffffc00
	v_mov_b64_e32 v[108:109], 0
	v_mov_b64_e32 v[56:57], 0
	v_ashrrev_i32_e32 v119, 31, v118
	v_cmp_ge_u32_e64 s1, v124, v23
	s_add_co_i32 s17, s17, s2
	v_cmp_ne_u32_e64 s2, 32, v23
	s_wait_loadcnt 0x1
	v_cmp_ne_u32_e64 s3, v23, v10
	v_add_nc_u64_e32 v[92:93], 0x1000, v[118:119]
	v_cmp_eq_u32_e64 s5, 0, v30
	v_cmp_lt_u32_e64 s6, v30, v15
	s_ashr_i32 s14, s17, 5
	s_mov_b32 s13, 0
	s_xor_b32 s15, vcc_lo, -1
	s_clause 0x1
	scratch_store_b32 off, v31, s33 offset:288
	scratch_store_b32 off, v10, s33 offset:300
	v_dual_mov_b32 v91, v63 :: v_dual_ashrrev_i32 v79, 31, v78
	v_mov_b32_e32 v43, 1
	s_delay_alu instid0(VALU_DEP_2)
	v_add_nc_u64_e32 v[104:105], 0x400, v[78:79]
	s_wait_loadcnt 0x0
	v_ashrrev_i32_e32 v1, 31, v0
	s_clause 0x1
	scratch_store_b64 off, v[0:1], s33 offset:256
	scratch_store_b64 off, v[24:25], s33 offset:292
	s_wait_xcnt 0x1
	v_dual_lshlrev_b32 v31, 9, v72 :: v_dual_bitop2_b32 v0, 31, v31 bitop3:0x40
	s_delay_alu instid0(VALU_DEP_1) | instskip(SKIP_1) | instid1(VALU_DEP_3)
	v_cmp_eq_u32_e64 s4, 0, v0
	v_lshlrev_b32_e32 v0, 4, v30
	v_add_nc_u32_e32 v76, 0xfffffe00, v31
	v_subrev_nc_u32_e32 v88, 64, v42
	s_delay_alu instid0(VALU_DEP_3)
	v_lshl_or_b32 v90, v45, 12, v0
	scratch_load_b64 v[0:1], off, s33 offset:272 ; 8-byte Folded Reload
	v_ashrrev_i32_e32 v77, 31, v76
	v_ashrrev_i32_e32 v89, 31, v88
	s_trap 2
	scratch_store_b64 off, v[32:33], s33 offset:280 ; 8-byte Folded Spill
	v_add_nc_u64_e32 v[94:95], 0x200, v[76:77]
	v_add_nc_u64_e32 v[106:107], 64, v[88:89]
	s_wait_loadcnt 0x0
	v_cmp_ne_u64_e64 s7, 0, v[0:1]
	s_branch .LBB12_1841
.LBB12_1838:                            ;   in Loop: Header=BB12_1841 Depth=1
	s_wait_xcnt 0x0
	s_or_b32 exec_lo, exec_lo, s17
	v_add_nc_u64_e32 v[8:9], 1, v[8:9]
	global_wb scope:SCOPE_SYS
	s_wait_storecnt 0x0
	s_wait_loadcnt_dscnt 0x0
	flat_store_b64 v[40:41], v[8:9] scope:SCOPE_SYS
.LBB12_1839:                            ;   in Loop: Header=BB12_1841 Depth=1
	s_wait_xcnt 0x0
	s_or_b32 exec_lo, exec_lo, s10
.LBB12_1840:                            ;   in Loop: Header=BB12_1841 Depth=1
	s_delay_alu instid0(SALU_CYCLE_1) | instskip(SKIP_1) | instid1(VALU_DEP_1)
	s_or_b32 exec_lo, exec_lo, s18
	v_add_nc_u64_e32 v[108:109], v[108:109], v[58:59]
	v_cmp_ge_u64_e32 vcc_lo, v[108:109], v[4:5]
	s_or_b32 s13, vcc_lo, s13
	s_delay_alu instid0(SALU_CYCLE_1)
	s_and_not1_b32 exec_lo, exec_lo, s13
	s_cbranch_execz .LBB12_2038
.LBB12_1841:                            ; =>This Loop Header: Depth=1
                                        ;     Child Loop BB12_1850 Depth 2
                                        ;     Child Loop BB12_1874 Depth 2
	;; [unrolled: 1-line block ×10, first 2 shown]
	v_sub_nc_u64_e32 v[0:1], v[4:5], v[108:109]
	s_delay_alu instid0(VALU_DEP_1) | instskip(NEXT) | instid1(VALU_DEP_1)
	v_min_u64 v[110:111], v[58:59], v[0:1]
	v_add_nc_u32_e32 v0, 15, v110
	s_delay_alu instid0(VALU_DEP_2) | instskip(NEXT) | instid1(VALU_DEP_2)
	v_cmp_eq_u64_e32 vcc_lo, 0, v[110:111]
	v_and_b32_e32 v0, 0x3ffffff0, v0
	s_or_b32 s17, s1, vcc_lo
	s_delay_alu instid0(SALU_CYCLE_1) | instskip(NEXT) | instid1(VALU_DEP_1)
	s_xor_b32 s10, s17, -1
	v_dual_mov_b32 v0, 0 :: v_dual_max_i32 v111, s14, v0
	s_wait_xcnt 0x0
	s_and_saveexec_b32 s18, s10
	s_cbranch_execz .LBB12_1989
; %bb.1842:                             ;   in Loop: Header=BB12_1841 Depth=1
	s_and_saveexec_b32 s10, s0
	s_cbranch_execz .LBB12_1844
; %bb.1843:                             ;   in Loop: Header=BB12_1841 Depth=1
	s_trap 2
	scratch_load_b64 v[2:3], off, s33 offset:264 ; 8-byte Folded Reload
	ds_load_b64 v[0:1], v0
	s_wait_loadcnt_dscnt 0x0
	v_lshl_add_u64 v[0:1], v[2:3], 1, v[0:1]
	v_mov_b64_e32 v[2:3], 0
	s_delay_alu instid0(VALU_DEP_2)
	v_lshl_add_u64 v[0:1], v[108:109], 1, v[0:1]
	ds_store_b64 v0, v[0:1]
	ds_store_b64 v0, v[2:3]
.LBB12_1844:                            ;   in Loop: Header=BB12_1841 Depth=1
	s_wait_xcnt 0x0
	s_or_b32 exec_lo, exec_lo, s10
	v_and_b32_e32 v0, 8, v126
	v_min_u32_e32 v111, v111, v110
	s_mov_b32 s19, exec_lo
	s_delay_alu instid0(VALU_DEP_2)
	v_cmpx_ne_u32_e32 0, v0
	s_cbranch_execz .LBB12_1866
; %bb.1845:                             ;   in Loop: Header=BB12_1841 Depth=1
	s_wait_loadcnt 0x0
	v_add_nc_u64_e32 v[0:1], 8, v[46:47]
	v_add_nc_u64_e32 v[2:3], 1, v[8:9]
	s_mov_b32 s20, exec_lo
	s_delay_alu instid0(VALU_DEP_1)
	v_cmpx_lt_u64_e64 v[0:1], v[2:3]
	s_cbranch_execz .LBB12_1857
; %bb.1846:                             ;   in Loop: Header=BB12_1841 Depth=1
	v_and_b32_e32 v0, 64, v126
	s_mov_b32 s21, 0
	s_mov_b32 s25, 0
                                        ; implicit-def: $sgpr22
                                        ; implicit-def: $sgpr23
                                        ; implicit-def: $sgpr24
	s_delay_alu instid0(VALU_DEP_1)
	v_cmp_eq_u32_e32 vcc_lo, 0, v0
	s_branch .LBB12_1850
.LBB12_1847:                            ;   in Loop: Header=BB12_1850 Depth=2
	s_wait_loadcnt_dscnt 0x0
	v_add_nc_u64_e32 v[10:11], 8, v[46:47]
	s_or_b32 s28, s28, exec_lo
	s_delay_alu instid0(VALU_DEP_1)
	v_cmp_ge_u64_e64 s10, v[10:11], v[2:3]
	s_or_not1_b32 s27, s10, exec_lo
.LBB12_1848:                            ;   in Loop: Header=BB12_1850 Depth=2
	s_or_b32 exec_lo, exec_lo, s40
	s_delay_alu instid0(SALU_CYCLE_1)
	s_and_not1_b32 s10, s24, exec_lo
	s_and_b32 s24, s28, exec_lo
	s_and_not1_b32 s23, s23, exec_lo
	s_and_b32 s27, s27, exec_lo
	s_or_b32 s24, s10, s24
	s_or_b32 s23, s23, s27
.LBB12_1849:                            ;   in Loop: Header=BB12_1850 Depth=2
	s_or_b32 exec_lo, exec_lo, s26
	s_delay_alu instid0(SALU_CYCLE_1) | instskip(NEXT) | instid1(SALU_CYCLE_1)
	s_and_b32 s10, exec_lo, s23
	s_or_b32 s21, s10, s21
	s_and_not1_b32 s10, s22, exec_lo
	s_and_b32 s22, s24, exec_lo
	s_delay_alu instid0(SALU_CYCLE_1)
	s_or_b32 s22, s10, s22
	s_and_not1_b32 exec_lo, exec_lo, s21
	s_cbranch_execz .LBB12_1854
.LBB12_1850:                            ;   Parent Loop BB12_1841 Depth=1
                                        ; =>  This Inner Loop Header: Depth=2
	s_sleep 1
	s_wait_loadcnt_dscnt 0x0
	flat_load_b64 v[46:47], v[40:41] scope:SCOPE_SYS
	s_or_b32 s24, s24, exec_lo
	s_or_b32 s23, s23, exec_lo
                                        ; implicit-def: $vgpr0
	s_wait_xcnt 0x0
	s_and_saveexec_b32 s26, vcc_lo
	s_cbranch_execz .LBB12_1849
; %bb.1851:                             ;   in Loop: Header=BB12_1850 Depth=2
	s_cmp_lt_i32 s25, 0x270f
	s_mov_b32 s27, -1
	s_cselect_b32 s29, -1, 0
	s_cmp_gt_i32 s25, 0x270e
	s_cbranch_scc0 .LBB12_1853
; %bb.1852:                             ;   in Loop: Header=BB12_1850 Depth=2
	s_trap 2
	ds_load_b64 v[0:1], v0
	s_and_not1_b32 s25, s29, exec_lo
	s_mov_b32 s28, 0
	s_wait_storecnt 0x0
	s_wait_loadcnt_dscnt 0x0
	flat_load_b32 v0, v[0:1] scope:SCOPE_SYS
	s_wait_loadcnt_dscnt 0x0
	global_inv scope:SCOPE_SYS
	v_cmp_eq_u32_e64 s10, 0, v0
	s_and_b32 s10, s10, exec_lo
	s_delay_alu instid0(SALU_CYCLE_1)
	s_or_b32 s29, s25, s10
	s_mov_b32 s25, 0
	s_wait_xcnt 0x0
	s_and_saveexec_b32 s40, s29
	s_cbranch_execz .LBB12_1848
	s_branch .LBB12_1847
.LBB12_1853:                            ;   in Loop: Header=BB12_1850 Depth=2
	s_add_co_i32 s25, s25, 1
	s_mov_b32 s28, -1
                                        ; implicit-def: $vgpr0
	s_and_saveexec_b32 s40, s29
	s_cbranch_execz .LBB12_1848
	s_branch .LBB12_1847
.LBB12_1854:                            ;   in Loop: Header=BB12_1841 Depth=1
	s_or_b32 exec_lo, exec_lo, s21
	s_xor_b32 s10, s22, -1
	s_delay_alu instid0(SALU_CYCLE_1) | instskip(NEXT) | instid1(SALU_CYCLE_1)
	s_and_saveexec_b32 s21, s10
	s_xor_b32 s10, exec_lo, s21
	s_cbranch_execz .LBB12_1856
; %bb.1855:                             ;   in Loop: Header=BB12_1841 Depth=1
	v_or_b32_e32 v126, 64, v126
	s_wait_storecnt 0x0
	s_wait_loadcnt_dscnt 0x0
	ds_store_b32 v0, v0
	s_trap 2
.LBB12_1856:                            ;   in Loop: Header=BB12_1841 Depth=1
	s_or_b32 exec_lo, exec_lo, s10
.LBB12_1857:                            ;   in Loop: Header=BB12_1841 Depth=1
	s_delay_alu instid0(SALU_CYCLE_1)
	s_or_b32 exec_lo, exec_lo, s20
	v_and_b32_e32 v0, 0x100, v126
	v_and_b32_e32 v62, 7, v8
	s_mov_b32 s10, -1
	s_mov_b32 s20, exec_lo
	;;#ASMSTART
	s_wakeup
	;;#ASMEND
                                        ; implicit-def: $vgpr8_vgpr9
	v_cmpx_ne_u32_e32 0, v0
	s_cbranch_execz .LBB12_1861
; %bb.1858:                             ;   in Loop: Header=BB12_1841 Depth=1
	v_mad_nc_u64_u32 v[10:11], v62, 24, v[6:7]
	v_dual_mov_b32 v1, v63 :: v_dual_lshlrev_b32 v0, 1, v111
	s_clause 0x1
	flat_load_b32 v8, v[10:11]
	flat_store_b64 v[10:11], v[0:1] offset:8
	s_wait_loadcnt_dscnt 0x1
	v_cmp_eq_u32_e64 s10, 1, v8
	v_cmp_ne_u32_e32 vcc_lo, 1, v8
                                        ; implicit-def: $vgpr8_vgpr9
	s_wait_xcnt 0x0
	s_and_saveexec_b32 s21, s10
	s_cbranch_execz .LBB12_1860
; %bb.1859:                             ;   in Loop: Header=BB12_1841 Depth=1
	flat_load_b32 v0, v[10:11] offset:4 scope:SCOPE_SYS
	s_wait_loadcnt_dscnt 0x0
	v_ashrrev_i32_e32 v1, 31, v0
	s_delay_alu instid0(VALU_DEP_1)
	v_lshrrev_b64 v[8:9], 1, v[0:1]
.LBB12_1860:                            ;   in Loop: Header=BB12_1841 Depth=1
	s_wait_xcnt 0x0
	s_or_b32 exec_lo, exec_lo, s21
	s_delay_alu instid0(SALU_CYCLE_1)
	s_or_not1_b32 s10, vcc_lo, exec_lo
.LBB12_1861:                            ;   in Loop: Header=BB12_1841 Depth=1
	s_or_b32 exec_lo, exec_lo, s20
	s_and_saveexec_b32 s20, s10
	s_cbranch_execz .LBB12_1863
; %bb.1862:                             ;   in Loop: Header=BB12_1841 Depth=1
	scratch_load_b64 v[0:1], off, s33 offset:256 ; 8-byte Folded Reload
	s_wait_loadcnt 0x0
	v_mul_u64_e32 v[8:9], v[62:63], v[0:1]
.LBB12_1863:                            ;   in Loop: Header=BB12_1841 Depth=1
	s_wait_xcnt 0x0
	s_or_b32 exec_lo, exec_lo, s20
	v_and_b32_e32 v10, 0x2000, v126
	s_delay_alu instid0(VALU_DEP_2)
	v_lshl_add_u64 v[0:1], v[8:9], 1, v[32:33]
	s_mov_b32 s10, exec_lo
	ds_store_b64 v0, v[0:1] offset:784
	v_cmpx_ne_u32_e32 0, v10
	s_cbranch_execz .LBB12_1865
; %bb.1864:                             ;   in Loop: Header=BB12_1841 Depth=1
	ds_load_b64 v[0:1], v0 offset:872
	s_wait_dscnt 0x0
	v_add_nc_u64_e32 v[0:1], 1, v[0:1]
	ds_store_b64 v0, v[0:1] offset:872
.LBB12_1865:                            ;   in Loop: Header=BB12_1841 Depth=1
	s_or_b32 exec_lo, exec_lo, s10
	v_mov_b64_e32 v[8:9], v[2:3]
.LBB12_1866:                            ;   in Loop: Header=BB12_1841 Depth=1
	s_or_b32 exec_lo, exec_lo, s19
	s_and_saveexec_b32 s10, s2
	s_cbranch_execz .LBB12_1885
; %bb.1867:                             ;   in Loop: Header=BB12_1841 Depth=1
	s_and_saveexec_b32 s19, s3
	s_delay_alu instid0(SALU_CYCLE_1)
	s_xor_b32 s19, exec_lo, s19
	s_cbranch_execz .LBB12_1882
; %bb.1868:                             ;   in Loop: Header=BB12_1841 Depth=1
	s_and_saveexec_b32 s20, s4
	s_cbranch_execz .LBB12_1881
; %bb.1869:                             ;   in Loop: Header=BB12_1841 Depth=1
	s_mov_b32 s22, exec_lo
	s_mov_b32 s21, exec_lo
	v_mbcnt_lo_u32_b32 v0, s22, 0
	global_wb scope:SCOPE_DEV
	s_wait_storecnt 0x0
	s_wait_loadcnt_dscnt 0x0
	global_inv scope:SCOPE_DEV
	v_cmpx_eq_u32_e32 0, v0
	s_cbranch_execz .LBB12_1871
; %bb.1870:                             ;   in Loop: Header=BB12_1841 Depth=1
	s_bcnt1_i32_b32 s22, s22
	s_delay_alu instid0(SALU_CYCLE_1)
	v_mov_b32_e32 v62, s22
	s_wait_loadcnt 0x0
	ds_add_u64 v0, v[62:63]
	s_trap 2
.LBB12_1871:                            ;   in Loop: Header=BB12_1841 Depth=1
	s_or_b32 exec_lo, exec_lo, s21
	s_trap 2
	ds_load_b64 v[0:1], v0
	s_wait_dscnt 0x0
	v_add_nc_u64_e32 v[56:57], v[56:57], v[72:73]
	s_mov_b32 s21, exec_lo
	s_delay_alu instid0(VALU_DEP_1)
	v_cmpx_lt_u64_e64 v[0:1], v[56:57]
	s_cbranch_execz .LBB12_1880
; %bb.1872:                             ;   in Loop: Header=BB12_1841 Depth=1
	s_mov_b32 s22, 0
	s_mov_b32 s25, 0
                                        ; implicit-def: $sgpr23
                                        ; implicit-def: $sgpr24
	s_branch .LBB12_1874
.LBB12_1873:                            ;   in Loop: Header=BB12_1874 Depth=2
	s_or_b32 exec_lo, exec_lo, s27
	s_delay_alu instid0(SALU_CYCLE_1) | instskip(NEXT) | instid1(SALU_CYCLE_1)
	s_and_b32 s26, exec_lo, s28
	s_or_b32 s22, s26, s22
	s_and_not1_b32 s23, s23, exec_lo
	s_and_b32 s26, s24, exec_lo
	s_delay_alu instid0(SALU_CYCLE_1)
	s_or_b32 s23, s23, s26
	s_and_not1_b32 exec_lo, exec_lo, s22
	s_cbranch_execz .LBB12_1878
.LBB12_1874:                            ;   Parent Loop BB12_1841 Depth=1
                                        ; =>  This Inner Loop Header: Depth=2
	s_add_co_i32 s25, s25, 1
	s_delay_alu instid0(SALU_CYCLE_1) | instskip(SKIP_1) | instid1(SALU_CYCLE_1)
	s_cmp_lg_u32 s25, 0x2710
	s_cselect_b32 s26, -1, 0
	s_and_b32 vcc_lo, exec_lo, s26
	s_cbranch_vccz .LBB12_1876
; %bb.1875:                             ;   in Loop: Header=BB12_1874 Depth=2
	s_mov_b32 s28, -1
	s_or_b32 s24, s24, exec_lo
	s_and_saveexec_b32 s27, s26
	s_cbranch_execz .LBB12_1873
	s_branch .LBB12_1877
.LBB12_1876:                            ;   in Loop: Header=BB12_1874 Depth=2
	s_trap 2
	ds_load_b64 v[0:1], v0
	s_and_not1_b32 s26, s26, exec_lo
	s_mov_b32 s25, 0
	s_wait_loadcnt_dscnt 0x0
	flat_load_b32 v0, v[0:1] scope:SCOPE_SYS
	s_wait_loadcnt_dscnt 0x0
	global_inv scope:SCOPE_SYS
	v_cmp_eq_u32_e32 vcc_lo, 0, v0
	s_and_b32 s27, vcc_lo, exec_lo
	s_delay_alu instid0(SALU_CYCLE_1)
	s_or_b32 s26, s26, s27
	s_mov_b32 s28, -1
	s_or_b32 s24, s24, exec_lo
	s_wait_xcnt 0x0
	s_and_saveexec_b32 s27, s26
	s_cbranch_execz .LBB12_1873
.LBB12_1877:                            ;   in Loop: Header=BB12_1874 Depth=2
	s_sleep 1
	s_trap 2
	ds_load_b64 v[0:1], v0
	s_wait_dscnt 0x0
	s_and_not1_b32 s24, s24, exec_lo
	v_cmp_ge_u64_e32 vcc_lo, v[0:1], v[56:57]
	s_or_not1_b32 s28, vcc_lo, exec_lo
	s_branch .LBB12_1873
.LBB12_1878:                            ;   in Loop: Header=BB12_1841 Depth=1
	s_or_b32 exec_lo, exec_lo, s22
	s_and_saveexec_b32 s22, s23
	s_delay_alu instid0(SALU_CYCLE_1)
	s_xor_b32 s22, exec_lo, s22
	s_cbranch_execz .LBB12_1880
; %bb.1879:                             ;   in Loop: Header=BB12_1841 Depth=1
	ds_store_b32 v0, v43
	s_trap 2
.LBB12_1880:                            ;   in Loop: Header=BB12_1841 Depth=1
	s_or_b32 exec_lo, exec_lo, s21
	;;#ASMSTART
	s_wakeup
	;;#ASMEND
.LBB12_1881:                            ;   in Loop: Header=BB12_1841 Depth=1
	s_or_b32 exec_lo, exec_lo, s20
.LBB12_1882:                            ;   in Loop: Header=BB12_1841 Depth=1
	s_and_not1_saveexec_b32 s19, s19
	s_cbranch_execz .LBB12_1884
; %bb.1883:                             ;   in Loop: Header=BB12_1841 Depth=1
	global_wb scope:SCOPE_DEV
	s_wait_storecnt 0x0
	s_wait_loadcnt_dscnt 0x0
	global_inv scope:SCOPE_DEV
	s_barrier_signal -1
	s_barrier_wait -1
.LBB12_1884:                            ;   in Loop: Header=BB12_1841 Depth=1
	s_or_b32 exec_lo, exec_lo, s19
.LBB12_1885:                            ;   in Loop: Header=BB12_1841 Depth=1
	s_delay_alu instid0(SALU_CYCLE_1) | instskip(SKIP_3) | instid1(VALU_DEP_1)
	s_or_b32 exec_lo, exec_lo, s10
	s_trap 2
	ds_load_b32 v0, v0
	v_and_b32_e32 v1, 0x4000, v126
	v_cmp_ne_u32_e32 vcc_lo, 0, v1
	s_and_b32 s19, s15, vcc_lo
	s_delay_alu instid0(SALU_CYCLE_1)
	s_and_saveexec_b32 s10, s19
	s_cbranch_execz .LBB12_1904
; %bb.1886:                             ;   in Loop: Header=BB12_1841 Depth=1
	s_and_saveexec_b32 s19, s3
	s_delay_alu instid0(SALU_CYCLE_1)
	s_xor_b32 s19, exec_lo, s19
	s_cbranch_execz .LBB12_1901
; %bb.1887:                             ;   in Loop: Header=BB12_1841 Depth=1
	s_and_saveexec_b32 s20, s4
	s_cbranch_execz .LBB12_1900
; %bb.1888:                             ;   in Loop: Header=BB12_1841 Depth=1
	s_mov_b32 s22, exec_lo
	s_mov_b32 s21, exec_lo
	v_mbcnt_lo_u32_b32 v1, s22, 0
	global_wb scope:SCOPE_DEV
	s_wait_storecnt 0x0
	s_wait_loadcnt_dscnt 0x0
	global_inv scope:SCOPE_DEV
	v_cmpx_eq_u32_e32 0, v1
	s_cbranch_execz .LBB12_1890
; %bb.1889:                             ;   in Loop: Header=BB12_1841 Depth=1
	s_bcnt1_i32_b32 s22, s22
	s_delay_alu instid0(SALU_CYCLE_1)
	v_mov_b32_e32 v62, s22
	s_wait_loadcnt 0x0
	ds_add_u64 v0, v[62:63]
	s_trap 2
.LBB12_1890:                            ;   in Loop: Header=BB12_1841 Depth=1
	s_or_b32 exec_lo, exec_lo, s21
	s_trap 2
	ds_load_b64 v[2:3], v0
	s_wait_dscnt 0x0
	v_add_nc_u64_e32 v[56:57], v[56:57], v[72:73]
	s_mov_b32 s21, exec_lo
	s_delay_alu instid0(VALU_DEP_1)
	v_cmpx_lt_u64_e64 v[2:3], v[56:57]
	s_cbranch_execz .LBB12_1899
; %bb.1891:                             ;   in Loop: Header=BB12_1841 Depth=1
	s_mov_b32 s22, 0
	s_mov_b32 s25, 0
                                        ; implicit-def: $sgpr23
                                        ; implicit-def: $sgpr24
	s_branch .LBB12_1893
.LBB12_1892:                            ;   in Loop: Header=BB12_1893 Depth=2
	s_or_b32 exec_lo, exec_lo, s27
	s_delay_alu instid0(SALU_CYCLE_1) | instskip(NEXT) | instid1(SALU_CYCLE_1)
	s_and_b32 s26, exec_lo, s28
	s_or_b32 s22, s26, s22
	s_and_not1_b32 s23, s23, exec_lo
	s_and_b32 s26, s24, exec_lo
	s_delay_alu instid0(SALU_CYCLE_1)
	s_or_b32 s23, s23, s26
	s_and_not1_b32 exec_lo, exec_lo, s22
	s_cbranch_execz .LBB12_1897
.LBB12_1893:                            ;   Parent Loop BB12_1841 Depth=1
                                        ; =>  This Inner Loop Header: Depth=2
	s_add_co_i32 s25, s25, 1
	s_delay_alu instid0(SALU_CYCLE_1) | instskip(SKIP_1) | instid1(SALU_CYCLE_1)
	s_cmp_lg_u32 s25, 0x2710
	s_cselect_b32 s26, -1, 0
	s_and_b32 vcc_lo, exec_lo, s26
	s_cbranch_vccz .LBB12_1895
; %bb.1894:                             ;   in Loop: Header=BB12_1893 Depth=2
	s_mov_b32 s28, -1
	s_or_b32 s24, s24, exec_lo
	s_and_saveexec_b32 s27, s26
	s_cbranch_execz .LBB12_1892
	s_branch .LBB12_1896
.LBB12_1895:                            ;   in Loop: Header=BB12_1893 Depth=2
	s_trap 2
	ds_load_b64 v[2:3], v0
	s_and_not1_b32 s26, s26, exec_lo
	s_mov_b32 s25, 0
	s_wait_loadcnt_dscnt 0x0
	flat_load_b32 v1, v[2:3] scope:SCOPE_SYS
	s_wait_loadcnt_dscnt 0x0
	global_inv scope:SCOPE_SYS
	v_cmp_eq_u32_e32 vcc_lo, 0, v1
	s_and_b32 s27, vcc_lo, exec_lo
	s_delay_alu instid0(SALU_CYCLE_1)
	s_or_b32 s26, s26, s27
	s_mov_b32 s28, -1
	s_or_b32 s24, s24, exec_lo
	s_wait_xcnt 0x0
	s_and_saveexec_b32 s27, s26
	s_cbranch_execz .LBB12_1892
.LBB12_1896:                            ;   in Loop: Header=BB12_1893 Depth=2
	s_sleep 1
	s_trap 2
	ds_load_b64 v[2:3], v0
	s_wait_dscnt 0x0
	s_and_not1_b32 s24, s24, exec_lo
	v_cmp_ge_u64_e32 vcc_lo, v[2:3], v[56:57]
	s_or_not1_b32 s28, vcc_lo, exec_lo
	s_branch .LBB12_1892
.LBB12_1897:                            ;   in Loop: Header=BB12_1841 Depth=1
	s_or_b32 exec_lo, exec_lo, s22
	s_and_saveexec_b32 s22, s23
	s_delay_alu instid0(SALU_CYCLE_1)
	s_xor_b32 s22, exec_lo, s22
	s_cbranch_execz .LBB12_1899
; %bb.1898:                             ;   in Loop: Header=BB12_1841 Depth=1
	ds_store_b32 v0, v43
	s_trap 2
.LBB12_1899:                            ;   in Loop: Header=BB12_1841 Depth=1
	s_or_b32 exec_lo, exec_lo, s21
	;;#ASMSTART
	s_wakeup
	;;#ASMEND
.LBB12_1900:                            ;   in Loop: Header=BB12_1841 Depth=1
	s_or_b32 exec_lo, exec_lo, s20
.LBB12_1901:                            ;   in Loop: Header=BB12_1841 Depth=1
	s_and_not1_saveexec_b32 s19, s19
	s_cbranch_execz .LBB12_1903
; %bb.1902:                             ;   in Loop: Header=BB12_1841 Depth=1
	global_wb scope:SCOPE_DEV
	s_wait_storecnt 0x0
	s_wait_loadcnt_dscnt 0x0
	global_inv scope:SCOPE_DEV
	s_barrier_signal -1
	s_barrier_wait -1
.LBB12_1903:                            ;   in Loop: Header=BB12_1841 Depth=1
	s_or_b32 exec_lo, exec_lo, s19
.LBB12_1904:                            ;   in Loop: Header=BB12_1841 Depth=1
	s_delay_alu instid0(SALU_CYCLE_1)
	s_or_b32 exec_lo, exec_lo, s10
	s_trap 2
	s_wait_dscnt 0x0
	ds_load_b64 v[2:3], v0
	s_wait_dscnt 0x0
	v_cmp_eq_u64_e32 vcc_lo, 0, v[2:3]
	s_cbranch_vccnz .LBB12_1912
; %bb.1905:                             ;   in Loop: Header=BB12_1841 Depth=1
	s_trap 2
	ds_load_b64 v[120:121], v0
	s_wait_dscnt 0x0
	v_cmp_eq_u64_e32 vcc_lo, 0, v[120:121]
	s_cbranch_vccnz .LBB12_1912
; %bb.1906:                             ;   in Loop: Header=BB12_1841 Depth=1
	s_mov_b32 s10, -1
	s_and_saveexec_b32 s19, s5
	s_cbranch_execz .LBB12_1908
; %bb.1907:                             ;   in Loop: Header=BB12_1841 Depth=1
	ds_load_b32 v1, v0 offset:720
	s_wait_dscnt 0x0
	v_and_b32_e32 v1, 15, v1
	s_delay_alu instid0(VALU_DEP_1)
	v_cmp_eq_u32_e32 vcc_lo, 0, v1
	s_or_not1_b32 s10, vcc_lo, exec_lo
.LBB12_1908:                            ;   in Loop: Header=BB12_1841 Depth=1
	s_or_b32 exec_lo, exec_lo, s19
	s_and_saveexec_b32 s19, s6
	s_cbranch_execz .LBB12_1910
; %bb.1909:                             ;   in Loop: Header=BB12_1841 Depth=1
	ds_load_b32 v1, v0 offset:784
	s_wait_dscnt 0x0
	v_and_b32_e32 v1, 15, v1
	s_delay_alu instid0(VALU_DEP_1) | instskip(SKIP_3) | instid1(SALU_CYCLE_1)
	v_cmp_eq_u32_e32 vcc_lo, 0, v1
	s_and_b32 s20, s10, vcc_lo
	s_and_not1_b32 s10, s10, exec_lo
	s_and_b32 s20, s20, exec_lo
	s_or_b32 s10, s10, s20
.LBB12_1910:                            ;   in Loop: Header=BB12_1841 Depth=1
	s_or_b32 exec_lo, exec_lo, s19
	s_xor_b32 s10, s10, -1
	s_mov_b32 s20, -1
	v_cndmask_b32_e64 v1, 0, 1, s10
	v_cmp_eq_u32_e64 s10, 0, v0
	s_delay_alu instid0(VALU_DEP_2)
	v_cmp_ne_u32_e32 vcc_lo, 0, v1
	s_cbranch_vccz .LBB12_1913
; %bb.1911:                             ;   in Loop: Header=BB12_1841 Depth=1
	s_mov_b32 s20, 0
	s_mov_b32 s19, -1
	s_branch .LBB12_1914
.LBB12_1912:                            ;   in Loop: Header=BB12_1841 Depth=1
	s_mov_b32 s10, 0
	s_and_saveexec_b32 s19, s2
	s_cbranch_execnz .LBB12_1964
	s_branch .LBB12_1982
.LBB12_1913:                            ;   in Loop: Header=BB12_1841 Depth=1
	s_mov_b32 s19, 0
.LBB12_1914:                            ;   in Loop: Header=BB12_1841 Depth=1
	v_dual_cndmask_b32 v62, 0, v111, s10 :: v_dual_mov_b32 v0, 0
	s_and_not1_b32 vcc_lo, exec_lo, s20
	s_delay_alu instid0(VALU_DEP_1)
	v_lshlrev_b32_e32 v60, 1, v62
	s_cbranch_vccnz .LBB12_1922
; %bb.1915:                             ;   in Loop: Header=BB12_1841 Depth=1
	v_lshrrev_b32_e32 v0, 11, v62
	v_add_nc_u64_e32 v[122:123], v[120:121], v[90:91]
	s_mov_b32 s20, 0
	s_mov_b32 s10, exec_lo
                                        ; implicit-def: $vgpr10_vgpr11
                                        ; implicit-def: $vgpr14_vgpr15
                                        ; implicit-def: $vgpr18_vgpr19
                                        ; implicit-def: $vgpr22_vgpr23
                                        ; implicit-def: $vgpr26_vgpr27
                                        ; implicit-def: $vgpr32_vgpr33
                                        ; implicit-def: $vgpr36_vgpr37
                                        ; implicit-def: $vgpr48_vgpr49
	s_delay_alu instid0(VALU_DEP_2) | instskip(NEXT) | instid1(VALU_DEP_1)
	v_sub_nc_u32_e32 v44, v0, v45
	v_cmpx_lt_i32_e32 0, v44
	s_cbranch_execz .LBB12_1924
; %bb.1916:                             ;   in Loop: Header=BB12_1841 Depth=1
	v_mov_b32_e32 v61, v124
	v_add_nc_u64_e32 v[124:125], v[2:3], v[90:91]
	s_mov_b32 s22, 0
                                        ; implicit-def: $sgpr21
                                        ; implicit-def: $vgpr10_vgpr11
                                        ; implicit-def: $vgpr14_vgpr15
                                        ; implicit-def: $vgpr18_vgpr19
                                        ; implicit-def: $vgpr22_vgpr23
                                        ; implicit-def: $vgpr26_vgpr27
                                        ; implicit-def: $vgpr32_vgpr33
                                        ; implicit-def: $vgpr36_vgpr37
                                        ; implicit-def: $vgpr48_vgpr49
	s_branch .LBB12_1918
.LBB12_1917:                            ;   in Loop: Header=BB12_1918 Depth=2
	s_or_b32 exec_lo, exec_lo, s23
	s_delay_alu instid0(VALU_DEP_1)
	v_sub_nc_u32_e32 v44, v1, v116
	s_wait_loadcnt 0x7
	global_store_b128 v[122:123], v[100:103], off th:TH_STORE_NT
	s_wait_loadcnt 0x6
	global_store_b128 v[122:123], v[112:115], off offset:512 th:TH_STORE_NT
	s_wait_xcnt 0x1
	v_add_nc_u64_e32 v[100:101], v[122:123], v[74:75]
	s_wait_loadcnt 0x5
	global_store_b128 v[122:123], v[68:71], off offset:1024 th:TH_STORE_NT
	s_wait_loadcnt 0x4
	global_store_b128 v[122:123], v[80:83], off offset:1536 th:TH_STORE_NT
	;; [unrolled: 2-line block ×6, first 2 shown]
	v_cmp_gt_i32_e32 vcc_lo, 1, v44
	v_add_nc_u64_e32 v[124:125], v[124:125], v[74:75]
	s_wait_xcnt 0x0
	v_add_nc_u64_e32 v[122:123], 0x1000, v[100:101]
	s_or_b32 s20, vcc_lo, s20
	s_and_not1_b32 s21, s21, exec_lo
	s_and_b32 s23, s22, exec_lo
	s_delay_alu instid0(SALU_CYCLE_1)
	s_or_b32 s21, s21, s23
	s_and_not1_b32 exec_lo, exec_lo, s20
	s_cbranch_execz .LBB12_1923
.LBB12_1918:                            ;   Parent Loop BB12_1841 Depth=1
                                        ; =>  This Inner Loop Header: Depth=2
	s_clause 0x7
	global_load_b128 v[100:103], v[124:125], off th:TH_LOAD_NT
	global_load_b128 v[112:115], v[124:125], off offset:512 th:TH_LOAD_NT
	global_load_b128 v[68:71], v[124:125], off offset:1024 th:TH_LOAD_NT
	;; [unrolled: 1-line block ×7, first 2 shown]
	s_wait_xcnt 0x0
	s_and_saveexec_b32 s23, s22
	s_cbranch_execz .LBB12_1920
; %bb.1919:                             ;   in Loop: Header=BB12_1918 Depth=2
	s_clause 0x4
	global_store_b128 v[122:123], v[10:13], off th:TH_STORE_NT
	global_store_b128 v[122:123], v[14:17], off offset:512 th:TH_STORE_NT
	global_store_b128 v[122:123], v[18:21], off offset:1024 th:TH_STORE_NT
	;; [unrolled: 1-line block ×4, first 2 shown]
	s_wait_loadcnt 0x8
	s_clause 0x2
	global_store_b128 v[122:123], v[32:35], off offset:2560 th:TH_STORE_NT
	global_store_b128 v[122:123], v[36:39], off offset:3072 th:TH_STORE_NT
	;; [unrolled: 1-line block ×3, first 2 shown]
	s_wait_xcnt 0x0
	v_add_nc_u64_e32 v[122:123], v[122:123], v[92:93]
.LBB12_1920:                            ;   in Loop: Header=BB12_1918 Depth=2
	s_or_b32 exec_lo, exec_lo, s23
	v_dual_mov_b32 v116, 0 :: v_dual_sub_nc_u32 v1, v44, v72
	v_add_nc_u64_e32 v[124:125], v[124:125], v[92:93]
	v_mov_b64_e32 v[74:75], 0
	s_delay_alu instid0(VALU_DEP_3)
	v_cmp_lt_i32_e64 s22, 0, v1
	s_and_saveexec_b32 s23, s22
	s_cbranch_execz .LBB12_1917
; %bb.1921:                             ;   in Loop: Header=BB12_1918 Depth=2
	s_clause 0x4
	global_load_b128 v[10:13], v[124:125], off th:TH_LOAD_NT
	global_load_b128 v[14:17], v[124:125], off offset:512 th:TH_LOAD_NT
	global_load_b128 v[18:21], v[124:125], off offset:1024 th:TH_LOAD_NT
	;; [unrolled: 1-line block ×4, first 2 shown]
	s_wait_loadcnt 0xd
	s_clause 0x2
	global_load_b128 v[32:35], v[124:125], off offset:2560 th:TH_LOAD_NT
	global_load_b128 v[36:39], v[124:125], off offset:3072 th:TH_LOAD_NT
	;; [unrolled: 1-line block ×3, first 2 shown]
	s_wait_xcnt 0x0
	v_add_nc_u64_e32 v[124:125], 0x1000, v[124:125]
	v_mov_b64_e32 v[74:75], v[118:119]
	v_mov_b32_e32 v116, v72
	s_branch .LBB12_1917
.LBB12_1922:                            ;   in Loop: Header=BB12_1841 Depth=1
	v_dual_mov_b32 v10, v124 :: v_dual_mov_b32 v1, v30
	s_and_saveexec_b32 s10, s19
	s_cbranch_execnz .LBB12_1943
	s_branch .LBB12_1963
.LBB12_1923:                            ;   in Loop: Header=BB12_1841 Depth=1
	s_or_b32 exec_lo, exec_lo, s20
	v_mov_b32_e32 v124, v61
	s_and_b32 s20, s21, exec_lo
.LBB12_1924:                            ;   in Loop: Header=BB12_1841 Depth=1
	s_or_b32 exec_lo, exec_lo, s10
	s_and_saveexec_b32 s10, s20
	s_cbranch_execz .LBB12_1926
; %bb.1925:                             ;   in Loop: Header=BB12_1841 Depth=1
	s_clause 0x4
	global_store_b128 v[122:123], v[10:13], off th:TH_STORE_NT
	global_store_b128 v[122:123], v[14:17], off offset:512 th:TH_STORE_NT
	global_store_b128 v[122:123], v[18:21], off offset:1024 th:TH_STORE_NT
	;; [unrolled: 1-line block ×4, first 2 shown]
	s_wait_loadcnt 0x0
	s_clause 0x2
	global_store_b128 v[122:123], v[32:35], off offset:2560 th:TH_STORE_NT
	global_store_b128 v[122:123], v[36:39], off offset:3072 th:TH_STORE_NT
	;; [unrolled: 1-line block ×3, first 2 shown]
.LBB12_1926:                            ;   in Loop: Header=BB12_1841 Depth=1
	s_wait_xcnt 0x0
	s_or_b32 exec_lo, exec_lo, s10
	v_lshlrev_b32_e32 v22, 12, v0
                                        ; implicit-def: $vgpr0
                                        ; implicit-def: $vgpr10
                                        ; implicit-def: $vgpr1
	s_delay_alu instid0(VALU_DEP_1)
	v_cmp_ne_u32_e32 vcc_lo, v60, v22
	s_mov_b32 s20, exec_lo
	s_wait_loadcnt 0x0
	scratch_load_b64 v[32:33], off, s33 offset:280 ; 8-byte Folded Reload
	s_and_b32 s10, s20, vcc_lo
	s_wait_xcnt 0x0
	s_mov_b32 exec_lo, s10
	s_cbranch_execz .LBB12_1942
; %bb.1927:                             ;   in Loop: Header=BB12_1841 Depth=1
	v_lshlrev_b32_e32 v0, 5, v44
	s_mov_b32 s22, 0
	s_mov_b32 s21, exec_lo
	s_delay_alu instid0(VALU_DEP_1) | instskip(NEXT) | instid1(VALU_DEP_1)
	v_dual_sub_nc_u32 v10, v60, v22 :: v_dual_sub_nc_u32 v0, v30, v0
	v_dual_ashrrev_i32 v12, 31, v10 :: v_dual_ashrrev_i32 v1, 31, v0
	s_delay_alu instid0(VALU_DEP_1) | instskip(NEXT) | instid1(VALU_DEP_1)
	v_lshrrev_b32_e32 v1, 27, v1
	v_add_nc_u32_e32 v1, v0, v1
	s_delay_alu instid0(VALU_DEP_1) | instskip(NEXT) | instid1(VALU_DEP_1)
	v_and_b32_e32 v11, 0xffffffe0, v1
	v_dual_sub_nc_u32 v23, v0, v11 :: v_dual_lshrrev_b32 v0, 23, v12
	s_delay_alu instid0(VALU_DEP_1) | instskip(NEXT) | instid1(VALU_DEP_2)
	v_dual_ashrrev_i32 v1, 5, v1 :: v_dual_lshlrev_b32 v11, 4, v23
	v_add_nc_u32_e32 v0, v10, v0
	s_delay_alu instid0(VALU_DEP_2) | instskip(NEXT) | instid1(VALU_DEP_2)
	v_lshl_add_u32 v11, v1, 9, v11
	v_and_b32_e32 v24, 0xfffffe00, v0
	s_delay_alu instid0(VALU_DEP_2) | instskip(NEXT) | instid1(VALU_DEP_2)
	v_dual_ashrrev_i32 v0, 9, v0 :: v_dual_add_nc_u32 v12, v11, v22
	v_sub_nc_u32_e32 v25, v10, v24
	s_delay_alu instid0(VALU_DEP_2) | instskip(NEXT) | instid1(VALU_DEP_2)
	v_ashrrev_i32_e32 v13, 31, v12
	v_cmp_lt_i32_e32 vcc_lo, 15, v25
	s_delay_alu instid0(VALU_DEP_4) | instskip(SKIP_1) | instid1(VALU_DEP_4)
	v_add_co_ci_u32_e64 v14, null, 0, v0, vcc_lo
	v_sub_nc_u32_e32 v0, v10, v11
	v_add_nc_u64_e32 v[18:19], v[12:13], v[120:121]
                                        ; implicit-def: $vgpr10_vgpr11
	s_delay_alu instid0(VALU_DEP_3) | instskip(NEXT) | instid1(VALU_DEP_3)
	v_sub_nc_u32_e32 v26, v14, v1
	v_cmpx_lt_i32_e32 15, v0
	s_cbranch_execz .LBB12_1937
; %bb.1928:                             ;   in Loop: Header=BB12_1841 Depth=1
	v_add_nc_u64_e32 v[20:21], v[12:13], v[2:3]
	s_mov_b32 s24, 0
                                        ; implicit-def: $sgpr23
                                        ; implicit-def: $vgpr10_vgpr11
	s_branch .LBB12_1930
.LBB12_1929:                            ;   in Loop: Header=BB12_1930 Depth=2
	s_or_b32 exec_lo, exec_lo, s10
	s_delay_alu instid0(VALU_DEP_1) | instskip(SKIP_3) | instid1(SALU_CYCLE_1)
	v_cmp_gt_i32_e64 s10, 16, v0
	s_or_b32 s22, s10, s22
	s_and_not1_b32 s10, s23, exec_lo
	s_and_b32 s23, s24, exec_lo
	s_or_b32 s23, s10, s23
	s_and_not1_b32 exec_lo, exec_lo, s22
	s_cbranch_execz .LBB12_1936
.LBB12_1930:                            ;   Parent Loop BB12_1841 Depth=1
                                        ; =>  This Inner Loop Header: Depth=2
	global_load_b128 v[14:17], v[20:21], off th:TH_LOAD_NT
	s_wait_xcnt 0x0
	s_and_saveexec_b32 s10, s24
	s_cbranch_execz .LBB12_1932
; %bb.1931:                             ;   in Loop: Header=BB12_1930 Depth=2
	v_add_nc_u64_e32 v[28:29], v[18:19], v[94:95]
	global_store_b128 v[18:19], v[10:13], off th:TH_STORE_NT
	s_wait_xcnt 0x0
	v_mov_b64_e32 v[18:19], v[28:29]
.LBB12_1932:                            ;   in Loop: Header=BB12_1930 Depth=2
	s_or_b32 exec_lo, exec_lo, s10
	v_sub_nc_u32_e32 v0, v0, v31
	v_add_nc_u64_e32 v[20:21], v[20:21], v[94:95]
	s_delay_alu instid0(VALU_DEP_2)
	v_cmp_lt_i32_e64 s24, 15, v0
	s_and_saveexec_b32 s10, s24
	s_cbranch_execz .LBB12_1934
; %bb.1933:                             ;   in Loop: Header=BB12_1930 Depth=2
	global_load_b128 v[10:13], v[20:21], off th:TH_LOAD_NT
	s_wait_xcnt 0x0
	v_add_nc_u64_e32 v[20:21], 0x200, v[20:21]
.LBB12_1934:                            ;   in Loop: Header=BB12_1930 Depth=2
	s_or_b32 exec_lo, exec_lo, s10
	s_wait_loadcnt 0x0
	global_store_b128 v[18:19], v[14:17], off th:TH_STORE_NT
	s_wait_xcnt 0x0
	v_add_nc_u64_e32 v[18:19], 0x200, v[18:19]
	v_sub_nc_u32_e32 v26, v26, v72
	s_and_saveexec_b32 s10, s24
	s_cbranch_execz .LBB12_1929
; %bb.1935:                             ;   in Loop: Header=BB12_1930 Depth=2
	v_add_nc_u64_e32 v[20:21], v[20:21], v[76:77]
	s_delay_alu instid0(VALU_DEP_3)
	v_add_nc_u64_e32 v[18:19], v[18:19], v[76:77]
	v_dual_sub_nc_u32 v26, v26, v72 :: v_dual_sub_nc_u32 v0, v0, v31
	s_branch .LBB12_1929
.LBB12_1936:                            ;   in Loop: Header=BB12_1841 Depth=1
	s_or_b32 exec_lo, exec_lo, s22
	s_delay_alu instid0(SALU_CYCLE_1)
	s_and_b32 s22, s23, exec_lo
.LBB12_1937:                            ;   in Loop: Header=BB12_1841 Depth=1
	s_or_b32 exec_lo, exec_lo, s21
	s_and_saveexec_b32 s10, s22
	s_cbranch_execz .LBB12_1939
; %bb.1938:                             ;   in Loop: Header=BB12_1841 Depth=1
	global_store_b128 v[18:19], v[10:13], off th:TH_STORE_NT
.LBB12_1939:                            ;   in Loop: Header=BB12_1841 Depth=1
	s_wait_xcnt 0x0
	s_or_b32 exec_lo, exec_lo, s10
	v_and_b32_e32 v11, 14, v60
	s_mov_b32 s22, s19
	s_mov_b32 s21, exec_lo
                                        ; implicit-def: $vgpr0
                                        ; implicit-def: $vgpr10
                                        ; implicit-def: $vgpr1
	s_delay_alu instid0(VALU_DEP_1) | instskip(NEXT) | instid1(VALU_DEP_1)
	v_cndmask_b32_e32 v60, v25, v11, vcc_lo
	v_cmpx_ne_u32_e32 0, v60
	s_cbranch_execz .LBB12_1941
; %bb.1940:                             ;   in Loop: Header=BB12_1841 Depth=1
	v_cmp_lt_i32_e64 s10, 0, v26
	s_or_b32 s22, s19, exec_lo
	v_dual_sub_nc_u32 v1, v25, v11 :: v_dual_cndmask_b32 v0, 0, v72, s10
	s_delay_alu instid0(VALU_DEP_1) | instskip(NEXT) | instid1(VALU_DEP_1)
	v_dual_cndmask_b32 v1, 0, v1 :: v_dual_sub_nc_u32 v0, v0, v26
	v_lshl_add_u32 v10, v0, 5, v23
	s_delay_alu instid0(VALU_DEP_1) | instskip(NEXT) | instid1(VALU_DEP_1)
	v_ashrrev_i32_e32 v0, 31, v10
	v_lshrrev_b32_e32 v0, 27, v0
	s_delay_alu instid0(VALU_DEP_1) | instskip(NEXT) | instid1(VALU_DEP_1)
	v_add_nc_u32_e32 v0, v10, v0
	v_and_b32_e32 v11, 0xffffffe0, v0
	v_add3_u32 v0, v24, v22, v1
	s_delay_alu instid0(VALU_DEP_2)
	v_sub_nc_u32_e32 v1, v10, v11
.LBB12_1941:                            ;   in Loop: Header=BB12_1841 Depth=1
	s_or_b32 exec_lo, exec_lo, s21
	s_delay_alu instid0(SALU_CYCLE_1) | instskip(SKIP_1) | instid1(SALU_CYCLE_1)
	s_and_not1_b32 s10, s19, exec_lo
	s_and_b32 s19, s22, exec_lo
	s_or_b32 s19, s10, s19
.LBB12_1942:                            ;   in Loop: Header=BB12_1841 Depth=1
	s_or_b32 exec_lo, exec_lo, s20
	s_and_saveexec_b32 s10, s19
	s_cbranch_execz .LBB12_1963
.LBB12_1943:                            ;   in Loop: Header=BB12_1841 Depth=1
	s_delay_alu instid0(VALU_DEP_1) | instskip(SKIP_2) | instid1(VALU_DEP_1)
	v_ashrrev_i32_e32 v11, 31, v10
	s_mov_b32 s20, 0
	s_mov_b32 s19, exec_lo
                                        ; implicit-def: $vgpr17
                                        ; implicit-def: $vgpr18
                                        ; implicit-def: $vgpr19
                                        ; implicit-def: $vgpr20
                                        ; implicit-def: $vgpr21
                                        ; implicit-def: $vgpr22
                                        ; implicit-def: $vgpr23
                                        ; implicit-def: $vgpr24
                                        ; implicit-def: $vgpr25
                                        ; implicit-def: $vgpr26
                                        ; implicit-def: $vgpr27
                                        ; implicit-def: $vgpr28
                                        ; implicit-def: $vgpr29
                                        ; implicit-def: $vgpr32
                                        ; implicit-def: $vgpr33
                                        ; implicit-def: $vgpr34
	v_dual_lshlrev_b32 v13, 1, v1 :: v_dual_lshrrev_b32 v11, 27, v11
	s_delay_alu instid0(VALU_DEP_1) | instskip(NEXT) | instid1(VALU_DEP_1)
	v_dual_add_nc_u32 v10, v10, v11 :: v_dual_ashrrev_i32 v11, 31, v60
	v_dual_ashrrev_i32 v10, 5, v10 :: v_dual_lshrrev_b32 v11, 22, v11
	s_delay_alu instid0(VALU_DEP_1) | instskip(NEXT) | instid1(VALU_DEP_1)
	v_lshlrev_b32_e32 v12, 10, v10
	v_add3_u32 v12, v0, v13, v12
	s_delay_alu instid0(VALU_DEP_1) | instskip(NEXT) | instid1(VALU_DEP_1)
	v_dual_add_nc_u32 v11, v60, v11 :: v_dual_ashrrev_i32 v13, 31, v12
	v_ashrrev_i32_e32 v16, 10, v11
	s_delay_alu instid0(VALU_DEP_1) | instskip(NEXT) | instid1(VALU_DEP_3)
	v_sub_nc_u32_e32 v35, v16, v10
	v_add_nc_u64_e32 v[10:11], v[120:121], v[12:13]
	s_delay_alu instid0(VALU_DEP_2)
	v_cmpx_lt_i32_e32 0, v35
	s_cbranch_execz .LBB12_1951
; %bb.1944:                             ;   in Loop: Header=BB12_1841 Depth=1
	v_add_nc_u64_e32 v[12:13], v[12:13], v[2:3]
	s_mov_b32 s22, 0
                                        ; implicit-def: $sgpr21
                                        ; implicit-def: $vgpr17
                                        ; implicit-def: $vgpr18
                                        ; implicit-def: $vgpr19
                                        ; implicit-def: $vgpr20
                                        ; implicit-def: $vgpr21
                                        ; implicit-def: $vgpr22
                                        ; implicit-def: $vgpr23
                                        ; implicit-def: $vgpr24
                                        ; implicit-def: $vgpr25
                                        ; implicit-def: $vgpr26
                                        ; implicit-def: $vgpr27
                                        ; implicit-def: $vgpr28
                                        ; implicit-def: $vgpr29
                                        ; implicit-def: $vgpr32
                                        ; implicit-def: $vgpr33
                                        ; implicit-def: $vgpr34
	s_branch .LBB12_1946
.LBB12_1945:                            ;   in Loop: Header=BB12_1946 Depth=2
	s_or_b32 exec_lo, exec_lo, s23
	s_delay_alu instid0(VALU_DEP_1)
	v_sub_nc_u32_e32 v35, v35, v68
	s_wait_loadcnt_dscnt 0xf0f
	flat_store_b16 v[10:11], v52 th:TH_STORE_NT
	s_wait_loadcnt_dscnt 0xe0f
	flat_store_b16 v[10:11], v53 offset:64 th:TH_STORE_NT
	s_wait_loadcnt_dscnt 0xd0f
	flat_store_b16 v[10:11], v54 offset:128 th:TH_STORE_NT
	;; [unrolled: 2-line block ×7, first 2 shown]
	s_wait_xcnt 0x6
	v_add_nc_u64_e32 v[52:53], v[10:11], v[14:15]
	s_wait_loadcnt_dscnt 0x70f
	flat_store_b16 v[10:11], v36 offset:512 th:TH_STORE_NT
	s_wait_loadcnt_dscnt 0x60f
	flat_store_b16 v[10:11], v37 offset:576 th:TH_STORE_NT
	;; [unrolled: 2-line block ×8, first 2 shown]
	v_add_nc_u64_e32 v[12:13], v[12:13], v[14:15]
	v_cmp_gt_i32_e32 vcc_lo, 1, v35
	s_wait_xcnt 0x0
	v_add_nc_u64_e32 v[10:11], 0x400, v[52:53]
	s_or_b32 s20, vcc_lo, s20
	s_and_not1_b32 s21, s21, exec_lo
	s_and_b32 s23, s22, exec_lo
	s_delay_alu instid0(SALU_CYCLE_1)
	s_or_b32 s21, s21, s23
	s_and_not1_b32 exec_lo, exec_lo, s20
	s_cbranch_execz .LBB12_1950
.LBB12_1946:                            ;   Parent Loop BB12_1841 Depth=1
                                        ; =>  This Inner Loop Header: Depth=2
	s_clause 0xf
	flat_load_u16 v52, v[12:13] th:TH_LOAD_NT
	flat_load_u16 v53, v[12:13] offset:64 th:TH_LOAD_NT
	flat_load_u16 v54, v[12:13] offset:128 th:TH_LOAD_NT
	;; [unrolled: 1-line block ×15, first 2 shown]
	s_wait_xcnt 0x0
	s_and_saveexec_b32 s23, s22
	s_cbranch_execz .LBB12_1948
; %bb.1947:                             ;   in Loop: Header=BB12_1946 Depth=2
	s_clause 0xc
	flat_store_b16 v[10:11], v17 th:TH_STORE_NT
	flat_store_b16 v[10:11], v18 offset:64 th:TH_STORE_NT
	flat_store_b16 v[10:11], v19 offset:128 th:TH_STORE_NT
	;; [unrolled: 1-line block ×12, first 2 shown]
	s_wait_loadcnt 0x10
	s_clause 0x2
	flat_store_b16 v[10:11], v32 offset:832 th:TH_STORE_NT
	flat_store_b16 v[10:11], v33 offset:896 th:TH_STORE_NT
	;; [unrolled: 1-line block ×3, first 2 shown]
	s_wait_xcnt 0x0
	v_add_nc_u64_e32 v[10:11], v[10:11], v[104:105]
.LBB12_1948:                            ;   in Loop: Header=BB12_1946 Depth=2
	s_or_b32 exec_lo, exec_lo, s23
	v_dual_mov_b32 v68, 0 :: v_dual_sub_nc_u32 v35, v35, v72
	v_add_nc_u64_e32 v[12:13], v[12:13], v[104:105]
	v_mov_b64_e32 v[14:15], 0
	s_delay_alu instid0(VALU_DEP_3)
	v_cmp_lt_i32_e64 s22, 0, v35
	s_and_saveexec_b32 s23, s22
	s_cbranch_execz .LBB12_1945
; %bb.1949:                             ;   in Loop: Header=BB12_1946 Depth=2
	s_clause 0xc
	flat_load_u16 v17, v[12:13] th:TH_LOAD_NT
	flat_load_u16 v18, v[12:13] offset:64 th:TH_LOAD_NT
	flat_load_u16 v19, v[12:13] offset:128 th:TH_LOAD_NT
	;; [unrolled: 1-line block ×12, first 2 shown]
	s_wait_loadcnt 0x1d
	s_clause 0x2
	flat_load_u16 v32, v[12:13] offset:832 th:TH_LOAD_NT
	flat_load_u16 v33, v[12:13] offset:896 th:TH_LOAD_NT
	;; [unrolled: 1-line block ×3, first 2 shown]
	s_wait_xcnt 0x0
	v_add_nc_u64_e32 v[12:13], 0x400, v[12:13]
	v_mov_b64_e32 v[14:15], v[78:79]
	v_mov_b32_e32 v68, v72
	s_branch .LBB12_1945
.LBB12_1950:                            ;   in Loop: Header=BB12_1841 Depth=1
	s_or_b32 exec_lo, exec_lo, s20
	s_delay_alu instid0(SALU_CYCLE_1)
	s_and_b32 s20, s21, exec_lo
.LBB12_1951:                            ;   in Loop: Header=BB12_1841 Depth=1
	s_or_b32 exec_lo, exec_lo, s19
	s_and_saveexec_b32 s19, s20
	s_cbranch_execz .LBB12_1953
; %bb.1952:                             ;   in Loop: Header=BB12_1841 Depth=1
	s_clause 0xc
	flat_store_b16 v[10:11], v17 th:TH_STORE_NT
	flat_store_b16 v[10:11], v18 offset:64 th:TH_STORE_NT
	flat_store_b16 v[10:11], v19 offset:128 th:TH_STORE_NT
	;; [unrolled: 1-line block ×12, first 2 shown]
	s_wait_loadcnt 0x0
	s_clause 0x2
	flat_store_b16 v[10:11], v32 offset:832 th:TH_STORE_NT
	flat_store_b16 v[10:11], v33 offset:896 th:TH_STORE_NT
	;; [unrolled: 1-line block ×3, first 2 shown]
.LBB12_1953:                            ;   in Loop: Header=BB12_1841 Depth=1
	s_wait_xcnt 0x0
	s_or_b32 exec_lo, exec_lo, s19
	s_wait_loadcnt 0x0
	scratch_load_b64 v[32:33], off, s33 offset:280 ; 8-byte Folded Reload
	v_lshlrev_b32_e32 v10, 10, v16
	s_delay_alu instid0(VALU_DEP_1)
	v_cmp_ne_u32_e32 vcc_lo, v60, v10
	s_and_b32 s19, exec_lo, vcc_lo
	s_wait_xcnt 0x0
	s_mov_b32 exec_lo, s19
	s_cbranch_execz .LBB12_1963
; %bb.1954:                             ;   in Loop: Header=BB12_1841 Depth=1
	v_lshlrev_b32_e32 v11, 5, v35
	s_delay_alu instid0(VALU_DEP_1) | instskip(NEXT) | instid1(VALU_DEP_1)
	v_sub_nc_u32_e32 v1, v1, v11
	v_ashrrev_i32_e32 v11, 31, v1
	s_delay_alu instid0(VALU_DEP_1) | instskip(NEXT) | instid1(VALU_DEP_1)
	v_lshrrev_b32_e32 v11, 27, v11
	v_add_nc_u32_e32 v11, v1, v11
	s_delay_alu instid0(VALU_DEP_1) | instskip(NEXT) | instid1(VALU_DEP_1)
	v_and_b32_e32 v12, 0x7fffffe0, v11
	v_dual_lshlrev_b32 v11, 1, v11 :: v_dual_sub_nc_u32 v1, v1, v12
	s_delay_alu instid0(VALU_DEP_1) | instskip(NEXT) | instid1(VALU_DEP_2)
	v_and_b32_e32 v11, 0xffffffc0, v11
	v_lshlrev_b32_e32 v1, 1, v1
	s_delay_alu instid0(VALU_DEP_1) | instskip(NEXT) | instid1(VALU_DEP_1)
	v_add3_u32 v10, v11, v1, v10
	v_sub_nc_u32_e32 v1, v60, v10
	s_delay_alu instid0(VALU_DEP_1)
	v_cmp_lt_i32_e32 vcc_lo, 1, v1
	s_and_b32 exec_lo, exec_lo, vcc_lo
	s_cbranch_execz .LBB12_1963
; %bb.1955:                             ;   in Loop: Header=BB12_1841 Depth=1
	v_add_nc_u32_e32 v12, v10, v0
	s_mov_b32 s21, 0
	s_mov_b32 s19, 0
                                        ; implicit-def: $sgpr20
                                        ; implicit-def: $vgpr0
	s_delay_alu instid0(VALU_DEP_1) | instskip(NEXT) | instid1(VALU_DEP_1)
	v_ashrrev_i32_e32 v13, 31, v12
	v_add_nc_u64_e32 v[10:11], v[120:121], v[12:13]
	v_add_nc_u64_e32 v[2:3], v[12:13], v[2:3]
	s_branch .LBB12_1957
.LBB12_1956:                            ;   in Loop: Header=BB12_1957 Depth=2
	s_or_b32 exec_lo, exec_lo, s22
	s_delay_alu instid0(VALU_DEP_1) | instskip(NEXT) | instid1(VALU_DEP_3)
	v_sub_nc_u32_e32 v1, v1, v15
	v_add_nc_u64_e32 v[16:17], v[10:11], v[12:13]
	s_wait_loadcnt_dscnt 0x0
	flat_store_b16 v[10:11], v14 th:TH_STORE_NT
	v_add_nc_u64_e32 v[2:3], v[2:3], v[12:13]
	v_cmp_gt_i32_e32 vcc_lo, 2, v1
	s_wait_xcnt 0x0
	v_add_nc_u64_e32 v[10:11], 64, v[16:17]
	s_or_b32 s19, vcc_lo, s19
	s_and_not1_b32 s20, s20, exec_lo
	s_and_b32 s22, s21, exec_lo
	s_delay_alu instid0(SALU_CYCLE_1)
	s_or_b32 s20, s20, s22
	s_and_not1_b32 exec_lo, exec_lo, s19
	s_cbranch_execz .LBB12_1961
.LBB12_1957:                            ;   Parent Loop BB12_1841 Depth=1
                                        ; =>  This Inner Loop Header: Depth=2
	flat_load_u16 v14, v[2:3] th:TH_LOAD_NT
	s_wait_xcnt 0x0
	s_and_saveexec_b32 s22, s21
	s_cbranch_execz .LBB12_1959
; %bb.1958:                             ;   in Loop: Header=BB12_1957 Depth=2
	v_add_nc_u64_e32 v[12:13], v[10:11], v[106:107]
	flat_store_b16 v[10:11], v0 th:TH_STORE_NT
	s_wait_xcnt 0x0
	v_mov_b64_e32 v[10:11], v[12:13]
.LBB12_1959:                            ;   in Loop: Header=BB12_1957 Depth=2
	s_or_b32 exec_lo, exec_lo, s22
	v_dual_sub_nc_u32 v1, v1, v42 :: v_dual_mov_b32 v15, 0
	v_add_nc_u64_e32 v[2:3], v[2:3], v[106:107]
	v_mov_b64_e32 v[12:13], 0
	s_delay_alu instid0(VALU_DEP_3)
	v_cmp_lt_i32_e64 s21, 1, v1
	s_and_saveexec_b32 s22, s21
	s_cbranch_execz .LBB12_1956
; %bb.1960:                             ;   in Loop: Header=BB12_1957 Depth=2
	flat_load_u16 v0, v[2:3] th:TH_LOAD_NT
	s_wait_xcnt 0x0
	v_add_nc_u64_e32 v[2:3], 64, v[2:3]
	v_mov_b64_e32 v[12:13], v[88:89]
	v_mov_b32_e32 v15, v42
	s_branch .LBB12_1956
.LBB12_1961:                            ;   in Loop: Header=BB12_1841 Depth=1
	s_or_b32 exec_lo, exec_lo, s19
	s_delay_alu instid0(SALU_CYCLE_1)
	s_and_b32 exec_lo, exec_lo, s20
	s_cbranch_execz .LBB12_1963
; %bb.1962:                             ;   in Loop: Header=BB12_1841 Depth=1
	flat_store_b16 v[10:11], v0 th:TH_STORE_NT
.LBB12_1963:                            ;   in Loop: Header=BB12_1841 Depth=1
	s_wait_xcnt 0x0
	s_or_b32 exec_lo, exec_lo, s10
	v_cmp_ne_u32_e64 s10, 0, v62
	s_and_saveexec_b32 s19, s2
	s_cbranch_execz .LBB12_1982
.LBB12_1964:                            ;   in Loop: Header=BB12_1841 Depth=1
	s_and_saveexec_b32 s20, s3
	s_delay_alu instid0(SALU_CYCLE_1)
	s_xor_b32 s20, exec_lo, s20
	s_cbranch_execz .LBB12_1979
; %bb.1965:                             ;   in Loop: Header=BB12_1841 Depth=1
	s_and_saveexec_b32 s21, s4
	s_cbranch_execz .LBB12_1978
; %bb.1966:                             ;   in Loop: Header=BB12_1841 Depth=1
	s_mov_b32 s23, exec_lo
	s_mov_b32 s22, exec_lo
	v_mbcnt_lo_u32_b32 v0, s23, 0
	global_wb scope:SCOPE_DEV
	s_wait_storecnt 0x0
	s_wait_loadcnt_dscnt 0x0
	global_inv scope:SCOPE_DEV
	v_cmpx_eq_u32_e32 0, v0
	s_cbranch_execz .LBB12_1968
; %bb.1967:                             ;   in Loop: Header=BB12_1841 Depth=1
	s_bcnt1_i32_b32 s23, s23
	s_delay_alu instid0(SALU_CYCLE_1)
	v_mov_b32_e32 v62, s23
	s_wait_loadcnt 0x0
	ds_add_u64 v0, v[62:63]
	s_trap 2
.LBB12_1968:                            ;   in Loop: Header=BB12_1841 Depth=1
	s_or_b32 exec_lo, exec_lo, s22
	s_trap 2
	ds_load_b64 v[0:1], v0
	s_wait_dscnt 0x0
	v_add_nc_u64_e32 v[56:57], v[56:57], v[72:73]
	s_mov_b32 s22, exec_lo
	s_delay_alu instid0(VALU_DEP_1)
	v_cmpx_lt_u64_e64 v[0:1], v[56:57]
	s_cbranch_execz .LBB12_1977
; %bb.1969:                             ;   in Loop: Header=BB12_1841 Depth=1
	s_mov_b32 s23, 0
	s_mov_b32 s26, 0
                                        ; implicit-def: $sgpr24
                                        ; implicit-def: $sgpr25
	s_branch .LBB12_1971
.LBB12_1970:                            ;   in Loop: Header=BB12_1971 Depth=2
	s_or_b32 exec_lo, exec_lo, s28
	s_delay_alu instid0(SALU_CYCLE_1) | instskip(NEXT) | instid1(SALU_CYCLE_1)
	s_and_b32 s27, exec_lo, s29
	s_or_b32 s23, s27, s23
	s_and_not1_b32 s24, s24, exec_lo
	s_and_b32 s27, s25, exec_lo
	s_delay_alu instid0(SALU_CYCLE_1)
	s_or_b32 s24, s24, s27
	s_and_not1_b32 exec_lo, exec_lo, s23
	s_cbranch_execz .LBB12_1975
.LBB12_1971:                            ;   Parent Loop BB12_1841 Depth=1
                                        ; =>  This Inner Loop Header: Depth=2
	s_add_co_i32 s26, s26, 1
	s_delay_alu instid0(SALU_CYCLE_1) | instskip(SKIP_1) | instid1(SALU_CYCLE_1)
	s_cmp_lg_u32 s26, 0x2710
	s_cselect_b32 s27, -1, 0
	s_and_b32 vcc_lo, exec_lo, s27
	s_cbranch_vccz .LBB12_1973
; %bb.1972:                             ;   in Loop: Header=BB12_1971 Depth=2
	s_mov_b32 s29, -1
	s_or_b32 s25, s25, exec_lo
	s_and_saveexec_b32 s28, s27
	s_cbranch_execz .LBB12_1970
	s_branch .LBB12_1974
.LBB12_1973:                            ;   in Loop: Header=BB12_1971 Depth=2
	s_trap 2
	ds_load_b64 v[0:1], v0
	s_and_not1_b32 s27, s27, exec_lo
	s_mov_b32 s26, 0
	s_wait_loadcnt_dscnt 0x0
	flat_load_b32 v0, v[0:1] scope:SCOPE_SYS
	s_wait_loadcnt_dscnt 0x0
	global_inv scope:SCOPE_SYS
	v_cmp_eq_u32_e32 vcc_lo, 0, v0
	s_and_b32 s28, vcc_lo, exec_lo
	s_delay_alu instid0(SALU_CYCLE_1)
	s_or_b32 s27, s27, s28
	s_mov_b32 s29, -1
	s_or_b32 s25, s25, exec_lo
	s_and_saveexec_b32 s28, s27
	s_cbranch_execz .LBB12_1970
.LBB12_1974:                            ;   in Loop: Header=BB12_1971 Depth=2
	s_sleep 1
	s_trap 2
	ds_load_b64 v[0:1], v0
	s_wait_dscnt 0x0
	s_and_not1_b32 s25, s25, exec_lo
	v_cmp_ge_u64_e32 vcc_lo, v[0:1], v[56:57]
	s_or_not1_b32 s29, vcc_lo, exec_lo
	s_branch .LBB12_1970
.LBB12_1975:                            ;   in Loop: Header=BB12_1841 Depth=1
	s_or_b32 exec_lo, exec_lo, s23
	s_and_saveexec_b32 s23, s24
	s_delay_alu instid0(SALU_CYCLE_1)
	s_xor_b32 s23, exec_lo, s23
	s_cbranch_execz .LBB12_1977
; %bb.1976:                             ;   in Loop: Header=BB12_1841 Depth=1
	ds_store_b32 v0, v43
	s_trap 2
.LBB12_1977:                            ;   in Loop: Header=BB12_1841 Depth=1
	s_or_b32 exec_lo, exec_lo, s22
	;;#ASMSTART
	s_wakeup
	;;#ASMEND
.LBB12_1978:                            ;   in Loop: Header=BB12_1841 Depth=1
	s_or_b32 exec_lo, exec_lo, s21
.LBB12_1979:                            ;   in Loop: Header=BB12_1841 Depth=1
	s_and_not1_saveexec_b32 s20, s20
	s_cbranch_execz .LBB12_1981
; %bb.1980:                             ;   in Loop: Header=BB12_1841 Depth=1
	global_wb scope:SCOPE_DEV
	s_wait_storecnt 0x0
	s_wait_loadcnt_dscnt 0x0
	global_inv scope:SCOPE_DEV
	s_barrier_signal -1
	s_barrier_wait -1
.LBB12_1981:                            ;   in Loop: Header=BB12_1841 Depth=1
	s_or_b32 exec_lo, exec_lo, s20
.LBB12_1982:                            ;   in Loop: Header=BB12_1841 Depth=1
	s_delay_alu instid0(SALU_CYCLE_1) | instskip(SKIP_1) | instid1(VALU_DEP_1)
	s_or_b32 exec_lo, exec_lo, s19
	v_and_b32_e32 v0, 16, v126
	v_cmp_ne_u32_e32 vcc_lo, 0, v0
	s_and_b32 s19, vcc_lo, s10
	s_delay_alu instid0(SALU_CYCLE_1)
	s_and_saveexec_b32 s10, s19
	s_cbranch_execz .LBB12_1984
; %bb.1983:                             ;   in Loop: Header=BB12_1841 Depth=1
	global_wb scope:SCOPE_SYS
	s_wait_storecnt 0x0
	s_wait_loadcnt_dscnt 0x0
	global_inv scope:SCOPE_SYS
.LBB12_1984:                            ;   in Loop: Header=BB12_1841 Depth=1
	s_or_b32 exec_lo, exec_lo, s10
	s_delay_alu instid0(SALU_CYCLE_1)
	s_mov_b32 s10, exec_lo
	v_cmpx_ne_u32_e32 0, v0
	s_cbranch_execz .LBB12_1988
; %bb.1985:                             ;   in Loop: Header=BB12_1841 Depth=1
	s_and_saveexec_b32 s19, s7
	s_cbranch_execz .LBB12_1987
; %bb.1986:                             ;   in Loop: Header=BB12_1841 Depth=1
	scratch_load_b64 v[0:1], off, s33 offset:272 ; 8-byte Folded Reload
	global_wb scope:SCOPE_SYS
	s_wait_storecnt 0x0
	s_wait_xcnt 0x0
	s_wait_loadcnt_dscnt 0x0
	flat_store_b32 v[0:1], v43 scope:SCOPE_SYS
.LBB12_1987:                            ;   in Loop: Header=BB12_1841 Depth=1
	s_wait_xcnt 0x0
	s_or_b32 exec_lo, exec_lo, s19
	v_add_nc_u64_e32 v[8:9], 1, v[8:9]
	global_wb scope:SCOPE_SYS
	s_wait_storecnt 0x0
	s_wait_loadcnt_dscnt 0x0
	flat_store_b64 v[40:41], v[8:9] scope:SCOPE_SYS
.LBB12_1988:                            ;   in Loop: Header=BB12_1841 Depth=1
	s_wait_xcnt 0x0
	s_or_b32 exec_lo, exec_lo, s10
	v_mov_b32_e32 v0, v111
.LBB12_1989:                            ;   in Loop: Header=BB12_1841 Depth=1
	s_or_b32 exec_lo, exec_lo, s18
	s_and_saveexec_b32 s18, s17
	s_cbranch_execz .LBB12_1840
; %bb.1990:                             ;   in Loop: Header=BB12_1841 Depth=1
	s_delay_alu instid0(VALU_DEP_1) | instskip(SKIP_1) | instid1(VALU_DEP_1)
	v_dual_sub_nc_u32 v0, v110, v0 :: v_dual_bitop2_b32 v1, 8, v126 bitop3:0x40
	s_mov_b32 s17, exec_lo
	v_min_i32_e32 v2, v111, v0
	s_delay_alu instid0(VALU_DEP_2)
	v_cmpx_ne_u32_e32 0, v1
	s_cbranch_execz .LBB12_2012
; %bb.1991:                             ;   in Loop: Header=BB12_1841 Depth=1
	s_wait_loadcnt 0x0
	v_add_nc_u64_e32 v[0:1], 8, v[46:47]
	v_add_nc_u64_e32 v[10:11], 1, v[8:9]
	s_mov_b32 s19, exec_lo
	s_delay_alu instid0(VALU_DEP_1)
	v_cmpx_lt_u64_e64 v[0:1], v[10:11]
	s_cbranch_execz .LBB12_2003
; %bb.1992:                             ;   in Loop: Header=BB12_1841 Depth=1
	v_and_b32_e32 v0, 64, v126
	s_mov_b32 s20, 0
	s_mov_b32 s24, 0
                                        ; implicit-def: $sgpr21
                                        ; implicit-def: $sgpr22
                                        ; implicit-def: $sgpr23
	s_delay_alu instid0(VALU_DEP_1)
	v_cmp_eq_u32_e32 vcc_lo, 0, v0
	s_branch .LBB12_1996
.LBB12_1993:                            ;   in Loop: Header=BB12_1996 Depth=2
	s_wait_loadcnt_dscnt 0x0
	v_add_nc_u64_e32 v[12:13], 8, v[46:47]
	s_or_b32 s27, s27, exec_lo
	s_delay_alu instid0(VALU_DEP_1)
	v_cmp_ge_u64_e64 s10, v[12:13], v[10:11]
	s_or_not1_b32 s26, s10, exec_lo
.LBB12_1994:                            ;   in Loop: Header=BB12_1996 Depth=2
	s_or_b32 exec_lo, exec_lo, s29
	s_delay_alu instid0(SALU_CYCLE_1)
	s_and_not1_b32 s10, s23, exec_lo
	s_and_b32 s23, s27, exec_lo
	s_and_not1_b32 s22, s22, exec_lo
	s_and_b32 s26, s26, exec_lo
	s_or_b32 s23, s10, s23
	s_or_b32 s22, s22, s26
.LBB12_1995:                            ;   in Loop: Header=BB12_1996 Depth=2
	s_or_b32 exec_lo, exec_lo, s25
	s_delay_alu instid0(SALU_CYCLE_1) | instskip(NEXT) | instid1(SALU_CYCLE_1)
	s_and_b32 s10, exec_lo, s22
	s_or_b32 s20, s10, s20
	s_and_not1_b32 s10, s21, exec_lo
	s_and_b32 s21, s23, exec_lo
	s_delay_alu instid0(SALU_CYCLE_1)
	s_or_b32 s21, s10, s21
	s_and_not1_b32 exec_lo, exec_lo, s20
	s_cbranch_execz .LBB12_2000
.LBB12_1996:                            ;   Parent Loop BB12_1841 Depth=1
                                        ; =>  This Inner Loop Header: Depth=2
	s_sleep 1
	s_wait_loadcnt_dscnt 0x0
	flat_load_b64 v[46:47], v[40:41] scope:SCOPE_SYS
	s_or_b32 s23, s23, exec_lo
	s_or_b32 s22, s22, exec_lo
                                        ; implicit-def: $vgpr0
	s_wait_xcnt 0x0
	s_and_saveexec_b32 s25, vcc_lo
	s_cbranch_execz .LBB12_1995
; %bb.1997:                             ;   in Loop: Header=BB12_1996 Depth=2
	s_cmp_lt_i32 s24, 0x270f
	s_mov_b32 s26, -1
	s_cselect_b32 s28, -1, 0
	s_cmp_gt_i32 s24, 0x270e
	s_cbranch_scc0 .LBB12_1999
; %bb.1998:                             ;   in Loop: Header=BB12_1996 Depth=2
	s_trap 2
	ds_load_b64 v[0:1], v0
	s_and_not1_b32 s24, s28, exec_lo
	s_mov_b32 s27, 0
	s_wait_storecnt 0x0
	s_wait_loadcnt_dscnt 0x0
	flat_load_b32 v0, v[0:1] scope:SCOPE_SYS
	s_wait_loadcnt_dscnt 0x0
	global_inv scope:SCOPE_SYS
	v_cmp_eq_u32_e64 s10, 0, v0
	s_and_b32 s10, s10, exec_lo
	s_delay_alu instid0(SALU_CYCLE_1)
	s_or_b32 s28, s24, s10
	s_mov_b32 s24, 0
	s_and_saveexec_b32 s29, s28
	s_cbranch_execz .LBB12_1994
	s_branch .LBB12_1993
.LBB12_1999:                            ;   in Loop: Header=BB12_1996 Depth=2
	s_add_co_i32 s24, s24, 1
	s_mov_b32 s27, -1
                                        ; implicit-def: $vgpr0
	s_and_saveexec_b32 s29, s28
	s_cbranch_execz .LBB12_1994
	s_branch .LBB12_1993
.LBB12_2000:                            ;   in Loop: Header=BB12_1841 Depth=1
	s_or_b32 exec_lo, exec_lo, s20
	s_xor_b32 s10, s21, -1
	s_delay_alu instid0(SALU_CYCLE_1) | instskip(NEXT) | instid1(SALU_CYCLE_1)
	s_and_saveexec_b32 s20, s10
	s_xor_b32 s10, exec_lo, s20
	s_cbranch_execz .LBB12_2002
; %bb.2001:                             ;   in Loop: Header=BB12_1841 Depth=1
	v_or_b32_e32 v126, 64, v126
	s_wait_storecnt 0x0
	s_wait_loadcnt_dscnt 0x0
	ds_store_b32 v0, v0
	s_trap 2
.LBB12_2002:                            ;   in Loop: Header=BB12_1841 Depth=1
	s_or_b32 exec_lo, exec_lo, s10
.LBB12_2003:                            ;   in Loop: Header=BB12_1841 Depth=1
	s_delay_alu instid0(SALU_CYCLE_1) | instskip(SKIP_4) | instid1(VALU_DEP_1)
	s_or_b32 exec_lo, exec_lo, s19
	v_and_b32_e32 v0, 0x100, v126
	s_mov_b32 s19, 0
	s_mov_b32 s10, exec_lo
	;;#ASMSTART
	s_wakeup
	;;#ASMEND
                                        ; implicit-def: $vgpr12_vgpr13
	v_cmpx_ne_u32_e32 0, v0
	s_xor_b32 s10, exec_lo, s10
	s_cbranch_execz .LBB12_2024
; %bb.2004:                             ;   in Loop: Header=BB12_1841 Depth=1
	v_dual_ashrrev_i32 v3, 31, v2 :: v_dual_bitop2_b32 v62, 7, v8 bitop3:0x40
	s_mov_b32 s19, -1
	s_mov_b32 s20, exec_lo
                                        ; implicit-def: $vgpr12_vgpr13
	s_delay_alu instid0(VALU_DEP_1) | instskip(NEXT) | instid1(VALU_DEP_2)
	v_mad_nc_u64_u32 v[14:15], v62, 24, v[6:7]
	v_lshlrev_b64_e32 v[0:1], 1, v[2:3]
	s_clause 0x1
	flat_load_b32 v9, v[14:15]
	flat_store_b64 v[14:15], v[0:1] offset:8
	s_wait_loadcnt_dscnt 0x1
	v_cmpx_eq_u32_e32 1, v9
	s_cbranch_execz .LBB12_2006
; %bb.2005:                             ;   in Loop: Header=BB12_1841 Depth=1
	flat_load_b32 v0, v[14:15] offset:4 scope:SCOPE_SYS
	s_xor_b32 s19, exec_lo, -1
	s_wait_loadcnt_dscnt 0x0
	v_ashrrev_i32_e32 v1, 31, v0
	s_delay_alu instid0(VALU_DEP_1)
	v_lshrrev_b64 v[12:13], 1, v[0:1]
.LBB12_2006:                            ;   in Loop: Header=BB12_1841 Depth=1
	s_wait_xcnt 0x0
	s_or_b32 exec_lo, exec_lo, s20
	s_delay_alu instid0(SALU_CYCLE_1)
	s_and_b32 s19, s19, exec_lo
	s_and_not1_saveexec_b32 s10, s10
	s_cbranch_execnz .LBB12_2025
.LBB12_2007:                            ;   in Loop: Header=BB12_1841 Depth=1
	s_or_b32 exec_lo, exec_lo, s10
	s_and_saveexec_b32 s10, s19
	s_cbranch_execz .LBB12_2009
.LBB12_2008:                            ;   in Loop: Header=BB12_1841 Depth=1
	scratch_load_b64 v[0:1], off, s33 offset:256 ; 8-byte Folded Reload
	s_wait_loadcnt 0x0
	v_mul_u64_e32 v[12:13], v[62:63], v[0:1]
.LBB12_2009:                            ;   in Loop: Header=BB12_1841 Depth=1
	s_wait_xcnt 0x0
	s_or_b32 exec_lo, exec_lo, s10
	v_and_b32_e32 v3, 0x2000, v126
	s_delay_alu instid0(VALU_DEP_2)
	v_lshl_add_u64 v[0:1], v[12:13], 1, v[32:33]
	s_mov_b32 s10, exec_lo
	ds_store_b64 v0, v[0:1] offset:784
	v_cmpx_ne_u32_e32 0, v3
	s_cbranch_execz .LBB12_2011
; %bb.2010:                             ;   in Loop: Header=BB12_1841 Depth=1
	ds_load_b64 v[0:1], v0 offset:872
	s_wait_dscnt 0x0
	v_add_nc_u64_e32 v[0:1], 1, v[0:1]
	ds_store_b64 v0, v[0:1] offset:872
.LBB12_2011:                            ;   in Loop: Header=BB12_1841 Depth=1
	s_or_b32 exec_lo, exec_lo, s10
	v_mov_b64_e32 v[8:9], v[10:11]
.LBB12_2012:                            ;   in Loop: Header=BB12_1841 Depth=1
	s_or_b32 exec_lo, exec_lo, s17
	s_and_saveexec_b32 s10, s2
	s_cbranch_execz .LBB12_2033
; %bb.2013:                             ;   in Loop: Header=BB12_1841 Depth=1
	s_and_saveexec_b32 s17, s3
	s_delay_alu instid0(SALU_CYCLE_1)
	s_xor_b32 s17, exec_lo, s17
	s_cbranch_execz .LBB12_2030
; %bb.2014:                             ;   in Loop: Header=BB12_1841 Depth=1
	s_and_saveexec_b32 s19, s4
	s_cbranch_execz .LBB12_2029
; %bb.2015:                             ;   in Loop: Header=BB12_1841 Depth=1
	s_mov_b32 s21, exec_lo
	s_mov_b32 s20, exec_lo
	v_mbcnt_lo_u32_b32 v0, s21, 0
	global_wb scope:SCOPE_DEV
	s_wait_storecnt 0x0
	s_wait_loadcnt_dscnt 0x0
	global_inv scope:SCOPE_DEV
	v_cmpx_eq_u32_e32 0, v0
	s_cbranch_execz .LBB12_2017
; %bb.2016:                             ;   in Loop: Header=BB12_1841 Depth=1
	s_bcnt1_i32_b32 s21, s21
	s_delay_alu instid0(SALU_CYCLE_1)
	v_mov_b32_e32 v62, s21
	s_wait_loadcnt 0x0
	ds_add_u64 v0, v[62:63]
	s_trap 2
.LBB12_2017:                            ;   in Loop: Header=BB12_1841 Depth=1
	s_or_b32 exec_lo, exec_lo, s20
	s_trap 2
	ds_load_b64 v[0:1], v0
	s_wait_dscnt 0x0
	v_add_nc_u64_e32 v[56:57], v[56:57], v[72:73]
	s_mov_b32 s20, exec_lo
	s_delay_alu instid0(VALU_DEP_1)
	v_cmpx_lt_u64_e64 v[0:1], v[56:57]
	s_cbranch_execz .LBB12_2028
; %bb.2018:                             ;   in Loop: Header=BB12_1841 Depth=1
	s_mov_b32 s21, 0
	s_mov_b32 s24, 0
                                        ; implicit-def: $sgpr22
                                        ; implicit-def: $sgpr23
	s_branch .LBB12_2020
.LBB12_2019:                            ;   in Loop: Header=BB12_2020 Depth=2
	s_or_b32 exec_lo, exec_lo, s26
	s_delay_alu instid0(SALU_CYCLE_1) | instskip(NEXT) | instid1(SALU_CYCLE_1)
	s_and_b32 s25, exec_lo, s27
	s_or_b32 s21, s25, s21
	s_and_not1_b32 s22, s22, exec_lo
	s_and_b32 s25, s23, exec_lo
	s_delay_alu instid0(SALU_CYCLE_1)
	s_or_b32 s22, s22, s25
	s_and_not1_b32 exec_lo, exec_lo, s21
	s_cbranch_execz .LBB12_2026
.LBB12_2020:                            ;   Parent Loop BB12_1841 Depth=1
                                        ; =>  This Inner Loop Header: Depth=2
	s_add_co_i32 s24, s24, 1
	s_delay_alu instid0(SALU_CYCLE_1) | instskip(SKIP_1) | instid1(SALU_CYCLE_1)
	s_cmp_lg_u32 s24, 0x2710
	s_cselect_b32 s25, -1, 0
	s_and_b32 vcc_lo, exec_lo, s25
	s_cbranch_vccz .LBB12_2022
; %bb.2021:                             ;   in Loop: Header=BB12_2020 Depth=2
	s_mov_b32 s27, -1
	s_or_b32 s23, s23, exec_lo
	s_and_saveexec_b32 s26, s25
	s_cbranch_execz .LBB12_2019
	s_branch .LBB12_2023
.LBB12_2022:                            ;   in Loop: Header=BB12_2020 Depth=2
	s_trap 2
	ds_load_b64 v[0:1], v0
	s_and_not1_b32 s25, s25, exec_lo
	s_mov_b32 s24, 0
	s_wait_loadcnt_dscnt 0x0
	flat_load_b32 v0, v[0:1] scope:SCOPE_SYS
	s_wait_loadcnt_dscnt 0x0
	global_inv scope:SCOPE_SYS
	v_cmp_eq_u32_e32 vcc_lo, 0, v0
	s_and_b32 s26, vcc_lo, exec_lo
	s_delay_alu instid0(SALU_CYCLE_1)
	s_or_b32 s25, s25, s26
	s_mov_b32 s27, -1
	s_or_b32 s23, s23, exec_lo
	s_and_saveexec_b32 s26, s25
	s_cbranch_execz .LBB12_2019
.LBB12_2023:                            ;   in Loop: Header=BB12_2020 Depth=2
	s_sleep 1
	s_trap 2
	ds_load_b64 v[0:1], v0
	s_wait_dscnt 0x0
	s_and_not1_b32 s23, s23, exec_lo
	v_cmp_ge_u64_e32 vcc_lo, v[0:1], v[56:57]
	s_or_not1_b32 s27, vcc_lo, exec_lo
	s_branch .LBB12_2019
.LBB12_2024:                            ;   in Loop: Header=BB12_1841 Depth=1
	s_and_not1_saveexec_b32 s10, s10
	s_cbranch_execz .LBB12_2007
.LBB12_2025:                            ;   in Loop: Header=BB12_1841 Depth=1
	v_and_b32_e32 v62, 7, v8
	s_or_b32 s19, s19, exec_lo
	s_or_b32 exec_lo, exec_lo, s10
	s_and_saveexec_b32 s10, s19
	s_cbranch_execnz .LBB12_2008
	s_branch .LBB12_2009
.LBB12_2026:                            ;   in Loop: Header=BB12_1841 Depth=1
	s_or_b32 exec_lo, exec_lo, s21
	s_and_saveexec_b32 s21, s22
	s_delay_alu instid0(SALU_CYCLE_1)
	s_xor_b32 s21, exec_lo, s21
	s_cbranch_execz .LBB12_2028
; %bb.2027:                             ;   in Loop: Header=BB12_1841 Depth=1
	ds_store_b32 v0, v43
	s_trap 2
.LBB12_2028:                            ;   in Loop: Header=BB12_1841 Depth=1
	s_or_b32 exec_lo, exec_lo, s20
	;;#ASMSTART
	s_wakeup
	;;#ASMEND
.LBB12_2029:                            ;   in Loop: Header=BB12_1841 Depth=1
	s_or_b32 exec_lo, exec_lo, s19
.LBB12_2030:                            ;   in Loop: Header=BB12_1841 Depth=1
	s_and_not1_saveexec_b32 s17, s17
	s_cbranch_execz .LBB12_2032
; %bb.2031:                             ;   in Loop: Header=BB12_1841 Depth=1
	global_wb scope:SCOPE_DEV
	s_wait_storecnt 0x0
	s_wait_loadcnt_dscnt 0x0
	global_inv scope:SCOPE_DEV
	s_barrier_signal -1
	s_barrier_wait -1
.LBB12_2032:                            ;   in Loop: Header=BB12_1841 Depth=1
	s_or_b32 exec_lo, exec_lo, s17
.LBB12_2033:                            ;   in Loop: Header=BB12_1841 Depth=1
	s_delay_alu instid0(SALU_CYCLE_1)
	s_or_b32 exec_lo, exec_lo, s10
	s_trap 2
	ds_load_b32 v0, v0
	v_cmp_lt_i32_e32 vcc_lo, 0, v2
	s_wait_dscnt 0x0
	v_readfirstlane_b32 s10, v0
	v_and_b32_e32 v0, 16, v126
	s_cmp_eq_u32 s10, 0
	s_delay_alu instid0(VALU_DEP_1) | instskip(SKIP_1) | instid1(SALU_CYCLE_1)
	v_cmp_ne_u32_e64 s10, 0, v0
	s_cselect_b32 s17, -1, 0
	s_and_b32 s17, vcc_lo, s17
	s_delay_alu instid0(SALU_CYCLE_1) | instskip(NEXT) | instid1(SALU_CYCLE_1)
	s_and_b32 s17, s10, s17
	s_and_saveexec_b32 s10, s17
	s_cbranch_execz .LBB12_2035
; %bb.2034:                             ;   in Loop: Header=BB12_1841 Depth=1
	global_wb scope:SCOPE_SYS
	s_wait_loadcnt 0x0
	s_wait_storecnt 0x0
	global_inv scope:SCOPE_SYS
.LBB12_2035:                            ;   in Loop: Header=BB12_1841 Depth=1
	s_or_b32 exec_lo, exec_lo, s10
	s_delay_alu instid0(SALU_CYCLE_1)
	s_mov_b32 s10, exec_lo
	v_cmpx_ne_u32_e32 0, v0
	s_cbranch_execz .LBB12_1839
; %bb.2036:                             ;   in Loop: Header=BB12_1841 Depth=1
	s_and_saveexec_b32 s17, s7
	s_cbranch_execz .LBB12_1838
; %bb.2037:                             ;   in Loop: Header=BB12_1841 Depth=1
	scratch_load_b64 v[0:1], off, s33 offset:272 ; 8-byte Folded Reload
	global_wb scope:SCOPE_SYS
	s_wait_loadcnt 0x0
	s_wait_storecnt 0x0
	s_wait_xcnt 0x0
	flat_store_b32 v[0:1], v43 scope:SCOPE_SYS
	s_branch .LBB12_1838
.LBB12_2038:
	s_or_b32 exec_lo, exec_lo, s13
	s_clause 0x2
	scratch_load_b32 v31, off, s33 offset:288
	scratch_load_b64 v[24:25], off, s33 offset:292
	scratch_load_b32 v10, off, s33 offset:300
	v_mov_b32_e32 v23, v117
.LBB12_2039:
	s_wait_xcnt 0x0
	s_or_b32 exec_lo, exec_lo, s12
.LBB12_2040:
	s_delay_alu instid0(SALU_CYCLE_1) | instskip(SKIP_2) | instid1(VALU_DEP_1)
	s_or_b32 exec_lo, exec_lo, s11
	v_and_b32_e32 v0, 0x800, v126
	s_mov_b32 s1, exec_lo
	v_cmpx_eq_u32_e32 0, v0
	s_cbranch_execz .LBB12_2073
; %bb.2041:
	v_and_b32_e32 v0, 48, v126
	s_mov_b32 s0, exec_lo
	s_delay_alu instid0(VALU_DEP_1)
	v_cmpx_ne_u32_e32 0, v0
	s_cbranch_execz .LBB12_2043
; %bb.2042:
	s_wait_loadcnt 0x0
	flat_store_b64 v[24:25], v[8:9] offset:104
.LBB12_2043:
	s_wait_xcnt 0x0
	s_or_b32 exec_lo, exec_lo, s0
	v_and_b32_e32 v0, 0x88, v126
	s_mov_b32 s2, exec_lo
	s_delay_alu instid0(VALU_DEP_1)
	v_cmpx_eq_u32_e32 0x88, v0
	s_cbranch_execz .LBB12_2053
; %bb.2044:
	s_wait_loadcnt 0x0
	v_dual_add_nc_u32 v0, -1, v8 :: v_dual_bitop2_b32 v4, 64, v126 bitop3:0x40
	s_mov_b32 s3, 0
	s_delay_alu instid0(VALU_DEP_1) | instskip(NEXT) | instid1(VALU_DEP_2)
	v_and_b32_e32 v0, 7, v0
	v_cmp_eq_u32_e64 s0, 0, v4
	s_delay_alu instid0(VALU_DEP_2)
	v_mad_nc_u64_u32 v[2:3], v0, 24, v[6:7]
	flat_load_b64 v[0:1], v[2:3] offset:8 scope:SCOPE_SYS
	s_wait_loadcnt_dscnt 0x0
	v_cmp_ne_u64_e32 vcc_lo, -1, v[0:1]
	s_and_b32 s0, vcc_lo, s0
	s_wait_xcnt 0x0
	s_and_b32 exec_lo, exec_lo, s0
	s_cbranch_execz .LBB12_2053
; %bb.2045:
	s_mov_b32 s5, 0
                                        ; implicit-def: $sgpr0
                                        ; implicit-def: $sgpr4
	s_branch .LBB12_2048
.LBB12_2046:                            ;   in Loop: Header=BB12_2048 Depth=1
	flat_load_b64 v[4:5], v[2:3] offset:8 scope:SCOPE_SYS
	s_wait_loadcnt 0x0
	s_and_not1_b32 s4, s4, exec_lo
	s_wait_dscnt 0x0
	v_cmp_eq_u64_e32 vcc_lo, -1, v[4:5]
	s_or_not1_b32 s7, vcc_lo, exec_lo
.LBB12_2047:                            ;   in Loop: Header=BB12_2048 Depth=1
	s_wait_xcnt 0x0
	s_or_b32 exec_lo, exec_lo, s10
	s_delay_alu instid0(SALU_CYCLE_1) | instskip(NEXT) | instid1(SALU_CYCLE_1)
	s_and_b32 s6, exec_lo, s7
	s_or_b32 s3, s6, s3
	s_and_not1_b32 s0, s0, exec_lo
	s_and_b32 s6, s4, exec_lo
	s_delay_alu instid0(SALU_CYCLE_1)
	s_or_b32 s0, s0, s6
	s_and_not1_b32 exec_lo, exec_lo, s3
	s_cbranch_execz .LBB12_2051
.LBB12_2048:                            ; =>This Inner Loop Header: Depth=1
	s_cmp_lt_i32 s5, 0x270f
	s_cselect_b32 s6, -1, 0
	s_delay_alu instid0(SALU_CYCLE_1)
	s_and_b32 vcc_lo, exec_lo, s6
	s_cbranch_vccnz .LBB12_2050
; %bb.2049:                             ;   in Loop: Header=BB12_2048 Depth=1
	s_trap 2
	ds_load_b64 v[0:1], v0
	s_and_not1_b32 s6, s6, exec_lo
	s_mov_b32 s5, 0
	s_wait_storecnt_dscnt 0x0
	flat_load_b32 v0, v[0:1] scope:SCOPE_SYS
	s_wait_loadcnt_dscnt 0x0
	global_inv scope:SCOPE_SYS
	v_cmp_eq_u32_e32 vcc_lo, 0, v0
	s_and_b32 s7, vcc_lo, exec_lo
	s_delay_alu instid0(SALU_CYCLE_1)
	s_or_b32 s6, s6, s7
	s_mov_b32 s7, -1
	s_or_b32 s4, s4, exec_lo
	s_wait_xcnt 0x0
	s_and_saveexec_b32 s10, s6
	s_cbranch_execz .LBB12_2047
	s_branch .LBB12_2046
.LBB12_2050:                            ;   in Loop: Header=BB12_2048 Depth=1
	s_add_co_i32 s5, s5, 1
                                        ; implicit-def: $vgpr0
	s_mov_b32 s7, -1
	s_or_b32 s4, s4, exec_lo
	s_and_saveexec_b32 s10, s6
	s_cbranch_execz .LBB12_2047
	s_branch .LBB12_2046
.LBB12_2051:
	s_or_b32 exec_lo, exec_lo, s3
	s_and_saveexec_b32 s3, s0
	s_delay_alu instid0(SALU_CYCLE_1)
	s_xor_b32 s3, exec_lo, s3
	s_cbranch_execz .LBB12_2053
; %bb.2052:
	s_wait_loadcnt 0x0
	s_wait_storecnt 0x0
	ds_store_b32 v0, v0
	s_trap 2
.LBB12_2053:
	s_or_b32 exec_lo, exec_lo, s2
	v_and_b32_e32 v0, 0x2000, v126
	s_mov_b32 s0, exec_lo
	s_delay_alu instid0(VALU_DEP_1)
	v_cmpx_ne_u32_e32 0, v0
	s_cbranch_execz .LBB12_2055
; %bb.2054:
	s_trap 2
	scratch_load_b64 v[2:3], off, s33 offset:320 th:TH_LOAD_LU ; 8-byte Folded Reload
	ds_load_b64 v[0:1], v0
	s_wait_loadcnt_dscnt 0x0
	flat_store_b64 v[2:3], v[0:1] offset:16
.LBB12_2055:
	s_wait_xcnt 0x0
	s_or_b32 exec_lo, exec_lo, s0
	s_wait_loadcnt 0x3
	v_cmp_ne_u32_e32 vcc_lo, 32, v23
	s_and_b32 exec_lo, exec_lo, vcc_lo
	s_cbranch_execz .LBB12_2073
; %bb.2056:
	s_mov_b32 s0, exec_lo
	s_wait_loadcnt 0x0
	v_cmpx_ne_u32_e64 v23, v10
	s_xor_b32 s0, exec_lo, s0
	s_cbranch_execz .LBB12_2071
; %bb.2057:
	v_and_b32_e32 v0, 31, v31
	s_mov_b32 s2, exec_lo
	s_delay_alu instid0(VALU_DEP_1)
	v_cmpx_eq_u32_e32 0, v0
	s_cbranch_execz .LBB12_2070
; %bb.2058:
	s_mov_b32 s4, exec_lo
	s_mov_b32 s3, exec_lo
	v_mbcnt_lo_u32_b32 v0, s4, 0
	global_wb scope:SCOPE_DEV
	s_wait_storecnt_dscnt 0x0
	global_inv scope:SCOPE_DEV
	v_cmpx_eq_u32_e32 0, v0
	s_cbranch_execz .LBB12_2060
; %bb.2059:
	s_bcnt1_i32_b32 s4, s4
	s_delay_alu instid0(SALU_CYCLE_1)
	v_dual_mov_b32 v1, 0 :: v_dual_mov_b32 v0, s4
	s_wait_loadcnt 0x0
	ds_add_u64 v0, v[0:1]
	s_trap 2
.LBB12_2060:
	s_or_b32 exec_lo, exec_lo, s3
	s_trap 2
	ds_load_b64 v[2:3], v0
	s_wait_dscnt 0x0
	v_dual_mov_b32 v1, 0 :: v_dual_lshrrev_b32 v0, 5, v23
	s_mov_b32 s3, exec_lo
	s_delay_alu instid0(VALU_DEP_1) | instskip(NEXT) | instid1(VALU_DEP_1)
	v_add_nc_u64_e32 v[0:1], v[56:57], v[0:1]
	v_cmpx_lt_u64_e64 v[2:3], v[0:1]
	s_cbranch_execz .LBB12_2069
; %bb.2061:
	s_mov_b32 s4, 0
	s_mov_b32 s7, 0
                                        ; implicit-def: $sgpr5
                                        ; implicit-def: $sgpr6
	s_branch .LBB12_2063
.LBB12_2062:                            ;   in Loop: Header=BB12_2063 Depth=1
	s_or_b32 exec_lo, exec_lo, s11
	s_delay_alu instid0(SALU_CYCLE_1) | instskip(NEXT) | instid1(SALU_CYCLE_1)
	s_and_b32 s10, exec_lo, s12
	s_or_b32 s4, s10, s4
	s_and_not1_b32 s5, s5, exec_lo
	s_and_b32 s10, s6, exec_lo
	s_delay_alu instid0(SALU_CYCLE_1)
	s_or_b32 s5, s5, s10
	s_and_not1_b32 exec_lo, exec_lo, s4
	s_cbranch_execz .LBB12_2067
.LBB12_2063:                            ; =>This Inner Loop Header: Depth=1
	s_add_co_i32 s7, s7, 1
	s_delay_alu instid0(SALU_CYCLE_1) | instskip(SKIP_1) | instid1(SALU_CYCLE_1)
	s_cmp_lg_u32 s7, 0x2710
	s_cselect_b32 s10, -1, 0
	s_and_b32 vcc_lo, exec_lo, s10
	s_cbranch_vccz .LBB12_2065
; %bb.2064:                             ;   in Loop: Header=BB12_2063 Depth=1
	s_mov_b32 s12, -1
	s_or_b32 s6, s6, exec_lo
	s_and_saveexec_b32 s11, s10
	s_cbranch_execz .LBB12_2062
	s_branch .LBB12_2066
.LBB12_2065:                            ;   in Loop: Header=BB12_2063 Depth=1
	s_trap 2
	ds_load_b64 v[2:3], v0
	s_and_not1_b32 s10, s10, exec_lo
	s_mov_b32 s7, 0
	s_wait_loadcnt_dscnt 0x0
	flat_load_b32 v2, v[2:3] scope:SCOPE_SYS
	s_wait_loadcnt_dscnt 0x0
	global_inv scope:SCOPE_SYS
	v_cmp_eq_u32_e32 vcc_lo, 0, v2
	s_and_b32 s11, vcc_lo, exec_lo
	s_delay_alu instid0(SALU_CYCLE_1)
	s_or_b32 s10, s10, s11
	s_mov_b32 s12, -1
	s_or_b32 s6, s6, exec_lo
	s_and_saveexec_b32 s11, s10
	s_cbranch_execz .LBB12_2062
.LBB12_2066:                            ;   in Loop: Header=BB12_2063 Depth=1
	s_sleep 1
	s_trap 2
	ds_load_b64 v[2:3], v0
	s_wait_dscnt 0x0
	s_and_not1_b32 s6, s6, exec_lo
	v_cmp_ge_u64_e32 vcc_lo, v[2:3], v[0:1]
	s_or_not1_b32 s12, vcc_lo, exec_lo
	s_branch .LBB12_2062
.LBB12_2067:
	s_or_b32 exec_lo, exec_lo, s4
	s_and_saveexec_b32 s4, s5
	s_delay_alu instid0(SALU_CYCLE_1)
	s_xor_b32 s4, exec_lo, s4
	s_cbranch_execz .LBB12_2069
; %bb.2068:
	v_mov_b32_e32 v0, 1
	ds_store_b32 v0, v0
	s_trap 2
.LBB12_2069:
	s_or_b32 exec_lo, exec_lo, s3
	;;#ASMSTART
	s_wakeup
	;;#ASMEND
.LBB12_2070:
	s_or_b32 exec_lo, exec_lo, s2
.LBB12_2071:
	s_and_not1_saveexec_b32 s0, s0
	s_cbranch_execz .LBB12_2073
; %bb.2072:
	global_wb scope:SCOPE_DEV
	s_wait_storecnt 0x0
	s_wait_loadcnt_dscnt 0x0
	global_inv scope:SCOPE_DEV
	s_barrier_signal -1
	s_barrier_wait -1
.LBB12_2073:
	s_or_b32 exec_lo, exec_lo, s1
.LBB12_2074:
	s_and_not1_saveexec_b32 s21, s16
	s_cbranch_execz .LBB12_2076
; %bb.2075:
	s_get_pc_i64 s[0:1]
	s_add_nc_u64 s[0:1], s[0:1], __PRETTY_FUNCTION__._ZN10PrimitivesI12hip_bfloat1610FuncMinMaxIS0_E12FanSymmetricILi1EELi0E11ProtoSimpleILi1ELi1ELi0ELi4ELi0ELi0EELi0ELb0ELi0ELi1ELi0EEC2EiiPKiS9_PKvPvmhhhP15ncclDevWorkCollP14ncclDevWorkP2pii@rel64+4
	s_get_pc_i64 s[2:3]
	s_add_nc_u64 s[2:3], s[2:3], __assert_fail@rel64+4
	v_dual_mov_b32 v0, s0 :: v_dual_mov_b32 v1, s1
	s_swap_pc_i64 s[30:31], s[2:3]
	; divergent unreachable
.LBB12_2076:
	s_or_b32 exec_lo, exec_lo, s21
	s_clause 0x26
	scratch_load_b32 v126, off, s33
	scratch_load_b32 v125, off, s33 offset:4
	scratch_load_b32 v124, off, s33 offset:8
	;; [unrolled: 1-line block ×38, first 2 shown]
	s_wait_loadcnt 0x2a
	s_clause 0x7
	scratch_load_b32 v47, off, s33 offset:156
	scratch_load_b32 v46, off, s33 offset:160
	;; [unrolled: 1-line block ×8, first 2 shown]
	v_readlane_b32 s30, v127, 0
	v_readlane_b32 s31, v127, 1
	s_mov_b32 s32, s33
	s_wait_xcnt 0x0
	s_or_saveexec_b32 s0, -1
	scratch_load_b32 v127, off, s33 offset:352 ; 4-byte Folded Reload
	s_wait_xcnt 0x0
	s_mov_b32 exec_lo, s0
	s_mov_b32 s33, s56
	s_wait_loadcnt_dscnt 0x0
	s_set_pc_i64 s[30:31]
.Lfunc_end12:
	.size	_ZN12_GLOBAL__N_17runRingI12hip_bfloat1610FuncMinMaxIS1_E11ProtoSimpleILi1ELi1ELi0ELi4ELi0ELi0EELi0ELi4ELi1EEEviiP15ncclDevWorkColl, .Lfunc_end12-_ZN12_GLOBAL__N_17runRingI12hip_bfloat1610FuncMinMaxIS1_E11ProtoSimpleILi1ELi1ELi0ELi4ELi0ELi0EELi0ELi4ELi1EEEviiP15ncclDevWorkColl
                                        ; -- End function
	.set .L_ZN12_GLOBAL__N_17runRingI12hip_bfloat1610FuncMinMaxIS1_E11ProtoSimpleILi1ELi1ELi0ELi4ELi0ELi0EELi0ELi4ELi1EEEviiP15ncclDevWorkColl.num_vgpr, max(128, .L__assert_fail.num_vgpr)
	.set .L_ZN12_GLOBAL__N_17runRingI12hip_bfloat1610FuncMinMaxIS1_E11ProtoSimpleILi1ELi1ELi0ELi4ELi0ELi0EELi0ELi4ELi1EEEviiP15ncclDevWorkColl.num_agpr, max(0, .L__assert_fail.num_agpr)
	.set .L_ZN12_GLOBAL__N_17runRingI12hip_bfloat1610FuncMinMaxIS1_E11ProtoSimpleILi1ELi1ELi0ELi4ELi0ELi0EELi0ELi4ELi1EEEviiP15ncclDevWorkColl.numbered_sgpr, max(57, .L__assert_fail.numbered_sgpr)
	.set .L_ZN12_GLOBAL__N_17runRingI12hip_bfloat1610FuncMinMaxIS1_E11ProtoSimpleILi1ELi1ELi0ELi4ELi0ELi0EELi0ELi4ELi1EEEviiP15ncclDevWorkColl.num_named_barrier, max(0, .L__assert_fail.num_named_barrier)
	.set .L_ZN12_GLOBAL__N_17runRingI12hip_bfloat1610FuncMinMaxIS1_E11ProtoSimpleILi1ELi1ELi0ELi4ELi0ELi0EELi0ELi4ELi1EEEviiP15ncclDevWorkColl.private_seg_size, 368+max(.L__assert_fail.private_seg_size)
	.set .L_ZN12_GLOBAL__N_17runRingI12hip_bfloat1610FuncMinMaxIS1_E11ProtoSimpleILi1ELi1ELi0ELi4ELi0ELi0EELi0ELi4ELi1EEEviiP15ncclDevWorkColl.uses_vcc, or(1, .L__assert_fail.uses_vcc)
	.set .L_ZN12_GLOBAL__N_17runRingI12hip_bfloat1610FuncMinMaxIS1_E11ProtoSimpleILi1ELi1ELi0ELi4ELi0ELi0EELi0ELi4ELi1EEEviiP15ncclDevWorkColl.uses_flat_scratch, or(1, .L__assert_fail.uses_flat_scratch)
	.set .L_ZN12_GLOBAL__N_17runRingI12hip_bfloat1610FuncMinMaxIS1_E11ProtoSimpleILi1ELi1ELi0ELi4ELi0ELi0EELi0ELi4ELi1EEEviiP15ncclDevWorkColl.has_dyn_sized_stack, or(0, .L__assert_fail.has_dyn_sized_stack)
	.set .L_ZN12_GLOBAL__N_17runRingI12hip_bfloat1610FuncMinMaxIS1_E11ProtoSimpleILi1ELi1ELi0ELi4ELi0ELi0EELi0ELi4ELi1EEEviiP15ncclDevWorkColl.has_recursion, or(1, .L__assert_fail.has_recursion)
	.set .L_ZN12_GLOBAL__N_17runRingI12hip_bfloat1610FuncMinMaxIS1_E11ProtoSimpleILi1ELi1ELi0ELi4ELi0ELi0EELi0ELi4ELi1EEEviiP15ncclDevWorkColl.has_indirect_call, or(0, .L__assert_fail.has_indirect_call)
	.section	.AMDGPU.csdata,"",@progbits
; Function info:
; codeLenInByte = 83532
; TotalNumSgprs: 59
; NumVgprs: 128
; ScratchSize: 432
; MemoryBound: 1
	.text
	.p2align	2                               ; -- Begin function _Z48ncclDevFunc_Reduce_RING_SIMPLE_MinMax_bf16_0_1_4v
	.type	_Z48ncclDevFunc_Reduce_RING_SIMPLE_MinMax_bf16_0_1_4v,@function
_Z48ncclDevFunc_Reduce_RING_SIMPLE_MinMax_bf16_0_1_4v: ; @_Z48ncclDevFunc_Reduce_RING_SIMPLE_MinMax_bf16_0_1_4v
; %bb.0:
	s_wait_loadcnt_dscnt 0x0
	s_wait_kmcnt 0x0
	s_mov_b32 s72, s33
	s_mov_b32 s33, s32
	s_or_saveexec_b32 s0, -1
	scratch_store_b32 off, v42, s33 offset:12 ; 4-byte Folded Spill
	s_wait_xcnt 0x0
	s_mov_b32 exec_lo, s0
	s_add_co_i32 s32, s32, 32
	s_clause 0x2
	scratch_store_b32 off, v40, s33 offset:8
	; meta instruction
	scratch_store_b32 off, v41, s33 offset:4
	; meta instruction
	scratch_store_b32 off, v127, s33
	v_writelane_b32 v42, s30, 0
	v_writelane_b32 v42, s31, 1
	s_trap 2
	ds_load_b32 v0, v0
	s_wait_xcnt 0x2
	v_mov_b32_e32 v40, v31
	s_mov_b32 s57, s12
	s_mov_b64 s[58:59], s[8:9]
	s_mov_b32 s2, exec_lo
	s_wait_xcnt 0x1
	v_and_b32_e32 v41, 0x3ff, v40
	s_wait_dscnt 0x0
	s_wait_xcnt 0x0
	s_delay_alu instid0(VALU_DEP_1)
	v_cmpx_lt_i32_e64 v41, v0
	s_cbranch_execz .LBB13_5
; %bb.1:
	s_load_b32 s0, s[58:59], 0x0
	s_bfe_u32 s1, ttmp6, 0x4000c
	s_and_b32 s3, ttmp6, 15
	s_add_co_i32 s1, s1, 1
	s_getreg_b32 s4, hwreg(HW_REG_IB_STS2, 6, 4)
	s_mul_i32 s1, ttmp9, s1
	v_mov_b32_e32 v2, v41
	s_add_co_i32 s3, s3, s1
	s_cmp_eq_u32 s4, 0
                                        ; implicit-def: $vgpr3
	s_cselect_b32 s1, ttmp9, s3
	s_mov_b32 s3, 0
	s_wait_kmcnt 0x0
	s_cmp_lt_u32 s1, s0
	s_mov_b32 s1, 0
	s_cselect_b32 s0, 12, 18
	s_delay_alu instid0(SALU_CYCLE_1)
	s_add_nc_u64 s[4:5], s[58:59], s[0:1]
	s_load_u16 s0, s[4:5], 0x0
	s_trap 2
	ds_load_b32 v1, v0
	s_wait_dscnt 0x0
	s_wait_kmcnt 0x0
	v_mul_lo_u32 v1, v1, s0
	s_branch .LBB13_3
.LBB13_2:                               ;   in Loop: Header=BB13_3 Depth=1
	s_or_b32 exec_lo, exec_lo, s4
	v_dual_add_nc_u32 v2, s0, v2 :: v_dual_add_nc_u32 v3, v3, v1
	s_delay_alu instid0(VALU_DEP_1) | instskip(SKIP_1) | instid1(SALU_CYCLE_1)
	v_cmp_ge_i32_e32 vcc_lo, v2, v0
	s_or_b32 s3, vcc_lo, s3
	s_and_not1_b32 exec_lo, exec_lo, s3
	s_cbranch_execz .LBB13_5
.LBB13_3:                               ; =>This Inner Loop Header: Depth=1
	ds_load_b32 v4, v3
	s_mov_b32 s4, exec_lo
	s_wait_dscnt 0x0
	v_and_b32_e32 v4, 0x1000000, v4
	s_delay_alu instid0(VALU_DEP_1)
	v_cmpx_ne_u32_e32 0, v4
	s_cbranch_execz .LBB13_2
; %bb.4:                                ;   in Loop: Header=BB13_3 Depth=1
	ds_load_b64 v[4:5], v3 offset:104
	s_wait_dscnt 0x0
	flat_load_u16 v4, v[4:5]
	s_wait_xcnt 0x0
	v_mov_b32_e32 v5, s1
	s_wait_loadcnt_dscnt 0x0
	v_and_b32_e32 v4, 0xffff, v4
	ds_store_b64 v3, v[4:5] offset:104
	s_branch .LBB13_2
.LBB13_5:
	s_or_b32 exec_lo, exec_lo, s2
	s_wait_storecnt_dscnt 0x0
	s_barrier_signal -1
	s_barrier_wait -1
	s_trap 2
	ds_load_b32 v0, v0
	s_wait_dscnt 0x0
	v_cmp_gt_i32_e32 vcc_lo, 1, v0
	s_cbranch_vccnz .LBB13_13
; %bb.6:
	s_mov_b32 s62, 0
	s_get_pc_i64 s[60:61]
	s_add_nc_u64 s[60:61], s[60:61], _ZN12_GLOBAL__N_17runRingI12hip_bfloat1610FuncMinMaxIS1_E11ProtoSimpleILi1ELi1ELi0ELi4ELi0ELi0EELi0ELi4ELi1EEEviiP15ncclDevWorkColl@rel64+4
	s_branch .LBB13_8
.LBB13_7:                               ;   in Loop: Header=BB13_8 Depth=1
	s_or_b32 exec_lo, exec_lo, s63
	s_trap 2
	ds_load_b32 v0, v0
	s_add_co_i32 s62, s62, 1
	s_wait_dscnt 0x0
	v_cmp_lt_i32_e32 vcc_lo, s62, v0
	s_cbranch_vccz .LBB13_13
.LBB13_8:                               ; =>This Inner Loop Header: Depth=1
	s_trap 2
	ds_load_b32 v0, v0
	s_cmp_eq_u32 s62, 0
	s_cbranch_scc1 .LBB13_11
; %bb.9:                                ;   in Loop: Header=BB13_8 Depth=1
	s_trap 2
	s_wait_dscnt 0x0
	ds_load_b32 v1, v0
	s_wait_dscnt 0x0
	v_xor_b32_e32 v1, v1, v0
	s_delay_alu instid0(VALU_DEP_1) | instskip(NEXT) | instid1(VALU_DEP_1)
	v_and_b32_e32 v1, 0xff0000, v1
	v_cmp_eq_u32_e32 vcc_lo, 0, v1
	s_cbranch_vccnz .LBB13_11
; %bb.10:                               ;   in Loop: Header=BB13_8 Depth=1
	s_barrier_signal -1
	s_barrier_wait -1
	ds_load_b32 v0, v0
.LBB13_11:                              ;   in Loop: Header=BB13_8 Depth=1
	s_wait_dscnt 0x0
	v_lshrrev_b32_e32 v0, 11, v0
	s_mov_b32 s63, exec_lo
	s_delay_alu instid0(VALU_DEP_1) | instskip(NEXT) | instid1(VALU_DEP_1)
	v_and_b32_e32 v1, 0x1fe0, v0
	v_cmpx_lt_u32_e64 v41, v1
	s_cbranch_execz .LBB13_7
; %bb.12:                               ;   in Loop: Header=BB13_8 Depth=1
	s_mov_b64 s[0:1], src_shared_base
	v_dual_mov_b32 v31, v40 :: v_dual_mov_b32 v0, v41
	v_mov_b32_e32 v3, s1
	s_mov_b64 s[8:9], s[58:59]
	s_mov_b32 s12, s57
	s_swap_pc_i64 s[30:31], s[60:61]
	s_branch .LBB13_7
.LBB13_13:
	s_clause 0x2
	scratch_load_b32 v127, off, s33
	scratch_load_b32 v41, off, s33 offset:4
	scratch_load_b32 v40, off, s33 offset:8
	v_readlane_b32 s30, v42, 0
	v_readlane_b32 s31, v42, 1
	s_mov_b32 s32, s33
	s_wait_xcnt 0x0
	s_or_saveexec_b32 s0, -1
	scratch_load_b32 v42, off, s33 offset:12 ; 4-byte Folded Reload
	s_wait_xcnt 0x0
	s_mov_b32 exec_lo, s0
	s_mov_b32 s33, s72
	s_wait_loadcnt 0x0
	s_set_pc_i64 s[30:31]
.Lfunc_end13:
	.size	_Z48ncclDevFunc_Reduce_RING_SIMPLE_MinMax_bf16_0_1_4v, .Lfunc_end13-_Z48ncclDevFunc_Reduce_RING_SIMPLE_MinMax_bf16_0_1_4v
                                        ; -- End function
	.set .L_Z48ncclDevFunc_Reduce_RING_SIMPLE_MinMax_bf16_0_1_4v.num_vgpr, max(128, .L_ZN12_GLOBAL__N_17runRingI12hip_bfloat1610FuncMinMaxIS1_E11ProtoSimpleILi1ELi1ELi0ELi4ELi0ELi0EELi0ELi4ELi1EEEviiP15ncclDevWorkColl.num_vgpr)
	.set .L_Z48ncclDevFunc_Reduce_RING_SIMPLE_MinMax_bf16_0_1_4v.num_agpr, max(0, .L_ZN12_GLOBAL__N_17runRingI12hip_bfloat1610FuncMinMaxIS1_E11ProtoSimpleILi1ELi1ELi0ELi4ELi0ELi0EELi0ELi4ELi1EEEviiP15ncclDevWorkColl.num_agpr)
	.set .L_Z48ncclDevFunc_Reduce_RING_SIMPLE_MinMax_bf16_0_1_4v.numbered_sgpr, max(73, .L_ZN12_GLOBAL__N_17runRingI12hip_bfloat1610FuncMinMaxIS1_E11ProtoSimpleILi1ELi1ELi0ELi4ELi0ELi0EELi0ELi4ELi1EEEviiP15ncclDevWorkColl.numbered_sgpr)
	.set .L_Z48ncclDevFunc_Reduce_RING_SIMPLE_MinMax_bf16_0_1_4v.num_named_barrier, max(0, .L_ZN12_GLOBAL__N_17runRingI12hip_bfloat1610FuncMinMaxIS1_E11ProtoSimpleILi1ELi1ELi0ELi4ELi0ELi0EELi0ELi4ELi1EEEviiP15ncclDevWorkColl.num_named_barrier)
	.set .L_Z48ncclDevFunc_Reduce_RING_SIMPLE_MinMax_bf16_0_1_4v.private_seg_size, 32+max(.L_ZN12_GLOBAL__N_17runRingI12hip_bfloat1610FuncMinMaxIS1_E11ProtoSimpleILi1ELi1ELi0ELi4ELi0ELi0EELi0ELi4ELi1EEEviiP15ncclDevWorkColl.private_seg_size)
	.set .L_Z48ncclDevFunc_Reduce_RING_SIMPLE_MinMax_bf16_0_1_4v.uses_vcc, or(1, .L_ZN12_GLOBAL__N_17runRingI12hip_bfloat1610FuncMinMaxIS1_E11ProtoSimpleILi1ELi1ELi0ELi4ELi0ELi0EELi0ELi4ELi1EEEviiP15ncclDevWorkColl.uses_vcc)
	.set .L_Z48ncclDevFunc_Reduce_RING_SIMPLE_MinMax_bf16_0_1_4v.uses_flat_scratch, or(1, .L_ZN12_GLOBAL__N_17runRingI12hip_bfloat1610FuncMinMaxIS1_E11ProtoSimpleILi1ELi1ELi0ELi4ELi0ELi0EELi0ELi4ELi1EEEviiP15ncclDevWorkColl.uses_flat_scratch)
	.set .L_Z48ncclDevFunc_Reduce_RING_SIMPLE_MinMax_bf16_0_1_4v.has_dyn_sized_stack, or(0, .L_ZN12_GLOBAL__N_17runRingI12hip_bfloat1610FuncMinMaxIS1_E11ProtoSimpleILi1ELi1ELi0ELi4ELi0ELi0EELi0ELi4ELi1EEEviiP15ncclDevWorkColl.has_dyn_sized_stack)
	.set .L_Z48ncclDevFunc_Reduce_RING_SIMPLE_MinMax_bf16_0_1_4v.has_recursion, or(1, .L_ZN12_GLOBAL__N_17runRingI12hip_bfloat1610FuncMinMaxIS1_E11ProtoSimpleILi1ELi1ELi0ELi4ELi0ELi0EELi0ELi4ELi1EEEviiP15ncclDevWorkColl.has_recursion)
	.set .L_Z48ncclDevFunc_Reduce_RING_SIMPLE_MinMax_bf16_0_1_4v.has_indirect_call, or(0, .L_ZN12_GLOBAL__N_17runRingI12hip_bfloat1610FuncMinMaxIS1_E11ProtoSimpleILi1ELi1ELi0ELi4ELi0ELi0EELi0ELi4ELi1EEEviiP15ncclDevWorkColl.has_indirect_call)
	.section	.AMDGPU.csdata,"",@progbits
; Function info:
; codeLenInByte = 756
; TotalNumSgprs: 75
; NumVgprs: 128
; ScratchSize: 464
; MemoryBound: 0
	.text
	.p2alignl 7, 3214868480
	.fill 96, 4, 3214868480
	.section	.AMDGPU.gpr_maximums,"",@progbits
	.set amdgpu.max_num_vgpr, 128
	.set amdgpu.max_num_agpr, 0
	.set amdgpu.max_num_sgpr, 75
	.text
	.type	__const.__assert_fail.fmt,@object ; @__const.__assert_fail.fmt
	.section	.rodata.str1.16,"aMS",@progbits,1
	.p2align	4, 0x0
__const.__assert_fail.fmt:
	.asciz	"%s:%u: %s: Device-side assertion `%s' failed.\n"
	.size	__const.__assert_fail.fmt, 47

	.type	.str.3,@object                  ; @.str.3
	.section	.rodata.str1.1,"aMS",@progbits,1
.str.3:
	.asciz	"2*(nrecv+nsend) <= nthreads"
	.size	.str.3, 28

	.type	.str.4,@object                  ; @.str.4
.str.4:
	.asciz	"/root/src/amdgpu-assembly/repos/ROCm__rccl/hipify/src/device/prims_simple.h"
	.size	.str.4, 76

	.type	__PRETTY_FUNCTION__._ZN10PrimitivesI12hip_bfloat1610FuncMinMaxIS0_E12FanSymmetricILi1EELi0E11ProtoSimpleILi1ELi1ELi0ELi1ELi0ELi0EELi0ELb0ELi0ELi0ELi0EEC2EiiPKiS9_PKvPvmhhhP15ncclDevWorkCollP14ncclDevWorkP2pii,@object ; @__PRETTY_FUNCTION__._ZN10PrimitivesI12hip_bfloat1610FuncMinMaxIS0_E12FanSymmetricILi1EELi0E11ProtoSimpleILi1ELi1ELi0ELi1ELi0ELi0EELi0ELb0ELi0ELi0ELi0EEC2EiiPKiS9_PKvPvmhhhP15ncclDevWorkCollP14ncclDevWorkP2pii
__PRETTY_FUNCTION__._ZN10PrimitivesI12hip_bfloat1610FuncMinMaxIS0_E12FanSymmetricILi1EELi0E11ProtoSimpleILi1ELi1ELi0ELi1ELi0ELi0EELi0ELb0ELi0ELi0ELi0EEC2EiiPKiS9_PKvPvmhhhP15ncclDevWorkCollP14ncclDevWorkP2pii:
	.asciz	"Primitives<hip_bfloat16, FuncMinMax<hip_bfloat16>, FanSymmetric<1>, 0, ProtoSimple<1, 1, 0, 1>, 0>::Primitives(int, int, const int *, const int *, const void *, void *, uint64_t, uint8_t, uint8_t, uint8_t, struct ncclDevWorkColl *, struct ncclDevWorkP2p *, int, int) [T = hip_bfloat16, RedOp = FuncMinMax<hip_bfloat16>, Fan = FanSymmetric<1>, Direct = 0, Proto = ProtoSimple<1, 1, 0, 1>, P2p = 0, isNetOffload = false, Metadata = 0, Pipeline = 0, useAcc = 0]"
	.size	__PRETTY_FUNCTION__._ZN10PrimitivesI12hip_bfloat1610FuncMinMaxIS0_E12FanSymmetricILi1EELi0E11ProtoSimpleILi1ELi1ELi0ELi1ELi0ELi0EELi0ELb0ELi0ELi0ELi0EEC2EiiPKiS9_PKvPvmhhhP15ncclDevWorkCollP14ncclDevWorkP2pii, 459

	.type	__PRETTY_FUNCTION__._ZN10PrimitivesI12hip_bfloat1610FuncMinMaxIS0_E12FanSymmetricILi1EELi0E11ProtoSimpleILi1ELi1ELi0ELi1ELi0ELi0EELi0ELb0ELi0ELi1ELi0EEC2EiiPKiS9_PKvPvmhhhP15ncclDevWorkCollP14ncclDevWorkP2pii,@object ; @__PRETTY_FUNCTION__._ZN10PrimitivesI12hip_bfloat1610FuncMinMaxIS0_E12FanSymmetricILi1EELi0E11ProtoSimpleILi1ELi1ELi0ELi1ELi0ELi0EELi0ELb0ELi0ELi1ELi0EEC2EiiPKiS9_PKvPvmhhhP15ncclDevWorkCollP14ncclDevWorkP2pii
__PRETTY_FUNCTION__._ZN10PrimitivesI12hip_bfloat1610FuncMinMaxIS0_E12FanSymmetricILi1EELi0E11ProtoSimpleILi1ELi1ELi0ELi1ELi0ELi0EELi0ELb0ELi0ELi1ELi0EEC2EiiPKiS9_PKvPvmhhhP15ncclDevWorkCollP14ncclDevWorkP2pii:
	.asciz	"Primitives<hip_bfloat16, FuncMinMax<hip_bfloat16>, FanSymmetric<1>, 0, ProtoSimple<1, 1, 0, 1>, 0, false, 0, 1>::Primitives(int, int, const int *, const int *, const void *, void *, uint64_t, uint8_t, uint8_t, uint8_t, struct ncclDevWorkColl *, struct ncclDevWorkP2p *, int, int) [T = hip_bfloat16, RedOp = FuncMinMax<hip_bfloat16>, Fan = FanSymmetric<1>, Direct = 0, Proto = ProtoSimple<1, 1, 0, 1>, P2p = 0, isNetOffload = false, Metadata = 0, Pipeline = 1, useAcc = 0]"
	.size	__PRETTY_FUNCTION__._ZN10PrimitivesI12hip_bfloat1610FuncMinMaxIS0_E12FanSymmetricILi1EELi0E11ProtoSimpleILi1ELi1ELi0ELi1ELi0ELi0EELi0ELb0ELi0ELi1ELi0EEC2EiiPKiS9_PKvPvmhhhP15ncclDevWorkCollP14ncclDevWorkP2pii, 472

	.type	__PRETTY_FUNCTION__._ZN10PrimitivesI12hip_bfloat1610FuncMinMaxIS0_E12FanSymmetricILi1EELi0E11ProtoSimpleILi1ELi1ELi0ELi2ELi0ELi0EELi0ELb0ELi0ELi0ELi0EEC2EiiPKiS9_PKvPvmhhhP15ncclDevWorkCollP14ncclDevWorkP2pii,@object ; @__PRETTY_FUNCTION__._ZN10PrimitivesI12hip_bfloat1610FuncMinMaxIS0_E12FanSymmetricILi1EELi0E11ProtoSimpleILi1ELi1ELi0ELi2ELi0ELi0EELi0ELb0ELi0ELi0ELi0EEC2EiiPKiS9_PKvPvmhhhP15ncclDevWorkCollP14ncclDevWorkP2pii
__PRETTY_FUNCTION__._ZN10PrimitivesI12hip_bfloat1610FuncMinMaxIS0_E12FanSymmetricILi1EELi0E11ProtoSimpleILi1ELi1ELi0ELi2ELi0ELi0EELi0ELb0ELi0ELi0ELi0EEC2EiiPKiS9_PKvPvmhhhP15ncclDevWorkCollP14ncclDevWorkP2pii:
	.asciz	"Primitives<hip_bfloat16, FuncMinMax<hip_bfloat16>, FanSymmetric<1>, 0, ProtoSimple<1, 1, 0, 2>, 0>::Primitives(int, int, const int *, const int *, const void *, void *, uint64_t, uint8_t, uint8_t, uint8_t, struct ncclDevWorkColl *, struct ncclDevWorkP2p *, int, int) [T = hip_bfloat16, RedOp = FuncMinMax<hip_bfloat16>, Fan = FanSymmetric<1>, Direct = 0, Proto = ProtoSimple<1, 1, 0, 2>, P2p = 0, isNetOffload = false, Metadata = 0, Pipeline = 0, useAcc = 0]"
	.size	__PRETTY_FUNCTION__._ZN10PrimitivesI12hip_bfloat1610FuncMinMaxIS0_E12FanSymmetricILi1EELi0E11ProtoSimpleILi1ELi1ELi0ELi2ELi0ELi0EELi0ELb0ELi0ELi0ELi0EEC2EiiPKiS9_PKvPvmhhhP15ncclDevWorkCollP14ncclDevWorkP2pii, 459

	.type	__PRETTY_FUNCTION__._ZN10PrimitivesI12hip_bfloat1610FuncMinMaxIS0_E12FanSymmetricILi1EELi0E11ProtoSimpleILi1ELi1ELi0ELi2ELi0ELi0EELi0ELb0ELi0ELi1ELi0EEC2EiiPKiS9_PKvPvmhhhP15ncclDevWorkCollP14ncclDevWorkP2pii,@object ; @__PRETTY_FUNCTION__._ZN10PrimitivesI12hip_bfloat1610FuncMinMaxIS0_E12FanSymmetricILi1EELi0E11ProtoSimpleILi1ELi1ELi0ELi2ELi0ELi0EELi0ELb0ELi0ELi1ELi0EEC2EiiPKiS9_PKvPvmhhhP15ncclDevWorkCollP14ncclDevWorkP2pii
__PRETTY_FUNCTION__._ZN10PrimitivesI12hip_bfloat1610FuncMinMaxIS0_E12FanSymmetricILi1EELi0E11ProtoSimpleILi1ELi1ELi0ELi2ELi0ELi0EELi0ELb0ELi0ELi1ELi0EEC2EiiPKiS9_PKvPvmhhhP15ncclDevWorkCollP14ncclDevWorkP2pii:
	.asciz	"Primitives<hip_bfloat16, FuncMinMax<hip_bfloat16>, FanSymmetric<1>, 0, ProtoSimple<1, 1, 0, 2>, 0, false, 0, 1>::Primitives(int, int, const int *, const int *, const void *, void *, uint64_t, uint8_t, uint8_t, uint8_t, struct ncclDevWorkColl *, struct ncclDevWorkP2p *, int, int) [T = hip_bfloat16, RedOp = FuncMinMax<hip_bfloat16>, Fan = FanSymmetric<1>, Direct = 0, Proto = ProtoSimple<1, 1, 0, 2>, P2p = 0, isNetOffload = false, Metadata = 0, Pipeline = 1, useAcc = 0]"
	.size	__PRETTY_FUNCTION__._ZN10PrimitivesI12hip_bfloat1610FuncMinMaxIS0_E12FanSymmetricILi1EELi0E11ProtoSimpleILi1ELi1ELi0ELi2ELi0ELi0EELi0ELb0ELi0ELi1ELi0EEC2EiiPKiS9_PKvPvmhhhP15ncclDevWorkCollP14ncclDevWorkP2pii, 472

	.type	__PRETTY_FUNCTION__._ZN10PrimitivesI12hip_bfloat1610FuncMinMaxIS0_E12FanSymmetricILi1EELi0E11ProtoSimpleILi1ELi1ELi0ELi4ELi0ELi0EELi0ELb0ELi0ELi0ELi0EEC2EiiPKiS9_PKvPvmhhhP15ncclDevWorkCollP14ncclDevWorkP2pii,@object ; @__PRETTY_FUNCTION__._ZN10PrimitivesI12hip_bfloat1610FuncMinMaxIS0_E12FanSymmetricILi1EELi0E11ProtoSimpleILi1ELi1ELi0ELi4ELi0ELi0EELi0ELb0ELi0ELi0ELi0EEC2EiiPKiS9_PKvPvmhhhP15ncclDevWorkCollP14ncclDevWorkP2pii
__PRETTY_FUNCTION__._ZN10PrimitivesI12hip_bfloat1610FuncMinMaxIS0_E12FanSymmetricILi1EELi0E11ProtoSimpleILi1ELi1ELi0ELi4ELi0ELi0EELi0ELb0ELi0ELi0ELi0EEC2EiiPKiS9_PKvPvmhhhP15ncclDevWorkCollP14ncclDevWorkP2pii:
	.asciz	"Primitives<hip_bfloat16, FuncMinMax<hip_bfloat16>, FanSymmetric<1>, 0, ProtoSimple<1, 1, 0, 4>, 0>::Primitives(int, int, const int *, const int *, const void *, void *, uint64_t, uint8_t, uint8_t, uint8_t, struct ncclDevWorkColl *, struct ncclDevWorkP2p *, int, int) [T = hip_bfloat16, RedOp = FuncMinMax<hip_bfloat16>, Fan = FanSymmetric<1>, Direct = 0, Proto = ProtoSimple<1, 1, 0, 4>, P2p = 0, isNetOffload = false, Metadata = 0, Pipeline = 0, useAcc = 0]"
	.size	__PRETTY_FUNCTION__._ZN10PrimitivesI12hip_bfloat1610FuncMinMaxIS0_E12FanSymmetricILi1EELi0E11ProtoSimpleILi1ELi1ELi0ELi4ELi0ELi0EELi0ELb0ELi0ELi0ELi0EEC2EiiPKiS9_PKvPvmhhhP15ncclDevWorkCollP14ncclDevWorkP2pii, 459

	.type	__PRETTY_FUNCTION__._ZN10PrimitivesI12hip_bfloat1610FuncMinMaxIS0_E12FanSymmetricILi1EELi0E11ProtoSimpleILi1ELi1ELi0ELi4ELi0ELi0EELi0ELb0ELi0ELi1ELi0EEC2EiiPKiS9_PKvPvmhhhP15ncclDevWorkCollP14ncclDevWorkP2pii,@object ; @__PRETTY_FUNCTION__._ZN10PrimitivesI12hip_bfloat1610FuncMinMaxIS0_E12FanSymmetricILi1EELi0E11ProtoSimpleILi1ELi1ELi0ELi4ELi0ELi0EELi0ELb0ELi0ELi1ELi0EEC2EiiPKiS9_PKvPvmhhhP15ncclDevWorkCollP14ncclDevWorkP2pii
__PRETTY_FUNCTION__._ZN10PrimitivesI12hip_bfloat1610FuncMinMaxIS0_E12FanSymmetricILi1EELi0E11ProtoSimpleILi1ELi1ELi0ELi4ELi0ELi0EELi0ELb0ELi0ELi1ELi0EEC2EiiPKiS9_PKvPvmhhhP15ncclDevWorkCollP14ncclDevWorkP2pii:
	.asciz	"Primitives<hip_bfloat16, FuncMinMax<hip_bfloat16>, FanSymmetric<1>, 0, ProtoSimple<1, 1, 0, 4>, 0, false, 0, 1>::Primitives(int, int, const int *, const int *, const void *, void *, uint64_t, uint8_t, uint8_t, uint8_t, struct ncclDevWorkColl *, struct ncclDevWorkP2p *, int, int) [T = hip_bfloat16, RedOp = FuncMinMax<hip_bfloat16>, Fan = FanSymmetric<1>, Direct = 0, Proto = ProtoSimple<1, 1, 0, 4>, P2p = 0, isNetOffload = false, Metadata = 0, Pipeline = 1, useAcc = 0]"
	.size	__PRETTY_FUNCTION__._ZN10PrimitivesI12hip_bfloat1610FuncMinMaxIS0_E12FanSymmetricILi1EELi0E11ProtoSimpleILi1ELi1ELi0ELi4ELi0ELi0EELi0ELb0ELi0ELi1ELi0EEC2EiiPKiS9_PKvPvmhhhP15ncclDevWorkCollP14ncclDevWorkP2pii, 472

	.type	__hip_cuid_a70148c013b0c00f,@object ; @__hip_cuid_a70148c013b0c00f
	.section	.bss,"aw",@nobits
	.globl	__hip_cuid_a70148c013b0c00f
__hip_cuid_a70148c013b0c00f:
	.byte	0                               ; 0x0
	.size	__hip_cuid_a70148c013b0c00f, 1

	.ident	"AMD clang version 22.0.0git (https://github.com/RadeonOpenCompute/llvm-project roc-7.2.4 26084 f58b06dce1f9c15707c5f808fd002e18c2accf7e)"
	.section	".note.GNU-stack","",@progbits
	.addrsig
	.addrsig_sym _Z48ncclDevFunc_Reduce_RING_SIMPLE_MinMax_bf16_0_0_1v
	.addrsig_sym _Z48ncclDevFunc_Reduce_RING_SIMPLE_MinMax_bf16_0_1_1v
	.addrsig_sym _Z48ncclDevFunc_Reduce_RING_SIMPLE_MinMax_bf16_0_0_2v
	.addrsig_sym _Z48ncclDevFunc_Reduce_RING_SIMPLE_MinMax_bf16_0_1_2v
	.addrsig_sym _Z48ncclDevFunc_Reduce_RING_SIMPLE_MinMax_bf16_0_0_4v
	.addrsig_sym _Z48ncclDevFunc_Reduce_RING_SIMPLE_MinMax_bf16_0_1_4v
	.addrsig_sym ncclShmem
	.addrsig_sym __hip_cuid_a70148c013b0c00f
	.amdgpu_metadata
---
amdhsa.kernels:  []
amdhsa.target:   amdgcn-amd-amdhsa--gfx1250
amdhsa.version:
  - 1
  - 2
...

	.end_amdgpu_metadata
